;; amdgpu-corpus repo=pytorch/pytorch kind=compiled arch=gfx1250 opt=O3
	.amdgcn_target "amdgcn-amd-amdhsa--gfx1250"
	.amdhsa_code_object_version 6
	.text
	.p2align	2                               ; -- Begin function _ZN12_GLOBAL__N_130_igam_helper_asymptotic_seriesIdEET_S1_S1_b
	.type	_ZN12_GLOBAL__N_130_igam_helper_asymptotic_seriesIdEET_S1_S1_b,@function
_ZN12_GLOBAL__N_130_igam_helper_asymptotic_seriesIdEET_S1_S1_b: ; @_ZN12_GLOBAL__N_130_igam_helper_asymptotic_seriesIdEET_S1_S1_b
; %bb.0:
	s_wait_loadcnt_dscnt 0x0
	s_wait_kmcnt 0x0
	v_add_f64_e64 v[8:9], v[2:3], -v[0:1]
	v_div_scale_f64 v[6:7], null, v[0:1], v[0:1], v[2:3]
	v_div_scale_f64 v[20:21], vcc_lo, v[2:3], v[0:1], v[2:3]
	v_and_b32_e32 v4, 1, v4
	s_delay_alu instid0(VALU_DEP_4) | instskip(NEXT) | instid1(VALU_DEP_4)
	v_div_scale_f64 v[10:11], null, v[0:1], v[0:1], v[8:9]
	v_rcp_f64_e32 v[12:13], v[6:7]
	s_delay_alu instid0(VALU_DEP_1) | instskip(NEXT) | instid1(TRANS32_DEP_2)
	v_rcp_f64_e32 v[14:15], v[10:11]
	v_fma_f64 v[16:17], -v[6:7], v[12:13], 1.0
	s_delay_alu instid0(TRANS32_DEP_1) | instskip(NEXT) | instid1(VALU_DEP_2)
	v_fma_f64 v[18:19], -v[10:11], v[14:15], 1.0
	v_fmac_f64_e32 v[12:13], v[12:13], v[16:17]
	s_delay_alu instid0(VALU_DEP_2) | instskip(NEXT) | instid1(VALU_DEP_2)
	v_fmac_f64_e32 v[14:15], v[14:15], v[18:19]
	v_fma_f64 v[16:17], -v[6:7], v[12:13], 1.0
	s_delay_alu instid0(VALU_DEP_2) | instskip(NEXT) | instid1(VALU_DEP_2)
	v_fma_f64 v[18:19], -v[10:11], v[14:15], 1.0
	v_fmac_f64_e32 v[12:13], v[12:13], v[16:17]
	v_div_scale_f64 v[16:17], s0, v[8:9], v[0:1], v[8:9]
	s_delay_alu instid0(VALU_DEP_3) | instskip(NEXT) | instid1(VALU_DEP_3)
	v_fmac_f64_e32 v[14:15], v[14:15], v[18:19]
	v_mul_f64_e32 v[18:19], v[20:21], v[12:13]
	s_delay_alu instid0(VALU_DEP_2) | instskip(NEXT) | instid1(VALU_DEP_2)
	v_mul_f64_e32 v[22:23], v[16:17], v[14:15]
	v_fma_f64 v[6:7], -v[6:7], v[18:19], v[20:21]
	s_delay_alu instid0(VALU_DEP_2) | instskip(NEXT) | instid1(VALU_DEP_2)
	v_fma_f64 v[10:11], -v[10:11], v[22:23], v[16:17]
	v_div_fmas_f64 v[6:7], v[6:7], v[12:13], v[18:19]
	s_mov_b32 vcc_lo, s0
	s_mov_b32 s0, 0
	s_delay_alu instid0(SALU_CYCLE_1) | instskip(SKIP_2) | instid1(VALU_DEP_2)
	s_mov_b32 s2, s0
	s_mov_b32 s3, s0
	;; [unrolled: 1-line block ×3, first 2 shown]
	v_div_fmas_f64 v[10:11], v[10:11], v[14:15], v[22:23]
	s_delay_alu instid0(VALU_DEP_2) | instskip(NEXT) | instid1(VALU_DEP_2)
	v_div_fixup_f64 v[6:7], v[6:7], v[0:1], v[2:3]
	v_div_fixup_f64 v[2:3], v[10:11], v[0:1], v[8:9]
	v_mov_b64_e32 v[10:11], s[2:3]
	s_delay_alu instid0(VALU_DEP_3)
	v_cmp_nlt_f64_e32 vcc_lo, 1.0, v[6:7]
	v_mov_b64_e32 v[8:9], s[0:1]
	v_cmp_eq_u32_e64 s0, 1, v4
	v_mov_b64_e32 v[4:5], 1.0
	s_clause 0xd
	scratch_store_b128 off, v[8:11], s32 offset:184
	scratch_store_b128 off, v[8:11], s32 offset:176
	;; [unrolled: 1-line block ×10, first 2 shown]
	scratch_store_b128 off, v[8:11], s32
	scratch_store_b128 off, v[8:11], s32 offset:16
	scratch_store_b128 off, v[8:11], s32 offset:32
	scratch_store_b64 off, v[4:5], s32
                                        ; implicit-def: $vgpr4_vgpr5
	s_wait_xcnt 0x0
	s_and_saveexec_b32 s1, vcc_lo
	s_delay_alu instid0(SALU_CYCLE_1)
	s_xor_b32 s3, exec_lo, s1
	s_cbranch_execz .LBB0_4
; %bb.1:
	v_mov_b64_e32 v[4:5], 0
	s_mov_b32 s4, exec_lo
	v_cmpx_gt_f64_e32 1.0, v[6:7]
	s_cbranch_execz .LBB0_3
; %bb.2:
	v_add_f64_e32 v[4:5], 1.0, v[2:3]
	s_mov_b64 s[6:7], 0x3fe5555555555555
	v_cmp_neq_f64_e64 s1, 0x7ff00000, v[2:3]
	v_cmp_ngt_f64_e64 s2, -1.0, v[2:3]
	s_delay_alu instid0(VALU_DEP_3) | instskip(SKIP_1) | instid1(VALU_DEP_2)
	v_frexp_mant_f64_e32 v[6:7], v[4:5]
	v_frexp_exp_i32_f64_e32 v10, v[4:5]
	v_cmp_gt_f64_e32 vcc_lo, s[6:7], v[6:7]
	s_mov_b64 s[6:7], 0x3fc3ab76bf559e2b
	s_delay_alu instid0(VALU_DEP_2) | instskip(SKIP_2) | instid1(VALU_DEP_2)
	v_subrev_co_ci_u32_e64 v26, null, 0, v10, vcc_lo
	v_add_f64_e32 v[8:9], -1.0, v[4:5]
	v_cmp_nge_f64_e32 vcc_lo, -1.0, v[2:3]
	v_dual_add_f64 v[6:7], v[8:9], -v[4:5] :: v_dual_sub_nc_u32 v12, 0, v26
	s_delay_alu instid0(VALU_DEP_1) | instskip(SKIP_2) | instid1(VALU_DEP_3)
	v_ldexp_f64 v[4:5], v[4:5], v12
	v_add_f64_e64 v[8:9], v[2:3], -v[8:9]
	s_and_b32 vcc_lo, vcc_lo, s1
	v_add_f64_e32 v[6:7], 1.0, v[6:7]
	s_delay_alu instid0(VALU_DEP_3) | instskip(SKIP_1) | instid1(VALU_DEP_3)
	v_add_f64_e32 v[10:11], 1.0, v[4:5]
	v_add_f64_e32 v[16:17], -1.0, v[4:5]
	v_add_f64_e32 v[6:7], v[8:9], v[6:7]
	s_delay_alu instid0(VALU_DEP_3) | instskip(NEXT) | instid1(VALU_DEP_3)
	v_add_f64_e32 v[8:9], -1.0, v[10:11]
	v_add_f64_e32 v[18:19], 1.0, v[16:17]
	s_delay_alu instid0(VALU_DEP_3) | instskip(NEXT) | instid1(VALU_DEP_3)
	v_ldexp_f64 v[6:7], v[6:7], v12
	v_add_f64_e64 v[8:9], v[4:5], -v[8:9]
	s_delay_alu instid0(VALU_DEP_3) | instskip(NEXT) | instid1(VALU_DEP_2)
	v_add_f64_e64 v[4:5], v[4:5], -v[18:19]
	v_add_f64_e32 v[8:9], v[6:7], v[8:9]
	s_delay_alu instid0(VALU_DEP_2) | instskip(NEXT) | instid1(VALU_DEP_2)
	v_add_f64_e32 v[4:5], v[6:7], v[4:5]
	v_add_f64_e32 v[12:13], v[10:11], v[8:9]
	s_delay_alu instid0(VALU_DEP_2) | instskip(NEXT) | instid1(VALU_DEP_2)
	v_add_f64_e32 v[18:19], v[16:17], v[4:5]
	v_rcp_f64_e32 v[14:15], v[12:13]
	v_add_f64_e64 v[10:11], v[12:13], -v[10:11]
	s_delay_alu instid0(VALU_DEP_2) | instskip(NEXT) | instid1(VALU_DEP_2)
	v_add_f64_e64 v[16:17], v[18:19], -v[16:17]
	v_add_f64_e64 v[8:9], v[8:9], -v[10:11]
	s_delay_alu instid0(VALU_DEP_2) | instskip(NEXT) | instid1(TRANS32_DEP_1)
	v_add_f64_e64 v[4:5], v[4:5], -v[16:17]
	v_fma_f64 v[20:21], -v[12:13], v[14:15], 1.0
	s_delay_alu instid0(VALU_DEP_1) | instskip(NEXT) | instid1(VALU_DEP_1)
	v_fmac_f64_e32 v[14:15], v[20:21], v[14:15]
	v_fma_f64 v[6:7], -v[12:13], v[14:15], 1.0
	s_delay_alu instid0(VALU_DEP_1) | instskip(NEXT) | instid1(VALU_DEP_1)
	v_fmac_f64_e32 v[14:15], v[6:7], v[14:15]
	v_mul_f64_e32 v[6:7], v[18:19], v[14:15]
	s_delay_alu instid0(VALU_DEP_1) | instskip(NEXT) | instid1(VALU_DEP_1)
	v_mul_f64_e32 v[20:21], v[12:13], v[6:7]
	v_fma_f64 v[10:11], v[6:7], v[12:13], -v[20:21]
	s_delay_alu instid0(VALU_DEP_1) | instskip(NEXT) | instid1(VALU_DEP_1)
	v_fmac_f64_e32 v[10:11], v[6:7], v[8:9]
	v_add_f64_e32 v[22:23], v[20:21], v[10:11]
	s_delay_alu instid0(VALU_DEP_1) | instskip(SKIP_1) | instid1(VALU_DEP_2)
	v_add_f64_e64 v[24:25], v[18:19], -v[22:23]
	v_add_f64_e64 v[16:17], v[22:23], -v[20:21]
	;; [unrolled: 1-line block ×3, first 2 shown]
	s_delay_alu instid0(VALU_DEP_2) | instskip(NEXT) | instid1(VALU_DEP_2)
	v_add_f64_e64 v[10:11], v[16:17], -v[10:11]
	v_add_f64_e64 v[18:19], v[18:19], -v[22:23]
	s_delay_alu instid0(VALU_DEP_1) | instskip(NEXT) | instid1(VALU_DEP_1)
	v_add_f64_e32 v[4:5], v[4:5], v[18:19]
	v_add_f64_e32 v[4:5], v[10:11], v[4:5]
	s_delay_alu instid0(VALU_DEP_1) | instskip(NEXT) | instid1(VALU_DEP_1)
	v_add_f64_e32 v[10:11], v[24:25], v[4:5]
	v_mul_f64_e32 v[16:17], v[14:15], v[10:11]
	v_add_f64_e64 v[22:23], v[24:25], -v[10:11]
	s_delay_alu instid0(VALU_DEP_2) | instskip(NEXT) | instid1(VALU_DEP_2)
	v_mul_f64_e32 v[18:19], v[12:13], v[16:17]
	v_add_f64_e32 v[4:5], v[4:5], v[22:23]
	s_delay_alu instid0(VALU_DEP_2) | instskip(NEXT) | instid1(VALU_DEP_1)
	v_fma_f64 v[12:13], v[16:17], v[12:13], -v[18:19]
	v_fmac_f64_e32 v[12:13], v[16:17], v[8:9]
	s_delay_alu instid0(VALU_DEP_1) | instskip(NEXT) | instid1(VALU_DEP_1)
	v_add_f64_e32 v[8:9], v[18:19], v[12:13]
	v_add_f64_e64 v[20:21], v[10:11], -v[8:9]
	v_add_f64_e64 v[18:19], v[8:9], -v[18:19]
	s_delay_alu instid0(VALU_DEP_2) | instskip(NEXT) | instid1(VALU_DEP_1)
	v_add_f64_e64 v[10:11], v[10:11], -v[20:21]
	v_add_f64_e64 v[8:9], v[10:11], -v[8:9]
	s_delay_alu instid0(VALU_DEP_3) | instskip(NEXT) | instid1(VALU_DEP_2)
	v_add_f64_e64 v[10:11], v[18:19], -v[12:13]
	v_add_f64_e32 v[4:5], v[4:5], v[8:9]
	v_add_f64_e32 v[8:9], v[6:7], v[16:17]
	s_delay_alu instid0(VALU_DEP_2) | instskip(NEXT) | instid1(VALU_DEP_2)
	v_add_f64_e32 v[4:5], v[10:11], v[4:5]
	v_add_f64_e64 v[6:7], v[8:9], -v[6:7]
	s_delay_alu instid0(VALU_DEP_2) | instskip(NEXT) | instid1(VALU_DEP_2)
	v_add_f64_e32 v[4:5], v[20:21], v[4:5]
	v_add_f64_e64 v[6:7], v[16:17], -v[6:7]
	s_delay_alu instid0(VALU_DEP_2) | instskip(NEXT) | instid1(VALU_DEP_1)
	v_mul_f64_e32 v[4:5], v[14:15], v[4:5]
	v_add_f64_e32 v[4:5], v[6:7], v[4:5]
	s_delay_alu instid0(VALU_DEP_1) | instskip(NEXT) | instid1(VALU_DEP_1)
	v_add_f64_e32 v[6:7], v[8:9], v[4:5]
	v_mul_f64_e32 v[10:11], v[6:7], v[6:7]
	s_delay_alu instid0(VALU_DEP_1) | instskip(SKIP_2) | instid1(VALU_DEP_2)
	v_fmaak_f64 v[12:13], s[6:7], v[10:11], 0x3fc385386b47b09a
	v_mul_f64_e32 v[14:15], v[6:7], v[10:11]
	s_mov_b64 s[6:7], 0x3fe62e42fefa39ef
	v_fmaak_f64 v[12:13], v[10:11], v[12:13], 0x3fc7474dd7f4df2e
	s_delay_alu instid0(VALU_DEP_1) | instskip(NEXT) | instid1(VALU_DEP_1)
	v_fmaak_f64 v[12:13], v[10:11], v[12:13], 0x3fcc71c016291751
	v_fmaak_f64 v[12:13], v[10:11], v[12:13], 0x3fd249249b27acf1
	s_delay_alu instid0(VALU_DEP_1) | instskip(NEXT) | instid1(VALU_DEP_1)
	v_fmaak_f64 v[12:13], v[10:11], v[12:13], 0x3fd99999998ef7b6
	v_fmaak_f64 v[10:11], v[10:11], v[12:13], 0x3fe5555555555780
	v_ldexp_f64 v[12:13], v[6:7], 1
	v_add_f64_e64 v[6:7], v[6:7], -v[8:9]
	s_delay_alu instid0(VALU_DEP_3) | instskip(SKIP_1) | instid1(VALU_DEP_3)
	v_mul_f64_e32 v[10:11], v[14:15], v[10:11]
	v_cvt_f64_i32_e32 v[14:15], v26
	v_add_f64_e64 v[4:5], v[4:5], -v[6:7]
	s_delay_alu instid0(VALU_DEP_3) | instskip(NEXT) | instid1(VALU_DEP_2)
	v_add_f64_e32 v[8:9], v[12:13], v[10:11]
	v_ldexp_f64 v[4:5], v[4:5], 1
	s_delay_alu instid0(VALU_DEP_2) | instskip(SKIP_1) | instid1(VALU_DEP_2)
	v_add_f64_e64 v[6:7], v[8:9], -v[12:13]
	v_mul_f64_e32 v[12:13], 0x3fe62e42fefa39ef, v[14:15]
	v_add_f64_e64 v[6:7], v[10:11], -v[6:7]
	s_delay_alu instid0(VALU_DEP_2) | instskip(NEXT) | instid1(VALU_DEP_2)
	v_fma_f64 v[10:11], v[14:15], s[6:7], -v[12:13]
	v_add_f64_e32 v[4:5], v[4:5], v[6:7]
	s_delay_alu instid0(VALU_DEP_2) | instskip(NEXT) | instid1(VALU_DEP_1)
	v_fmamk_f64 v[6:7], v[14:15], 0x3c7abc9e3b39803f, v[10:11]
	v_add_f64_e32 v[10:11], v[12:13], v[6:7]
	s_delay_alu instid0(VALU_DEP_3) | instskip(NEXT) | instid1(VALU_DEP_2)
	v_add_f64_e32 v[14:15], v[8:9], v[4:5]
	v_add_f64_e64 v[12:13], v[10:11], -v[12:13]
	s_delay_alu instid0(VALU_DEP_2) | instskip(SKIP_1) | instid1(VALU_DEP_3)
	v_add_f64_e32 v[16:17], v[10:11], v[14:15]
	v_add_f64_e64 v[8:9], v[14:15], -v[8:9]
	v_add_f64_e64 v[6:7], v[6:7], -v[12:13]
	s_delay_alu instid0(VALU_DEP_3) | instskip(NEXT) | instid1(VALU_DEP_3)
	v_add_f64_e64 v[18:19], v[16:17], -v[10:11]
	v_add_f64_e64 v[4:5], v[4:5], -v[8:9]
	s_delay_alu instid0(VALU_DEP_2) | instskip(SKIP_1) | instid1(VALU_DEP_3)
	v_add_f64_e64 v[20:21], v[16:17], -v[18:19]
	v_add_f64_e64 v[8:9], v[14:15], -v[18:19]
	v_add_f64_e32 v[12:13], v[6:7], v[4:5]
	s_delay_alu instid0(VALU_DEP_3) | instskip(NEXT) | instid1(VALU_DEP_1)
	v_add_f64_e64 v[10:11], v[10:11], -v[20:21]
	v_add_f64_e32 v[8:9], v[8:9], v[10:11]
	s_delay_alu instid0(VALU_DEP_3) | instskip(NEXT) | instid1(VALU_DEP_2)
	v_add_f64_e64 v[10:11], v[12:13], -v[6:7]
	v_add_f64_e32 v[8:9], v[12:13], v[8:9]
	s_delay_alu instid0(VALU_DEP_2) | instskip(SKIP_1) | instid1(VALU_DEP_3)
	v_add_f64_e64 v[12:13], v[12:13], -v[10:11]
	v_add_f64_e64 v[4:5], v[4:5], -v[10:11]
	v_add_f64_e32 v[14:15], v[16:17], v[8:9]
	s_delay_alu instid0(VALU_DEP_3) | instskip(NEXT) | instid1(VALU_DEP_2)
	v_add_f64_e64 v[6:7], v[6:7], -v[12:13]
	v_add_f64_e64 v[10:11], v[14:15], -v[16:17]
	s_delay_alu instid0(VALU_DEP_2) | instskip(NEXT) | instid1(VALU_DEP_2)
	v_add_f64_e32 v[4:5], v[4:5], v[6:7]
	v_add_f64_e64 v[6:7], v[8:9], -v[10:11]
	s_delay_alu instid0(VALU_DEP_1) | instskip(NEXT) | instid1(VALU_DEP_1)
	v_add_f64_e32 v[4:5], v[4:5], v[6:7]
	v_add_f64_e32 v[4:5], v[14:15], v[4:5]
	s_delay_alu instid0(VALU_DEP_1) | instskip(SKIP_1) | instid1(VALU_DEP_3)
	v_cndmask_b32_e32 v4, 0, v4, vcc_lo
	v_cmp_neq_f64_e32 vcc_lo, -1.0, v[2:3]
	v_cndmask_b32_e64 v5, 0x7ff00000, v5, s1
	s_delay_alu instid0(VALU_DEP_1) | instskip(NEXT) | instid1(VALU_DEP_1)
	v_cndmask_b32_e64 v5, 0x7ff80000, v5, s2
	v_cndmask_b32_e32 v5, 0xfff00000, v5, vcc_lo
	s_delay_alu instid0(VALU_DEP_1) | instskip(NEXT) | instid1(VALU_DEP_1)
	v_add_f64_e64 v[2:3], v[4:5], -v[2:3]
	v_mul_f64_e32 v[2:3], -2.0, v[2:3]
	s_delay_alu instid0(VALU_DEP_1) | instskip(SKIP_1) | instid1(VALU_DEP_1)
	v_cmp_gt_f64_e32 vcc_lo, 0x10000000, v[2:3]
	v_cndmask_b32_e64 v4, 0, 0x100, vcc_lo
	v_ldexp_f64 v[2:3], v[2:3], v4
	s_delay_alu instid0(VALU_DEP_1) | instskip(SKIP_1) | instid1(TRANS32_DEP_1)
	v_rsq_f64_e32 v[4:5], v[2:3]
	v_nop
	v_mul_f64_e32 v[6:7], v[2:3], v[4:5]
	v_mul_f64_e32 v[4:5], 0.5, v[4:5]
	s_delay_alu instid0(VALU_DEP_1) | instskip(NEXT) | instid1(VALU_DEP_1)
	v_fma_f64 v[8:9], -v[4:5], v[6:7], 0.5
	v_fmac_f64_e32 v[6:7], v[6:7], v[8:9]
	v_fmac_f64_e32 v[4:5], v[4:5], v[8:9]
	s_delay_alu instid0(VALU_DEP_2) | instskip(NEXT) | instid1(VALU_DEP_1)
	v_fma_f64 v[8:9], -v[6:7], v[6:7], v[2:3]
	v_fmac_f64_e32 v[6:7], v[8:9], v[4:5]
	s_delay_alu instid0(VALU_DEP_1) | instskip(NEXT) | instid1(VALU_DEP_1)
	v_fma_f64 v[8:9], -v[6:7], v[6:7], v[2:3]
	v_fmac_f64_e32 v[6:7], v[8:9], v[4:5]
	v_cndmask_b32_e64 v4, 0, 0xffffff80, vcc_lo
	v_cmp_class_f64_e64 vcc_lo, v[2:3], 0x260
	s_delay_alu instid0(VALU_DEP_2) | instskip(NEXT) | instid1(VALU_DEP_1)
	v_ldexp_f64 v[4:5], v[6:7], v4
	v_dual_cndmask_b32 v4, v4, v2, vcc_lo :: v_dual_cndmask_b32 v5, -v5, -v3, vcc_lo
.LBB0_3:
	s_or_b32 exec_lo, exec_lo, s4
                                        ; implicit-def: $vgpr2_vgpr3
.LBB0_4:
	s_and_not1_saveexec_b32 s3, s3
	s_cbranch_execz .LBB0_6
; %bb.5:
	v_add_f64_e32 v[4:5], 1.0, v[2:3]
	s_mov_b64 s[4:5], 0x3fe5555555555555
	v_cmp_neq_f64_e64 s1, 0x7ff00000, v[2:3]
	v_cmp_ngt_f64_e64 s2, -1.0, v[2:3]
	s_delay_alu instid0(VALU_DEP_3) | instskip(SKIP_1) | instid1(VALU_DEP_2)
	v_frexp_mant_f64_e32 v[6:7], v[4:5]
	v_frexp_exp_i32_f64_e32 v10, v[4:5]
	v_cmp_gt_f64_e32 vcc_lo, s[4:5], v[6:7]
	s_mov_b64 s[4:5], 0x3fc3ab76bf559e2b
	s_delay_alu instid0(VALU_DEP_2) | instskip(SKIP_2) | instid1(VALU_DEP_2)
	v_subrev_co_ci_u32_e64 v26, null, 0, v10, vcc_lo
	v_add_f64_e32 v[8:9], -1.0, v[4:5]
	v_cmp_nge_f64_e32 vcc_lo, -1.0, v[2:3]
	v_dual_add_f64 v[6:7], v[8:9], -v[4:5] :: v_dual_sub_nc_u32 v12, 0, v26
	s_delay_alu instid0(VALU_DEP_1) | instskip(SKIP_2) | instid1(VALU_DEP_3)
	v_ldexp_f64 v[4:5], v[4:5], v12
	v_add_f64_e64 v[8:9], v[2:3], -v[8:9]
	s_and_b32 vcc_lo, vcc_lo, s1
	v_add_f64_e32 v[6:7], 1.0, v[6:7]
	s_delay_alu instid0(VALU_DEP_3) | instskip(SKIP_1) | instid1(VALU_DEP_3)
	v_add_f64_e32 v[10:11], 1.0, v[4:5]
	v_add_f64_e32 v[16:17], -1.0, v[4:5]
	v_add_f64_e32 v[6:7], v[8:9], v[6:7]
	s_delay_alu instid0(VALU_DEP_3) | instskip(NEXT) | instid1(VALU_DEP_3)
	v_add_f64_e32 v[8:9], -1.0, v[10:11]
	v_add_f64_e32 v[18:19], 1.0, v[16:17]
	s_delay_alu instid0(VALU_DEP_3) | instskip(NEXT) | instid1(VALU_DEP_3)
	v_ldexp_f64 v[6:7], v[6:7], v12
	v_add_f64_e64 v[8:9], v[4:5], -v[8:9]
	s_delay_alu instid0(VALU_DEP_3) | instskip(NEXT) | instid1(VALU_DEP_2)
	v_add_f64_e64 v[4:5], v[4:5], -v[18:19]
	v_add_f64_e32 v[8:9], v[6:7], v[8:9]
	s_delay_alu instid0(VALU_DEP_2) | instskip(NEXT) | instid1(VALU_DEP_2)
	v_add_f64_e32 v[4:5], v[6:7], v[4:5]
	v_add_f64_e32 v[12:13], v[10:11], v[8:9]
	s_delay_alu instid0(VALU_DEP_2) | instskip(NEXT) | instid1(VALU_DEP_2)
	v_add_f64_e32 v[18:19], v[16:17], v[4:5]
	v_rcp_f64_e32 v[14:15], v[12:13]
	v_add_f64_e64 v[10:11], v[12:13], -v[10:11]
	s_delay_alu instid0(VALU_DEP_2) | instskip(NEXT) | instid1(VALU_DEP_2)
	v_add_f64_e64 v[16:17], v[18:19], -v[16:17]
	v_add_f64_e64 v[8:9], v[8:9], -v[10:11]
	s_delay_alu instid0(VALU_DEP_2) | instskip(NEXT) | instid1(TRANS32_DEP_1)
	v_add_f64_e64 v[4:5], v[4:5], -v[16:17]
	v_fma_f64 v[20:21], -v[12:13], v[14:15], 1.0
	s_delay_alu instid0(VALU_DEP_1) | instskip(NEXT) | instid1(VALU_DEP_1)
	v_fmac_f64_e32 v[14:15], v[20:21], v[14:15]
	v_fma_f64 v[6:7], -v[12:13], v[14:15], 1.0
	s_delay_alu instid0(VALU_DEP_1) | instskip(NEXT) | instid1(VALU_DEP_1)
	v_fmac_f64_e32 v[14:15], v[6:7], v[14:15]
	v_mul_f64_e32 v[6:7], v[18:19], v[14:15]
	s_delay_alu instid0(VALU_DEP_1) | instskip(NEXT) | instid1(VALU_DEP_1)
	v_mul_f64_e32 v[20:21], v[12:13], v[6:7]
	v_fma_f64 v[10:11], v[6:7], v[12:13], -v[20:21]
	s_delay_alu instid0(VALU_DEP_1) | instskip(NEXT) | instid1(VALU_DEP_1)
	v_fmac_f64_e32 v[10:11], v[6:7], v[8:9]
	v_add_f64_e32 v[22:23], v[20:21], v[10:11]
	s_delay_alu instid0(VALU_DEP_1) | instskip(SKIP_1) | instid1(VALU_DEP_2)
	v_add_f64_e64 v[24:25], v[18:19], -v[22:23]
	v_add_f64_e64 v[16:17], v[22:23], -v[20:21]
	;; [unrolled: 1-line block ×3, first 2 shown]
	s_delay_alu instid0(VALU_DEP_2) | instskip(NEXT) | instid1(VALU_DEP_2)
	v_add_f64_e64 v[10:11], v[16:17], -v[10:11]
	v_add_f64_e64 v[18:19], v[18:19], -v[22:23]
	s_delay_alu instid0(VALU_DEP_1) | instskip(NEXT) | instid1(VALU_DEP_1)
	v_add_f64_e32 v[4:5], v[4:5], v[18:19]
	v_add_f64_e32 v[4:5], v[10:11], v[4:5]
	s_delay_alu instid0(VALU_DEP_1) | instskip(NEXT) | instid1(VALU_DEP_1)
	v_add_f64_e32 v[10:11], v[24:25], v[4:5]
	v_mul_f64_e32 v[16:17], v[14:15], v[10:11]
	v_add_f64_e64 v[22:23], v[24:25], -v[10:11]
	s_delay_alu instid0(VALU_DEP_2) | instskip(NEXT) | instid1(VALU_DEP_2)
	v_mul_f64_e32 v[18:19], v[12:13], v[16:17]
	v_add_f64_e32 v[4:5], v[4:5], v[22:23]
	s_delay_alu instid0(VALU_DEP_2) | instskip(NEXT) | instid1(VALU_DEP_1)
	v_fma_f64 v[12:13], v[16:17], v[12:13], -v[18:19]
	v_fmac_f64_e32 v[12:13], v[16:17], v[8:9]
	s_delay_alu instid0(VALU_DEP_1) | instskip(NEXT) | instid1(VALU_DEP_1)
	v_add_f64_e32 v[8:9], v[18:19], v[12:13]
	v_add_f64_e64 v[20:21], v[10:11], -v[8:9]
	v_add_f64_e64 v[18:19], v[8:9], -v[18:19]
	s_delay_alu instid0(VALU_DEP_2) | instskip(NEXT) | instid1(VALU_DEP_1)
	v_add_f64_e64 v[10:11], v[10:11], -v[20:21]
	v_add_f64_e64 v[8:9], v[10:11], -v[8:9]
	s_delay_alu instid0(VALU_DEP_3) | instskip(NEXT) | instid1(VALU_DEP_2)
	v_add_f64_e64 v[10:11], v[18:19], -v[12:13]
	v_add_f64_e32 v[4:5], v[4:5], v[8:9]
	v_add_f64_e32 v[8:9], v[6:7], v[16:17]
	s_delay_alu instid0(VALU_DEP_2) | instskip(NEXT) | instid1(VALU_DEP_2)
	v_add_f64_e32 v[4:5], v[10:11], v[4:5]
	v_add_f64_e64 v[6:7], v[8:9], -v[6:7]
	s_delay_alu instid0(VALU_DEP_2) | instskip(NEXT) | instid1(VALU_DEP_2)
	v_add_f64_e32 v[4:5], v[20:21], v[4:5]
	v_add_f64_e64 v[6:7], v[16:17], -v[6:7]
	s_delay_alu instid0(VALU_DEP_2) | instskip(NEXT) | instid1(VALU_DEP_1)
	v_mul_f64_e32 v[4:5], v[14:15], v[4:5]
	v_add_f64_e32 v[4:5], v[6:7], v[4:5]
	s_delay_alu instid0(VALU_DEP_1) | instskip(NEXT) | instid1(VALU_DEP_1)
	v_add_f64_e32 v[6:7], v[8:9], v[4:5]
	v_mul_f64_e32 v[10:11], v[6:7], v[6:7]
	s_delay_alu instid0(VALU_DEP_1) | instskip(SKIP_2) | instid1(VALU_DEP_2)
	v_fmaak_f64 v[12:13], s[4:5], v[10:11], 0x3fc385386b47b09a
	v_mul_f64_e32 v[14:15], v[6:7], v[10:11]
	s_mov_b64 s[4:5], 0x3fe62e42fefa39ef
	v_fmaak_f64 v[12:13], v[10:11], v[12:13], 0x3fc7474dd7f4df2e
	s_delay_alu instid0(VALU_DEP_1) | instskip(NEXT) | instid1(VALU_DEP_1)
	v_fmaak_f64 v[12:13], v[10:11], v[12:13], 0x3fcc71c016291751
	v_fmaak_f64 v[12:13], v[10:11], v[12:13], 0x3fd249249b27acf1
	s_delay_alu instid0(VALU_DEP_1) | instskip(NEXT) | instid1(VALU_DEP_1)
	v_fmaak_f64 v[12:13], v[10:11], v[12:13], 0x3fd99999998ef7b6
	v_fmaak_f64 v[10:11], v[10:11], v[12:13], 0x3fe5555555555780
	v_ldexp_f64 v[12:13], v[6:7], 1
	v_add_f64_e64 v[6:7], v[6:7], -v[8:9]
	s_delay_alu instid0(VALU_DEP_3) | instskip(SKIP_1) | instid1(VALU_DEP_3)
	v_mul_f64_e32 v[10:11], v[14:15], v[10:11]
	v_cvt_f64_i32_e32 v[14:15], v26
	v_add_f64_e64 v[4:5], v[4:5], -v[6:7]
	s_delay_alu instid0(VALU_DEP_3) | instskip(NEXT) | instid1(VALU_DEP_2)
	v_add_f64_e32 v[8:9], v[12:13], v[10:11]
	v_ldexp_f64 v[4:5], v[4:5], 1
	s_delay_alu instid0(VALU_DEP_2) | instskip(SKIP_1) | instid1(VALU_DEP_2)
	v_add_f64_e64 v[6:7], v[8:9], -v[12:13]
	v_mul_f64_e32 v[12:13], 0x3fe62e42fefa39ef, v[14:15]
	v_add_f64_e64 v[6:7], v[10:11], -v[6:7]
	s_delay_alu instid0(VALU_DEP_2) | instskip(NEXT) | instid1(VALU_DEP_2)
	v_fma_f64 v[10:11], v[14:15], s[4:5], -v[12:13]
	v_add_f64_e32 v[4:5], v[4:5], v[6:7]
	s_delay_alu instid0(VALU_DEP_2) | instskip(NEXT) | instid1(VALU_DEP_1)
	v_fmamk_f64 v[6:7], v[14:15], 0x3c7abc9e3b39803f, v[10:11]
	v_add_f64_e32 v[10:11], v[12:13], v[6:7]
	s_delay_alu instid0(VALU_DEP_3) | instskip(NEXT) | instid1(VALU_DEP_2)
	v_add_f64_e32 v[14:15], v[8:9], v[4:5]
	v_add_f64_e64 v[12:13], v[10:11], -v[12:13]
	s_delay_alu instid0(VALU_DEP_2) | instskip(SKIP_1) | instid1(VALU_DEP_3)
	v_add_f64_e32 v[16:17], v[10:11], v[14:15]
	v_add_f64_e64 v[8:9], v[14:15], -v[8:9]
	v_add_f64_e64 v[6:7], v[6:7], -v[12:13]
	s_delay_alu instid0(VALU_DEP_3) | instskip(NEXT) | instid1(VALU_DEP_3)
	v_add_f64_e64 v[18:19], v[16:17], -v[10:11]
	v_add_f64_e64 v[4:5], v[4:5], -v[8:9]
	s_delay_alu instid0(VALU_DEP_2) | instskip(SKIP_1) | instid1(VALU_DEP_3)
	v_add_f64_e64 v[20:21], v[16:17], -v[18:19]
	v_add_f64_e64 v[8:9], v[14:15], -v[18:19]
	v_add_f64_e32 v[12:13], v[6:7], v[4:5]
	s_delay_alu instid0(VALU_DEP_3) | instskip(NEXT) | instid1(VALU_DEP_1)
	v_add_f64_e64 v[10:11], v[10:11], -v[20:21]
	v_add_f64_e32 v[8:9], v[8:9], v[10:11]
	s_delay_alu instid0(VALU_DEP_3) | instskip(NEXT) | instid1(VALU_DEP_2)
	v_add_f64_e64 v[10:11], v[12:13], -v[6:7]
	v_add_f64_e32 v[8:9], v[12:13], v[8:9]
	s_delay_alu instid0(VALU_DEP_2) | instskip(SKIP_1) | instid1(VALU_DEP_3)
	v_add_f64_e64 v[12:13], v[12:13], -v[10:11]
	v_add_f64_e64 v[4:5], v[4:5], -v[10:11]
	v_add_f64_e32 v[14:15], v[16:17], v[8:9]
	s_delay_alu instid0(VALU_DEP_3) | instskip(NEXT) | instid1(VALU_DEP_2)
	v_add_f64_e64 v[6:7], v[6:7], -v[12:13]
	v_add_f64_e64 v[10:11], v[14:15], -v[16:17]
	s_delay_alu instid0(VALU_DEP_2) | instskip(NEXT) | instid1(VALU_DEP_2)
	v_add_f64_e32 v[4:5], v[4:5], v[6:7]
	v_add_f64_e64 v[6:7], v[8:9], -v[10:11]
	s_delay_alu instid0(VALU_DEP_1) | instskip(NEXT) | instid1(VALU_DEP_1)
	v_add_f64_e32 v[4:5], v[4:5], v[6:7]
	v_add_f64_e32 v[4:5], v[14:15], v[4:5]
	s_delay_alu instid0(VALU_DEP_1) | instskip(SKIP_1) | instid1(VALU_DEP_3)
	v_cndmask_b32_e32 v4, 0, v4, vcc_lo
	v_cmp_neq_f64_e32 vcc_lo, -1.0, v[2:3]
	v_cndmask_b32_e64 v5, 0x7ff00000, v5, s1
	s_delay_alu instid0(VALU_DEP_1) | instskip(NEXT) | instid1(VALU_DEP_1)
	v_cndmask_b32_e64 v5, 0x7ff80000, v5, s2
	v_cndmask_b32_e32 v5, 0xfff00000, v5, vcc_lo
	s_delay_alu instid0(VALU_DEP_1) | instskip(NEXT) | instid1(VALU_DEP_1)
	v_add_f64_e64 v[2:3], v[4:5], -v[2:3]
	v_mul_f64_e32 v[2:3], -2.0, v[2:3]
	s_delay_alu instid0(VALU_DEP_1) | instskip(SKIP_1) | instid1(VALU_DEP_1)
	v_cmp_gt_f64_e32 vcc_lo, 0x10000000, v[2:3]
	v_cndmask_b32_e64 v4, 0, 0x100, vcc_lo
	v_ldexp_f64 v[2:3], v[2:3], v4
	s_delay_alu instid0(VALU_DEP_1) | instskip(SKIP_1) | instid1(TRANS32_DEP_1)
	v_rsq_f64_e32 v[4:5], v[2:3]
	v_nop
	v_mul_f64_e32 v[6:7], v[2:3], v[4:5]
	v_mul_f64_e32 v[4:5], 0.5, v[4:5]
	s_delay_alu instid0(VALU_DEP_1) | instskip(NEXT) | instid1(VALU_DEP_1)
	v_fma_f64 v[8:9], -v[4:5], v[6:7], 0.5
	v_fmac_f64_e32 v[6:7], v[6:7], v[8:9]
	v_fmac_f64_e32 v[4:5], v[4:5], v[8:9]
	s_delay_alu instid0(VALU_DEP_2) | instskip(NEXT) | instid1(VALU_DEP_1)
	v_fma_f64 v[8:9], -v[6:7], v[6:7], v[2:3]
	v_fmac_f64_e32 v[6:7], v[8:9], v[4:5]
	s_delay_alu instid0(VALU_DEP_1) | instskip(NEXT) | instid1(VALU_DEP_1)
	v_fma_f64 v[8:9], -v[6:7], v[6:7], v[2:3]
	v_fmac_f64_e32 v[6:7], v[8:9], v[4:5]
	v_cndmask_b32_e64 v4, 0, 0xffffff80, vcc_lo
	v_cmp_class_f64_e64 vcc_lo, v[2:3], 0x260
	s_delay_alu instid0(VALU_DEP_2) | instskip(NEXT) | instid1(VALU_DEP_1)
	v_ldexp_f64 v[4:5], v[6:7], v4
	v_dual_cndmask_b32 v5, v5, v3 :: v_dual_cndmask_b32 v4, v4, v2
.LBB0_6:
	s_or_b32 exec_lo, exec_lo, s3
	v_mov_b64_e32 v[8:9], 0x7ff0000000000000
	v_mov_b64_e32 v[2:3], 0
	v_mov_b64_e32 v[6:7], 1.0
	v_mov_b32_e32 v14, 0
	s_mov_b32 s7, 0
	s_or_b32 s1, s32, 8
	s_mov_b32 s10, 0
	s_mov_b32 s6, s7
	s_get_pc_i64 s[2:3]
	s_add_nc_u64 s[2:3], s[2:3], __const._ZN12_GLOBAL__N_130_igam_helper_asymptotic_seriesIdEET_S1_S1_b.d@rel64+12
	s_get_pc_i64 s[4:5]
	s_add_nc_u64 s[4:5], s[4:5], __const._ZN12_GLOBAL__N_130_igam_helper_asymptotic_seriesIdEET_S1_S1_b.d@rel64+4
	s_branch .LBB0_9
.LBB0_7:                                ;   in Loop: Header=BB0_9 Depth=1
	s_or_b32 exec_lo, exec_lo, s9
	s_delay_alu instid0(SALU_CYCLE_1)
	s_or_not1_b32 s9, s11, exec_lo
.LBB0_8:                                ;   in Loop: Header=BB0_9 Depth=1
	s_or_b32 exec_lo, exec_lo, s8
	v_and_b32_e32 v11, 0x7fffffff, v11
	s_and_b32 s8, exec_lo, s9
	s_delay_alu instid0(SALU_CYCLE_1) | instskip(NEXT) | instid1(VALU_DEP_1)
	s_or_b32 s10, s8, s10
	v_mov_b64_e32 v[8:9], v[10:11]
	s_and_not1_b32 exec_lo, exec_lo, s10
	s_cbranch_execz .LBB0_18
.LBB0_9:                                ; =>This Loop Header: Depth=1
                                        ;     Child Loop BB0_11 Depth 2
	s_mul_u64 s[8:9], s[6:7], 0xc8
	s_mov_b32 s11, 0
	s_add_nc_u64 s[8:9], s[4:5], s[8:9]
	s_mov_b32 s12, s1
	s_load_b64 s[8:9], s[8:9], 0x0
	s_mov_b32 s13, 1
	s_wait_kmcnt 0x0
	v_mov_b64_e32 v[10:11], s[8:9]
	s_mov_b64 s[8:9], s[2:3]
	s_branch .LBB0_11
.LBB0_10:                               ;   in Loop: Header=BB0_11 Depth=2
	s_wait_xcnt 0x0
	s_or_b32 exec_lo, exec_lo, s14
	s_load_b64 s[14:15], s[8:9], 0x0
	s_wait_xcnt 0x0
	s_add_nc_u64 s[8:9], s[8:9], 8
	s_wait_loadcnt 0x0
	s_wait_kmcnt 0x0
	v_fmac_f64_e32 v[10:11], s[14:15], v[12:13]
	v_mul_f64_e32 v[12:13], s[14:15], v[12:13]
	s_add_co_i32 s15, s13, 1
	s_cmp_gt_u32 s13, 23
	s_cselect_b32 s13, -1, 0
	s_add_co_i32 s12, s12, 8
	s_delay_alu instid0(VALU_DEP_2) | instskip(NEXT) | instid1(VALU_DEP_1)
	v_ldexp_f64 v[16:17], |v[10:11]|, 0xffffffcb
	v_cmp_lt_f64_e64 s14, |v[12:13]|, v[16:17]
	s_or_b32 s13, s14, s13
	s_delay_alu instid0(SALU_CYCLE_1) | instskip(NEXT) | instid1(SALU_CYCLE_1)
	s_and_b32 s13, exec_lo, s13
	s_or_b32 s11, s13, s11
	s_mov_b32 s13, s15
	s_and_not1_b32 exec_lo, exec_lo, s11
	s_cbranch_execz .LBB0_15
.LBB0_11:                               ;   Parent Loop BB0_9 Depth=1
                                        ; =>  This Inner Loop Header: Depth=2
	s_mov_b32 s14, exec_lo
                                        ; implicit-def: $vgpr12_vgpr13
	v_cmpx_le_i32_e64 s13, v14
	s_xor_b32 s14, exec_lo, s14
	s_cbranch_execz .LBB0_13
; %bb.12:                               ;   in Loop: Header=BB0_11 Depth=2
	scratch_load_b64 v[12:13], off, s12
.LBB0_13:                               ;   in Loop: Header=BB0_11 Depth=2
	s_wait_xcnt 0x0
	s_and_not1_saveexec_b32 s14, s14
	s_cbranch_execz .LBB0_10
; %bb.14:                               ;   in Loop: Header=BB0_11 Depth=2
	s_wait_loadcnt 0x0
	scratch_load_b64 v[12:13], off, s12 offset:-8
	s_wait_loadcnt 0x0
	v_dual_mul_f64 v[12:13], v[4:5], v[12:13] :: v_dual_add_nc_u32 v14, 1, v14
	scratch_store_b64 off, v[12:13], s12
	s_branch .LBB0_10
.LBB0_15:                               ;   in Loop: Header=BB0_9 Depth=1
	s_or_b32 exec_lo, exec_lo, s11
	v_mul_f64_e32 v[10:11], v[6:7], v[10:11]
	s_mov_b32 s9, -1
	s_mov_b32 s8, exec_lo
	s_delay_alu instid0(VALU_DEP_1)
	v_cmpx_ngt_f64_e64 |v[10:11]|, v[8:9]
	s_cbranch_execz .LBB0_8
; %bb.16:                               ;   in Loop: Header=BB0_9 Depth=1
	v_add_f64_e32 v[2:3], v[2:3], v[10:11]
	s_mov_b32 s11, -1
	s_mov_b32 s9, exec_lo
	s_delay_alu instid0(VALU_DEP_1) | instskip(NEXT) | instid1(VALU_DEP_1)
	v_ldexp_f64 v[8:9], |v[2:3]|, 0xffffffcb
	v_cmpx_nlt_f64_e64 |v[10:11]|, v[8:9]
	s_cbranch_execz .LBB0_7
; %bb.17:                               ;   in Loop: Header=BB0_9 Depth=1
	v_div_scale_f64 v[8:9], null, v[0:1], v[0:1], v[6:7]
	s_add_co_i32 s6, s6, 1
	s_add_nc_u64 s[2:3], s[2:3], 0xc8
	s_cmp_eq_u32 s6, 25
	s_cselect_b32 s11, -1, 0
	s_delay_alu instid0(SALU_CYCLE_1) | instskip(SKIP_2) | instid1(TRANS32_DEP_1)
	s_or_not1_b32 s11, s11, exec_lo
	v_rcp_f64_e32 v[12:13], v[8:9]
	v_nop
	v_fma_f64 v[16:17], -v[8:9], v[12:13], 1.0
	s_delay_alu instid0(VALU_DEP_1) | instskip(NEXT) | instid1(VALU_DEP_1)
	v_fmac_f64_e32 v[12:13], v[12:13], v[16:17]
	v_fma_f64 v[16:17], -v[8:9], v[12:13], 1.0
	s_delay_alu instid0(VALU_DEP_1) | instskip(SKIP_1) | instid1(VALU_DEP_1)
	v_fmac_f64_e32 v[12:13], v[12:13], v[16:17]
	v_div_scale_f64 v[16:17], vcc_lo, v[6:7], v[0:1], v[6:7]
	v_mul_f64_e32 v[18:19], v[16:17], v[12:13]
	s_delay_alu instid0(VALU_DEP_1) | instskip(NEXT) | instid1(VALU_DEP_1)
	v_fma_f64 v[8:9], -v[8:9], v[18:19], v[16:17]
	v_div_fmas_f64 v[8:9], v[8:9], v[12:13], v[18:19]
	s_delay_alu instid0(VALU_DEP_1)
	v_div_fixup_f64 v[6:7], v[8:9], v[0:1], v[6:7]
	s_branch .LBB0_7
.LBB0_18:
	s_or_b32 exec_lo, exec_lo, s10
	v_mul_f64_e32 v[6:7], 0.5, v[0:1]
	v_mul_f64_e32 v[14:15], -0.5, v[0:1]
	v_mul_f64_e32 v[0:1], 0x401921fb54411744, v[0:1]
	v_mov_b64_e32 v[20:21], 0x3e928af3fca7ab0c
	v_mov_b64_e32 v[24:25], 0x3ec71dee623fde64
	;; [unrolled: 1-line block ×4, first 2 shown]
	v_cmp_gt_f64_e32 vcc_lo, 0x10000000, v[6:7]
	v_cndmask_b32_e64 v8, 0, 0x100, vcc_lo
	s_delay_alu instid0(VALU_DEP_1) | instskip(NEXT) | instid1(VALU_DEP_1)
	v_ldexp_f64 v[6:7], v[6:7], v8
	v_rsq_f64_e32 v[8:9], v[6:7]
	v_nop
	s_delay_alu instid0(TRANS32_DEP_1) | instskip(SKIP_1) | instid1(VALU_DEP_1)
	v_mul_f64_e32 v[10:11], v[6:7], v[8:9]
	v_mul_f64_e32 v[8:9], 0.5, v[8:9]
	v_fma_f64 v[12:13], -v[8:9], v[10:11], 0.5
	s_delay_alu instid0(VALU_DEP_1) | instskip(SKIP_1) | instid1(VALU_DEP_2)
	v_fmac_f64_e32 v[10:11], v[10:11], v[12:13]
	v_fmac_f64_e32 v[8:9], v[8:9], v[12:13]
	v_fma_f64 v[12:13], -v[10:11], v[10:11], v[6:7]
	s_delay_alu instid0(VALU_DEP_1) | instskip(NEXT) | instid1(VALU_DEP_1)
	v_fmac_f64_e32 v[10:11], v[12:13], v[8:9]
	v_fma_f64 v[12:13], -v[10:11], v[10:11], v[6:7]
	s_delay_alu instid0(VALU_DEP_1) | instskip(SKIP_3) | instid1(VALU_DEP_3)
	v_fmac_f64_e32 v[10:11], v[12:13], v[8:9]
	v_cndmask_b32_e64 v12, 0, 0xffffff80, vcc_lo
	v_cmp_class_f64_e64 vcc_lo, v[6:7], 0x260
	v_mov_b32_e32 v8, 0
	v_ldexp_f64 v[10:11], v[10:11], v12
	s_delay_alu instid0(VALU_DEP_1) | instskip(NEXT) | instid1(VALU_DEP_1)
	v_dual_mov_b32 v9, 0xbff00000 :: v_dual_cndmask_b32 v6, v10, v6
	v_cndmask_b32_e64 v9, 0x3ff00000, v9, s0
	s_delay_alu instid0(VALU_DEP_3) | instskip(SKIP_2) | instid1(VALU_DEP_4)
	v_cndmask_b32_e32 v7, v11, v7, vcc_lo
	v_cmp_gt_f64_e32 vcc_lo, 0x10000000, v[0:1]
	v_mul_f64_e32 v[10:11], v[14:15], v[4:5]
	v_mul_f64_e32 v[12:13], v[8:9], v[4:5]
	v_cndmask_b32_e64 v28, 0, 0x100, vcc_lo
	s_delay_alu instid0(VALU_DEP_2) | instskip(NEXT) | instid1(VALU_DEP_2)
	v_mul_f64_e32 v[6:7], v[6:7], v[12:13]
	v_ldexp_f64 v[0:1], v[0:1], v28
	v_mul_f64_e32 v[4:5], v[4:5], v[10:11]
	v_mov_b64_e32 v[28:29], 0x3f81111111122322
	s_delay_alu instid0(VALU_DEP_4) | instskip(NEXT) | instid1(VALU_DEP_4)
	v_mul_f64_e64 v[12:13], v[6:7], -v[6:7]
	v_rsq_f64_e32 v[30:31], v[0:1]
	s_delay_alu instid0(VALU_DEP_3) | instskip(SKIP_2) | instid1(VALU_DEP_4)
	v_mul_f64_e32 v[14:15], 0x3ff71547652b82fe, v[4:5]
	v_cmp_nlt_f64_e64 s0, 0x40900000, v[4:5]
	v_cmp_ngt_f64_e64 s1, 0xc090cc00, v[4:5]
	v_mul_f64_e32 v[10:11], 0x3ff71547652b82fe, v[12:13]
	s_delay_alu instid0(VALU_DEP_4) | instskip(NEXT) | instid1(VALU_DEP_2)
	v_rndne_f64_e32 v[14:15], v[14:15]
	v_rndne_f64_e32 v[10:11], v[10:11]
	s_delay_alu instid0(VALU_DEP_2) | instskip(NEXT) | instid1(VALU_DEP_1)
	v_fmamk_f64 v[18:19], v[14:15], 0xbfe62e42fefa39ef, v[4:5]
	v_fmac_f64_e32 v[18:19], 0xbc7abc9e3b39803f, v[14:15]
	s_delay_alu instid0(VALU_DEP_3) | instskip(NEXT) | instid1(VALU_DEP_1)
	v_fmamk_f64 v[16:17], v[10:11], 0xbfe62e42fefa39ef, v[12:13]
	v_fmac_f64_e32 v[16:17], 0xbc7abc9e3b39803f, v[10:11]
	s_delay_alu instid0(VALU_DEP_1) | instskip(NEXT) | instid1(VALU_DEP_4)
	v_fmamk_f64 v[22:23], v[16:17], 0x3e5ade156a5dcb37, v[20:21]
	v_fmac_f64_e32 v[20:21], 0x3e5ade156a5dcb37, v[18:19]
	s_delay_alu instid0(VALU_DEP_2) | instskip(NEXT) | instid1(VALU_DEP_1)
	v_fmaak_f64 v[22:23], v[16:17], v[22:23], 0x3ec71dee623fde64
	v_fmaak_f64 v[22:23], v[16:17], v[22:23], 0x3efa01997c89e6b0
	s_delay_alu instid0(VALU_DEP_1) | instskip(NEXT) | instid1(VALU_DEP_1)
	v_fmaak_f64 v[22:23], v[16:17], v[22:23], 0x3f2a01a014761f6e
	v_fmaak_f64 v[22:23], v[16:17], v[22:23], 0x3f56c16c1852b7b0
	v_fmac_f64_e32 v[24:25], v[18:19], v[20:21]
	v_mov_b64_e32 v[20:21], 0x3efa01997c89e6b0
	s_delay_alu instid0(VALU_DEP_3) | instskip(NEXT) | instid1(VALU_DEP_1)
	v_fmaak_f64 v[22:23], v[16:17], v[22:23], 0x3f81111111122322
	v_fmaak_f64 v[22:23], v[16:17], v[22:23], 0x3fa55555555502a1
	s_delay_alu instid0(VALU_DEP_1) | instskip(NEXT) | instid1(VALU_DEP_1)
	v_fmaak_f64 v[22:23], v[16:17], v[22:23], 0x3fc5555555555511
	v_fmaak_f64 v[22:23], v[16:17], v[22:23], 0x3fe000000000000b
	s_delay_alu instid0(VALU_DEP_1) | instskip(SKIP_2) | instid1(VALU_DEP_1)
	v_fma_f64 v[22:23], v[16:17], v[22:23], 1.0
	v_fmac_f64_e32 v[20:21], v[18:19], v[24:25]
	v_mov_b64_e32 v[24:25], 0x3f2a01a014761f6e
	v_fmac_f64_e32 v[24:25], v[18:19], v[20:21]
	v_add_f64_e64 v[20:21], |v[6:7]|, 4.0
	s_delay_alu instid0(VALU_DEP_2) | instskip(NEXT) | instid1(VALU_DEP_2)
	v_fmac_f64_e32 v[26:27], v[18:19], v[24:25]
	v_rcp_f64_e32 v[24:25], v[20:21]
	s_delay_alu instid0(VALU_DEP_1) | instskip(NEXT) | instid1(TRANS32_DEP_1)
	v_fmac_f64_e32 v[28:29], v[18:19], v[26:27]
	v_fma_f64 v[26:27], -v[20:21], v[24:25], 1.0
	s_delay_alu instid0(VALU_DEP_2) | instskip(NEXT) | instid1(TRANS32_DEP_2)
	v_fmac_f64_e32 v[32:33], v[18:19], v[28:29]
	v_mul_f64_e32 v[28:29], v[0:1], v[30:31]
	v_mul_f64_e32 v[30:31], 0.5, v[30:31]
	s_delay_alu instid0(VALU_DEP_4) | instskip(SKIP_1) | instid1(VALU_DEP_1)
	v_fmac_f64_e32 v[24:25], v[26:27], v[24:25]
	v_mov_b64_e32 v[26:27], 0x3fc5555555555511
	v_fmac_f64_e32 v[26:27], v[18:19], v[32:33]
	v_mov_b64_e32 v[32:33], 0x3fe000000000000b
	v_fma_f64 v[34:35], -v[30:31], v[28:29], 0.5
	v_fma_f64 v[20:21], -v[20:21], v[24:25], 1.0
	s_delay_alu instid0(VALU_DEP_3) | instskip(SKIP_1) | instid1(VALU_DEP_4)
	v_fmac_f64_e32 v[32:33], v[18:19], v[26:27]
	v_add_f64_e64 v[26:27], |v[6:7]|, -4.0
	v_fmac_f64_e32 v[28:29], v[28:29], v[34:35]
	v_fmac_f64_e32 v[30:31], v[30:31], v[34:35]
	v_cvt_i32_f64_e32 v34, v[14:15]
	v_fmac_f64_e32 v[24:25], v[20:21], v[24:25]
	v_fma_f64 v[20:21], v[18:19], v[32:33], 1.0
	v_fma_f64 v[32:33], -v[28:29], v[28:29], v[0:1]
	s_delay_alu instid0(VALU_DEP_3) | instskip(NEXT) | instid1(VALU_DEP_3)
	v_mul_f64_e32 v[26:27], v[26:27], v[24:25]
	v_fma_f64 v[14:15], v[18:19], v[20:21], 1.0
	v_add_f64_e64 v[20:21], |v[6:7]|, |v[6:7]|
	s_delay_alu instid0(VALU_DEP_4) | instskip(NEXT) | instid1(VALU_DEP_4)
	v_fmac_f64_e32 v[28:29], v[32:33], v[30:31]
	v_add_f64_e32 v[18:19], 1.0, v[26:27]
	s_delay_alu instid0(VALU_DEP_4) | instskip(NEXT) | instid1(VALU_DEP_3)
	v_ldexp_f64 v[14:15], v[14:15], v34
	v_fma_f64 v[32:33], -v[28:29], v[28:29], v[0:1]
	s_delay_alu instid0(VALU_DEP_3) | instskip(NEXT) | instid1(VALU_DEP_3)
	v_fma_f64 v[18:19], v[18:19], -4.0, |v[6:7]|
	v_cndmask_b32_e64 v15, 0x7ff00000, v15, s0
	s_and_b32 s0, s1, s0
	s_delay_alu instid0(VALU_DEP_3) | instskip(NEXT) | instid1(VALU_DEP_2)
	v_fmac_f64_e32 v[28:29], v[32:33], v[30:31]
	v_dual_cndmask_b32 v14, 0, v14, s0 :: v_dual_cndmask_b32 v15, 0, v15, s1
	s_mov_b64 s[0:1], 0xbe41f39d54df3c0e
	s_delay_alu instid0(VALU_DEP_4) | instskip(SKIP_1) | instid1(VALU_DEP_3)
	v_fma_f64 v[4:5], -v[26:27], |v[6:7]|, v[18:19]
	v_add_f64_e32 v[18:19], 1.0, v[20:21]
	v_mul_f64_e32 v[8:9], v[8:9], v[14:15]
	v_cndmask_b32_e64 v14, 0, 0xffffff80, vcc_lo
	v_cmp_class_f64_e64 vcc_lo, v[0:1], 0x260
	s_delay_alu instid0(VALU_DEP_2) | instskip(SKIP_2) | instid1(VALU_DEP_2)
	v_ldexp_f64 v[14:15], v[28:29], v14
	v_fmac_f64_e32 v[26:27], v[24:25], v[4:5]
	v_rcp_f64_e32 v[4:5], v[18:19]
	v_dual_mul_f64 v[2:3], v[8:9], v[2:3] :: v_dual_cndmask_b32 v1, v15, v1, vcc_lo
	s_delay_alu instid0(VALU_DEP_3) | instskip(NEXT) | instid1(VALU_DEP_3)
	v_cndmask_b32_e32 v0, v14, v0, vcc_lo
	v_fmaak_f64 v[8:9], s[0:1], v[26:27], 0xbe41166337cfa789
	v_cmp_nlt_f64_e64 s0, 0x40900000, v[12:13]
	v_cmp_ngt_f64_e64 s1, 0xc090cc00, v[12:13]
	s_delay_alu instid0(VALU_DEP_4) | instskip(NEXT) | instid1(VALU_DEP_4)
	v_div_scale_f64 v[14:15], null, v[0:1], v[0:1], v[2:3]
	v_fmaak_f64 v[8:9], v[26:27], v[8:9], 0x3e7b45f1d9802b82
	s_delay_alu instid0(TRANS32_DEP_1) | instskip(NEXT) | instid1(VALU_DEP_2)
	v_fma_f64 v[24:25], -v[18:19], v[4:5], 1.0
	v_fmaak_f64 v[8:9], v[26:27], v[8:9], 0x3e6d90488a03dcdb
	s_delay_alu instid0(VALU_DEP_1) | instskip(NEXT) | instid1(VALU_DEP_1)
	v_fmaak_f64 v[8:9], v[26:27], v[8:9], 0xbeab87b02eba62d8
	v_fmaak_f64 v[8:9], v[26:27], v[8:9], 0x3e95104ba56e15f1
	s_delay_alu instid0(VALU_DEP_1) | instskip(SKIP_2) | instid1(VALU_DEP_2)
	v_fmaak_f64 v[8:9], v[26:27], v[8:9], 0x3ed7f29f71c907de
	v_fmac_f64_e32 v[4:5], v[24:25], v[4:5]
	v_rcp_f64_e32 v[24:25], v[14:15]
	v_fmaak_f64 v[8:9], v[26:27], v[8:9], 0xbee78f5c2cd770fb
	s_delay_alu instid0(VALU_DEP_1) | instskip(NEXT) | instid1(VALU_DEP_1)
	v_fmaak_f64 v[8:9], v[26:27], v[8:9], 0xbef995fb76d0a51a
	v_fmaak_f64 v[8:9], v[26:27], v[8:9], 0x3f23be2ec022d0ed
	s_delay_alu instid0(VALU_DEP_1) | instskip(NEXT) | instid1(VALU_DEP_1)
	v_fmaak_f64 v[8:9], v[26:27], v[8:9], 0xbf2a1deb2fdbf62e
	v_fmaak_f64 v[8:9], v[26:27], v[8:9], 0xbf48d4ac3689fc43
	v_fma_f64 v[18:19], -v[18:19], v[4:5], 1.0
	s_delay_alu instid0(VALU_DEP_2) | instskip(NEXT) | instid1(TRANS32_DEP_1)
	v_fmaak_f64 v[8:9], v[26:27], v[8:9], 0x3f749c67192d909b
	v_fma_f64 v[28:29], -v[14:15], v[24:25], 1.0
	s_delay_alu instid0(VALU_DEP_2) | instskip(NEXT) | instid1(VALU_DEP_1)
	v_fmaak_f64 v[8:9], v[26:27], v[8:9], 0xbf909623852ff070
	v_fmaak_f64 v[8:9], v[26:27], v[8:9], 0x3fa3079edfadea8f
	s_delay_alu instid0(VALU_DEP_1) | instskip(SKIP_1) | instid1(VALU_DEP_2)
	v_fmaak_f64 v[8:9], v[26:27], v[8:9], 0xbfb0fb06dff65910
	v_fmac_f64_e32 v[4:5], v[18:19], v[4:5]
	v_fmaak_f64 v[8:9], v[26:27], v[8:9], 0x3fb7fee004de8f32
	v_fmac_f64_e32 v[24:25], v[24:25], v[28:29]
	s_delay_alu instid0(VALU_DEP_2) | instskip(SKIP_3) | instid1(VALU_DEP_4)
	v_fmaak_f64 v[8:9], v[26:27], v[8:9], 0xbfb9ddb23c3dbeb3
	v_cvt_i32_f64_e32 v28, v[10:11]
	v_fma_f64 v[10:11], v[16:17], v[22:23], 1.0
	v_div_scale_f64 v[22:23], vcc_lo, v[2:3], v[0:1], v[2:3]
	v_fmaak_f64 v[8:9], v[26:27], v[8:9], 0x3fb16ecefcfa6930
	s_delay_alu instid0(VALU_DEP_1) | instskip(NEXT) | instid1(VALU_DEP_1)
	v_fmaak_f64 v[8:9], v[26:27], v[8:9], 0x3f8f7f5df66fb8a3
	v_fmaak_f64 v[8:9], v[26:27], v[8:9], 0xbfc1df1ad154a2a8
	s_delay_alu instid0(VALU_DEP_1) | instskip(SKIP_2) | instid1(VALU_DEP_3)
	v_fmaak_f64 v[8:9], v[26:27], v[8:9], 0x3fcdd2c8b74febf8
	v_fma_f64 v[18:19], -v[14:15], v[24:25], 1.0
	v_ldexp_f64 v[10:11], v[10:11], v28
	v_fma_f64 v[16:17], v[8:9], v[4:5], v[4:5]
	s_delay_alu instid0(VALU_DEP_3) | instskip(NEXT) | instid1(VALU_DEP_3)
	v_fmac_f64_e32 v[24:25], v[24:25], v[18:19]
	v_cndmask_b32_e64 v11, 0x7ff00000, v11, s0
	s_delay_alu instid0(VALU_DEP_3) | instskip(SKIP_2) | instid1(SALU_CYCLE_1)
	v_fma_f64 v[20:21], -v[16:17], v[20:21], 1.0
	v_add_f64_e64 v[8:9], v[8:9], -v[16:17]
	s_and_b32 s0, s1, s0
	v_cndmask_b32_e64 v10, 0, v10, s0
	v_fma_f64 v[12:13], -v[6:7], v[6:7], -v[12:13]
	v_cndmask_b32_e64 v11, 0, v11, s1
	s_mov_b64 s[0:1], 0x403b39dc41e48bfc
	s_delay_alu instid0(SALU_CYCLE_1) | instskip(SKIP_3) | instid1(VALU_DEP_2)
	v_cmp_ngt_f64_e64 s0, |v[6:7]|, s[0:1]
	v_mul_f64_e32 v[18:19], v[22:23], v[24:25]
	v_add_f64_e32 v[8:9], v[20:21], v[8:9]
	v_fmac_f64_e32 v[10:11], v[10:11], v[12:13]
	v_fmac_f64_e32 v[16:17], v[4:5], v[8:9]
	s_delay_alu instid0(VALU_DEP_4) | instskip(NEXT) | instid1(VALU_DEP_2)
	v_fma_f64 v[4:5], -v[14:15], v[18:19], v[22:23]
	v_mul_f64_e32 v[8:9], v[10:11], v[16:17]
	s_delay_alu instid0(VALU_DEP_2) | instskip(SKIP_1) | instid1(VALU_DEP_3)
	v_div_fmas_f64 v[4:5], v[4:5], v[24:25], v[18:19]
	v_cmp_gt_f64_e32 vcc_lo, 0, v[6:7]
	v_dual_cndmask_b32 v9, 0, v9, s0 :: v_dual_cndmask_b32 v8, 0, v8, s0
	s_delay_alu instid0(VALU_DEP_3) | instskip(NEXT) | instid1(VALU_DEP_2)
	v_div_fixup_f64 v[0:1], v[4:5], v[0:1], v[2:3]
	v_add_f64_e64 v[10:11], -v[8:9], 2.0
	s_delay_alu instid0(VALU_DEP_1) | instskip(NEXT) | instid1(VALU_DEP_1)
	v_dual_cndmask_b32 v3, v9, v11 :: v_dual_cndmask_b32 v2, v8, v10
	v_fmac_f64_e32 v[0:1], 0.5, v[2:3]
	s_set_pc_i64 s[30:31]
.Lfunc_end0:
	.size	_ZN12_GLOBAL__N_130_igam_helper_asymptotic_seriesIdEET_S1_S1_b, .Lfunc_end0-_ZN12_GLOBAL__N_130_igam_helper_asymptotic_seriesIdEET_S1_S1_b
                                        ; -- End function
	.set .L_ZN12_GLOBAL__N_130_igam_helper_asymptotic_seriesIdEET_S1_S1_b.num_vgpr, 36
	.set .L_ZN12_GLOBAL__N_130_igam_helper_asymptotic_seriesIdEET_S1_S1_b.num_agpr, 0
	.set .L_ZN12_GLOBAL__N_130_igam_helper_asymptotic_seriesIdEET_S1_S1_b.numbered_sgpr, 33
	.set .L_ZN12_GLOBAL__N_130_igam_helper_asymptotic_seriesIdEET_S1_S1_b.num_named_barrier, 0
	.set .L_ZN12_GLOBAL__N_130_igam_helper_asymptotic_seriesIdEET_S1_S1_b.private_seg_size, 208
	.set .L_ZN12_GLOBAL__N_130_igam_helper_asymptotic_seriesIdEET_S1_S1_b.uses_vcc, 1
	.set .L_ZN12_GLOBAL__N_130_igam_helper_asymptotic_seriesIdEET_S1_S1_b.uses_flat_scratch, 1
	.set .L_ZN12_GLOBAL__N_130_igam_helper_asymptotic_seriesIdEET_S1_S1_b.has_dyn_sized_stack, 0
	.set .L_ZN12_GLOBAL__N_130_igam_helper_asymptotic_seriesIdEET_S1_S1_b.has_recursion, 0
	.set .L_ZN12_GLOBAL__N_130_igam_helper_asymptotic_seriesIdEET_S1_S1_b.has_indirect_call, 0
	.section	.AMDGPU.csdata,"",@progbits
; Function info:
; codeLenInByte = 4968
; TotalNumSgprs: 35
; NumVgprs: 36
; ScratchSize: 208
; MemoryBound: 0
	.text
	.p2align	2                               ; -- Begin function _ZN12_GLOBAL__N_116_igam_helper_facIdEET_S1_S1_
	.type	_ZN12_GLOBAL__N_116_igam_helper_facIdEET_S1_S1_,@function
_ZN12_GLOBAL__N_116_igam_helper_facIdEET_S1_S1_: ; @_ZN12_GLOBAL__N_116_igam_helper_facIdEET_S1_S1_
; %bb.0:
	s_wait_loadcnt_dscnt 0x0
	s_wait_kmcnt 0x0
	s_mov_b64 s[0:1], 0x3fd999999999999a
	v_add_f64_e64 v[34:35], v[0:1], -v[2:3]
	v_mul_f64_e64 v[4:5], |v[0:1]|, s[0:1]
	v_mov_b64_e32 v[8:9], v[0:1]
	v_mov_b32_e32 v6, v0
	s_delay_alu instid0(VALU_DEP_3) | instskip(SKIP_1) | instid1(SALU_CYCLE_1)
	v_cmp_ngt_f64_e64 s0, |v[34:35]|, v[4:5]
                                        ; implicit-def: $vgpr4_vgpr5
	s_and_saveexec_b32 s1, s0
	s_xor_b32 s4, exec_lo, s1
	s_cbranch_execnz .LBB1_3
; %bb.1:
	s_and_not1_saveexec_b32 s3, s4
	s_cbranch_execnz .LBB1_12
.LBB1_2:
	s_or_b32 exec_lo, exec_lo, s3
	s_delay_alu instid0(VALU_DEP_1)
	v_dual_mov_b32 v0, v4 :: v_dual_mov_b32 v1, v5
	s_set_pc_i64 s[30:31]
.LBB1_3:
	v_cmp_gt_f64_e64 s0, |v[0:1]|, 1.0
	s_get_pc_i64 s[2:3]
	s_add_nc_u64 s[2:3], s[2:3], __const._ZN12_GLOBAL__N_123lanczos_sum_expg_scaledIdEET_S1_.lanczos_sum_expg_scaled_num@rel64+4
	s_get_pc_i64 s[6:7]
	s_add_nc_u64 s[6:7], s[6:7], __const._ZN12_GLOBAL__N_123lanczos_sum_expg_scaledIdEET_S1_.lanczos_sum_expg_scaled_denom@rel64+4
	v_mov_b64_e32 v[10:11], 1
	v_mov_b64_e32 v[4:5], s[2:3]
	;; [unrolled: 1-line block ×3, first 2 shown]
	s_and_saveexec_b32 s1, s0
	s_cbranch_execz .LBB1_5
; %bb.4:
	v_div_scale_f64 v[4:5], null, v[0:1], v[0:1], 1.0
	s_get_pc_i64 s[2:3]
	s_add_nc_u64 s[2:3], s[2:3], __const._ZN12_GLOBAL__N_123lanczos_sum_expg_scaledIdEET_S1_.lanczos_sum_expg_scaled_num@rel64+100
	s_get_pc_i64 s[6:7]
	s_add_nc_u64 s[6:7], s[6:7], __const._ZN12_GLOBAL__N_123lanczos_sum_expg_scaledIdEET_S1_.lanczos_sum_expg_scaled_denom@rel64+100
	v_rcp_f64_e32 v[6:7], v[4:5]
	v_nop
	s_delay_alu instid0(TRANS32_DEP_1) | instskip(NEXT) | instid1(VALU_DEP_1)
	v_fma_f64 v[8:9], -v[4:5], v[6:7], 1.0
	v_fmac_f64_e32 v[6:7], v[6:7], v[8:9]
	s_delay_alu instid0(VALU_DEP_1) | instskip(NEXT) | instid1(VALU_DEP_1)
	v_fma_f64 v[8:9], -v[4:5], v[6:7], 1.0
	v_fmac_f64_e32 v[6:7], v[6:7], v[8:9]
	v_div_scale_f64 v[8:9], vcc_lo, 1.0, v[0:1], 1.0
	s_delay_alu instid0(VALU_DEP_1) | instskip(NEXT) | instid1(VALU_DEP_1)
	v_mul_f64_e32 v[10:11], v[8:9], v[6:7]
	v_fma_f64 v[4:5], -v[4:5], v[10:11], v[8:9]
	s_delay_alu instid0(VALU_DEP_1) | instskip(SKIP_2) | instid1(VALU_DEP_3)
	v_div_fmas_f64 v[4:5], v[4:5], v[6:7], v[10:11]
	v_mov_b64_e32 v[10:11], -1
	v_mov_b64_e32 v[6:7], s[6:7]
	v_div_fixup_f64 v[8:9], v[4:5], v[0:1], 1.0
	v_mov_b64_e32 v[4:5], s[2:3]
.LBB1_5:
	s_or_b32 exec_lo, exec_lo, s1
	s_delay_alu instid0(VALU_DEP_3) | instskip(NEXT) | instid1(VALU_DEP_1)
	v_lshlrev_b64_e32 v[10:11], 3, v[10:11]
	v_add_nc_u64_e32 v[12:13], v[4:5], v[10:11]
	s_clause 0x1
	global_load_b64 v[14:15], v[4:5], off
	global_load_b64 v[16:17], v[12:13], off
	s_wait_xcnt 0x1
	v_add_nc_u64_e32 v[4:5], v[12:13], v[10:11]
	s_wait_xcnt 0x0
	v_add_nc_u64_e32 v[12:13], v[6:7], v[10:11]
	global_load_b64 v[36:37], v[4:5], off
	s_wait_xcnt 0x0
	v_add_nc_u64_e32 v[4:5], v[4:5], v[10:11]
	v_add_nc_u64_e32 v[18:19], v[12:13], v[10:11]
	global_load_b64 v[38:39], v[4:5], off
	s_wait_xcnt 0x0
	v_add_nc_u64_e32 v[4:5], v[4:5], v[10:11]
	;; [unrolled: 4-line block ×10, first 2 shown]
	v_add_nc_u64_e32 v[100:101], v[98:99], v[10:11]
	global_load_b64 v[4:5], v[4:5], off
	s_clause 0x4
	global_load_b64 v[32:33], v[6:7], off
	global_load_b64 v[30:31], v[12:13], off
	;; [unrolled: 1-line block ×4, first 2 shown]
	; meta instruction
	; meta instruction
	;; [unrolled: 1-line block ×4, first 2 shown]
	global_load_b64 v[28:29], v[24:25], off
	v_add_nc_u64_e32 v[102:103], v[100:101], v[10:11]
	s_wait_loadcnt 0x10
	v_fmac_f64_e32 v[16:17], v[8:9], v[14:15]
	s_wait_loadcnt 0xf
	s_delay_alu instid0(VALU_DEP_1)
	v_fmac_f64_e32 v[36:37], v[8:9], v[16:17]
	s_clause 0x5
	global_load_b64 v[24:25], v[80:81], off
	global_load_b64 v[20:21], v[82:83], off
	;; [unrolled: 1-line block ×4, first 2 shown]
	; meta instruction
	; meta instruction
	;; [unrolled: 1-line block ×4, first 2 shown]
	global_load_b64 v[18:19], v[96:97], off
	global_load_b64 v[12:13], v[98:99], off
	;; [unrolled: 1-line block ×4, first 2 shown]
	s_wait_loadcnt 0x16
	v_fmac_f64_e32 v[38:39], v[8:9], v[36:37]
	s_wait_loadcnt 0x15
	s_delay_alu instid0(VALU_DEP_1) | instskip(SKIP_1) | instid1(VALU_DEP_1)
	v_fmac_f64_e32 v[48:49], v[8:9], v[38:39]
	s_wait_loadcnt 0x14
	v_fmac_f64_e32 v[50:51], v[8:9], v[48:49]
	s_wait_loadcnt 0x13
	s_delay_alu instid0(VALU_DEP_1) | instskip(SKIP_1) | instid1(VALU_DEP_1)
	v_fmac_f64_e32 v[52:53], v[8:9], v[50:51]
	s_wait_loadcnt 0x12
	v_fmac_f64_e32 v[54:55], v[8:9], v[52:53]
	s_wait_loadcnt 0x11
	s_delay_alu instid0(VALU_DEP_1) | instskip(SKIP_1) | instid1(VALU_DEP_1)
	v_fmac_f64_e32 v[64:65], v[8:9], v[54:55]
	s_wait_loadcnt 0x10
	v_fmac_f64_e32 v[66:67], v[8:9], v[64:65]
	s_wait_loadcnt 0xf
	s_delay_alu instid0(VALU_DEP_1) | instskip(SKIP_1) | instid1(VALU_DEP_1)
	v_fmac_f64_e32 v[68:69], v[8:9], v[66:67]
	s_wait_loadcnt 0xe
	v_fmac_f64_e32 v[70:71], v[8:9], v[68:69]
	s_wait_loadcnt 0xd
	s_delay_alu instid0(VALU_DEP_1)
	v_fmac_f64_e32 v[4:5], v[8:9], v[70:71]
	s_wait_xcnt 0x0
	s_and_saveexec_b32 s2, s0
	s_cbranch_execz .LBB1_7
; %bb.6:
	v_cmp_eq_f64_e32 vcc_lo, 1.0, v[0:1]
	v_mov_b32_e32 v36, 0
	s_mov_b64 s[0:1], 0x3fe5555555555555
	v_cndmask_b32_e64 v37, 0, 0x3ff00000, vcc_lo
	s_delay_alu instid0(VALU_DEP_1) | instskip(SKIP_2) | instid1(VALU_DEP_1)
	v_cmp_neq_f64_e32 vcc_lo, 0, v[36:37]
	v_cndmask_b32_e32 v39, 0x3ff00000, v1, vcc_lo
	v_cndmask_b32_e32 v38, 0, v0, vcc_lo
	v_frexp_mant_f64_e64 v[48:49], |v[38:39]|
	s_delay_alu instid0(VALU_DEP_1) | instskip(SKIP_2) | instid1(VALU_DEP_1)
	v_cmp_gt_f64_e32 vcc_lo, s[0:1], v[48:49]
	s_mov_b64 s[0:1], 0x3fbdee674222de17
	v_cndmask_b32_e64 v50, 0, 1, vcc_lo
	v_ldexp_f64 v[48:49], v[48:49], v50
	s_delay_alu instid0(VALU_DEP_1) | instskip(SKIP_1) | instid1(VALU_DEP_2)
	v_add_f64_e32 v[50:51], 1.0, v[48:49]
	v_add_f64_e32 v[64:65], -1.0, v[48:49]
	v_rcp_f64_e32 v[52:53], v[50:51]
	v_add_f64_e32 v[66:67], -1.0, v[50:51]
	s_delay_alu instid0(VALU_DEP_1) | instskip(NEXT) | instid1(TRANS32_DEP_1)
	v_add_f64_e64 v[48:49], v[48:49], -v[66:67]
	v_fma_f64 v[54:55], -v[50:51], v[52:53], 1.0
	s_delay_alu instid0(VALU_DEP_1) | instskip(NEXT) | instid1(VALU_DEP_1)
	v_fmac_f64_e32 v[52:53], v[54:55], v[52:53]
	v_fma_f64 v[54:55], -v[50:51], v[52:53], 1.0
	s_delay_alu instid0(VALU_DEP_1) | instskip(NEXT) | instid1(VALU_DEP_1)
	v_fmac_f64_e32 v[52:53], v[54:55], v[52:53]
	v_mul_f64_e32 v[54:55], v[64:65], v[52:53]
	s_delay_alu instid0(VALU_DEP_1) | instskip(NEXT) | instid1(VALU_DEP_1)
	v_mul_f64_e32 v[68:69], v[50:51], v[54:55]
	v_fma_f64 v[50:51], v[54:55], v[50:51], -v[68:69]
	s_delay_alu instid0(VALU_DEP_1) | instskip(NEXT) | instid1(VALU_DEP_1)
	v_fmac_f64_e32 v[50:51], v[54:55], v[48:49]
	v_add_f64_e32 v[48:49], v[68:69], v[50:51]
	s_delay_alu instid0(VALU_DEP_1) | instskip(SKIP_1) | instid1(VALU_DEP_2)
	v_add_f64_e64 v[66:67], v[64:65], -v[48:49]
	v_add_f64_e64 v[68:69], v[48:49], -v[68:69]
	;; [unrolled: 1-line block ×3, first 2 shown]
	s_delay_alu instid0(VALU_DEP_2) | instskip(NEXT) | instid1(VALU_DEP_2)
	v_add_f64_e64 v[50:51], v[68:69], -v[50:51]
	v_add_f64_e64 v[48:49], v[64:65], -v[48:49]
	s_delay_alu instid0(VALU_DEP_1) | instskip(NEXT) | instid1(VALU_DEP_1)
	v_add_f64_e32 v[48:49], v[50:51], v[48:49]
	v_add_f64_e32 v[48:49], v[66:67], v[48:49]
	s_delay_alu instid0(VALU_DEP_1) | instskip(NEXT) | instid1(VALU_DEP_1)
	v_mul_f64_e32 v[48:49], v[52:53], v[48:49]
	v_add_f64_e32 v[50:51], v[54:55], v[48:49]
	s_delay_alu instid0(VALU_DEP_1) | instskip(SKIP_1) | instid1(VALU_DEP_2)
	v_add_f64_e64 v[52:53], v[50:51], -v[54:55]
	v_mul_f64_e32 v[54:55], v[50:51], v[50:51]
	v_add_f64_e64 v[48:49], v[48:49], -v[52:53]
	s_delay_alu instid0(VALU_DEP_2) | instskip(NEXT) | instid1(VALU_DEP_2)
	v_fma_f64 v[52:53], v[50:51], v[50:51], -v[54:55]
	v_add_f64_e32 v[64:65], v[48:49], v[48:49]
	s_delay_alu instid0(VALU_DEP_1) | instskip(NEXT) | instid1(VALU_DEP_1)
	v_fmac_f64_e32 v[52:53], v[50:51], v[64:65]
	v_add_f64_e32 v[64:65], v[54:55], v[52:53]
	s_delay_alu instid0(VALU_DEP_1) | instskip(SKIP_3) | instid1(VALU_DEP_3)
	v_fmaak_f64 v[66:67], s[0:1], v[64:65], 0x3fba6564968915a9
	v_add_f64_e64 v[54:55], v[64:65], -v[54:55]
	v_mul_f64_e32 v[80:81], v[50:51], v[64:65]
	s_mov_b64 s[0:1], 0x3fe62e42fefa39ef
	v_fmaak_f64 v[66:67], v[64:65], v[66:67], 0x3fbe25e43abe935a
	s_delay_alu instid0(VALU_DEP_1) | instskip(NEXT) | instid1(VALU_DEP_1)
	v_fmaak_f64 v[66:67], v[64:65], v[66:67], 0x3fc110ef47e6c9c2
	v_fmaak_f64 v[66:67], v[64:65], v[66:67], 0x3fc3b13bcfa74449
	s_delay_alu instid0(VALU_DEP_1) | instskip(SKIP_1) | instid1(VALU_DEP_2)
	v_fmaak_f64 v[66:67], v[64:65], v[66:67], 0x3fc745d171bf3c30
	v_add_f64_e64 v[52:53], v[52:53], -v[54:55]
	v_fmaak_f64 v[66:67], v[64:65], v[66:67], 0x3fcc71c71c7792ce
	s_delay_alu instid0(VALU_DEP_1) | instskip(NEXT) | instid1(VALU_DEP_1)
	v_fmaak_f64 v[66:67], v[64:65], v[66:67], 0x3fd24924924920da
	v_fmaak_f64 v[66:67], v[64:65], v[66:67], 0x3fd999999999999c
	s_delay_alu instid0(VALU_DEP_1) | instskip(NEXT) | instid1(VALU_DEP_1)
	v_mul_f64_e32 v[68:69], v[64:65], v[66:67]
	v_fma_f64 v[54:55], v[64:65], v[66:67], -v[68:69]
	s_delay_alu instid0(VALU_DEP_1) | instskip(NEXT) | instid1(VALU_DEP_1)
	v_fmac_f64_e32 v[54:55], v[52:53], v[66:67]
	v_add_f64_e32 v[66:67], v[68:69], v[54:55]
	s_delay_alu instid0(VALU_DEP_1) | instskip(SKIP_1) | instid1(VALU_DEP_2)
	v_add_f64_e32 v[70:71], 0x3fe5555555555555, v[66:67]
	v_add_f64_e64 v[68:69], v[66:67], -v[68:69]
	v_add_f64_e32 v[82:83], 0xbfe5555555555555, v[70:71]
	s_delay_alu instid0(VALU_DEP_2) | instskip(SKIP_1) | instid1(VALU_DEP_3)
	v_add_f64_e64 v[54:55], v[54:55], -v[68:69]
	v_fma_f64 v[68:69], v[64:65], v[50:51], -v[80:81]
	v_add_f64_e64 v[66:67], v[66:67], -v[82:83]
	s_delay_alu instid0(VALU_DEP_3) | instskip(NEXT) | instid1(VALU_DEP_3)
	v_add_f64_e32 v[54:55], 0x3c8543b0d5df274d, v[54:55]
	v_fmac_f64_e32 v[68:69], v[64:65], v[48:49]
	v_ldexp_f64 v[48:49], v[48:49], 1
	s_delay_alu instid0(VALU_DEP_3) | instskip(NEXT) | instid1(VALU_DEP_3)
	v_add_f64_e32 v[54:55], v[54:55], v[66:67]
	v_fmac_f64_e32 v[68:69], v[52:53], v[50:51]
	v_ldexp_f64 v[50:51], v[50:51], 1
	s_delay_alu instid0(VALU_DEP_3) | instskip(NEXT) | instid1(VALU_DEP_3)
	v_add_f64_e32 v[52:53], v[70:71], v[54:55]
	v_add_f64_e32 v[64:65], v[80:81], v[68:69]
	s_delay_alu instid0(VALU_DEP_2) | instskip(NEXT) | instid1(VALU_DEP_2)
	v_add_f64_e64 v[66:67], v[70:71], -v[52:53]
	v_mul_f64_e32 v[70:71], v[64:65], v[52:53]
	v_add_f64_e64 v[80:81], v[64:65], -v[80:81]
	s_delay_alu instid0(VALU_DEP_3) | instskip(NEXT) | instid1(VALU_DEP_3)
	v_add_f64_e32 v[54:55], v[54:55], v[66:67]
	v_fma_f64 v[66:67], v[64:65], v[52:53], -v[70:71]
	s_delay_alu instid0(VALU_DEP_3) | instskip(NEXT) | instid1(VALU_DEP_2)
	v_add_f64_e64 v[68:69], v[68:69], -v[80:81]
	v_fmac_f64_e32 v[66:67], v[64:65], v[54:55]
	s_delay_alu instid0(VALU_DEP_1) | instskip(SKIP_1) | instid1(VALU_DEP_2)
	v_fmac_f64_e32 v[66:67], v[68:69], v[52:53]
	v_frexp_exp_i32_f64_e32 v68, v[38:39]
	v_add_f64_e32 v[52:53], v[70:71], v[66:67]
	s_delay_alu instid0(VALU_DEP_2) | instskip(NEXT) | instid1(VALU_DEP_1)
	v_subrev_co_ci_u32_e64 v68, null, 0, v68, vcc_lo
	v_cvt_f64_i32_e32 v[68:69], v68
	s_delay_alu instid0(VALU_DEP_3) | instskip(SKIP_1) | instid1(VALU_DEP_2)
	v_add_f64_e32 v[54:55], v[50:51], v[52:53]
	v_add_f64_e64 v[64:65], v[52:53], -v[70:71]
	v_add_f64_e64 v[50:51], v[54:55], -v[50:51]
	s_delay_alu instid0(VALU_DEP_2) | instskip(SKIP_1) | instid1(VALU_DEP_3)
	v_add_f64_e64 v[64:65], v[66:67], -v[64:65]
	v_mul_f64_e32 v[66:67], 0x3fe62e42fefa39ef, v[68:69]
	v_add_f64_e64 v[50:51], v[52:53], -v[50:51]
	s_delay_alu instid0(VALU_DEP_3) | instskip(NEXT) | instid1(VALU_DEP_3)
	v_add_f64_e32 v[48:49], v[48:49], v[64:65]
	v_fma_f64 v[52:53], v[68:69], s[0:1], -v[66:67]
	s_mov_b64 s[0:1], 0x3e5ade156a5dcb37
	s_delay_alu instid0(VALU_DEP_2) | instskip(NEXT) | instid1(VALU_DEP_2)
	v_add_f64_e32 v[48:49], v[48:49], v[50:51]
	v_fmamk_f64 v[50:51], v[68:69], 0x3c7abc9e3b39803f, v[52:53]
	s_delay_alu instid0(VALU_DEP_1) | instskip(NEXT) | instid1(VALU_DEP_3)
	v_add_f64_e32 v[52:53], v[66:67], v[50:51]
	v_add_f64_e32 v[64:65], v[54:55], v[48:49]
	s_delay_alu instid0(VALU_DEP_2) | instskip(NEXT) | instid1(VALU_DEP_2)
	v_add_f64_e64 v[66:67], v[52:53], -v[66:67]
	v_add_f64_e32 v[68:69], v[52:53], v[64:65]
	v_add_f64_e64 v[54:55], v[64:65], -v[54:55]
	s_delay_alu instid0(VALU_DEP_3) | instskip(NEXT) | instid1(VALU_DEP_3)
	v_add_f64_e64 v[50:51], v[50:51], -v[66:67]
	v_add_f64_e64 v[70:71], v[68:69], -v[52:53]
	s_delay_alu instid0(VALU_DEP_3) | instskip(NEXT) | instid1(VALU_DEP_2)
	v_add_f64_e64 v[48:49], v[48:49], -v[54:55]
	v_add_f64_e64 v[80:81], v[68:69], -v[70:71]
	;; [unrolled: 1-line block ×3, first 2 shown]
	s_delay_alu instid0(VALU_DEP_3) | instskip(NEXT) | instid1(VALU_DEP_3)
	v_add_f64_e32 v[64:65], v[50:51], v[48:49]
	v_add_f64_e64 v[52:53], v[52:53], -v[80:81]
	s_delay_alu instid0(VALU_DEP_1) | instskip(NEXT) | instid1(VALU_DEP_3)
	v_add_f64_e32 v[52:53], v[54:55], v[52:53]
	v_add_f64_e64 v[54:55], v[64:65], -v[50:51]
	s_delay_alu instid0(VALU_DEP_2) | instskip(NEXT) | instid1(VALU_DEP_2)
	v_add_f64_e32 v[52:53], v[64:65], v[52:53]
	v_add_f64_e64 v[64:65], v[64:65], -v[54:55]
	v_add_f64_e64 v[48:49], v[48:49], -v[54:55]
	s_delay_alu instid0(VALU_DEP_3) | instskip(NEXT) | instid1(VALU_DEP_3)
	v_add_f64_e32 v[66:67], v[68:69], v[52:53]
	v_add_f64_e64 v[50:51], v[50:51], -v[64:65]
	s_delay_alu instid0(VALU_DEP_2) | instskip(NEXT) | instid1(VALU_DEP_2)
	v_add_f64_e64 v[54:55], v[66:67], -v[68:69]
	v_add_f64_e32 v[48:49], v[48:49], v[50:51]
	s_delay_alu instid0(VALU_DEP_2) | instskip(NEXT) | instid1(VALU_DEP_1)
	v_add_f64_e64 v[50:51], v[52:53], -v[54:55]
	v_add_f64_e32 v[48:49], v[48:49], v[50:51]
	s_delay_alu instid0(VALU_DEP_1) | instskip(NEXT) | instid1(VALU_DEP_1)
	v_add_f64_e32 v[50:51], v[66:67], v[48:49]
	v_add_f64_e64 v[52:53], v[50:51], -v[66:67]
	v_mul_f64_e32 v[54:55], v[36:37], v[50:51]
	s_delay_alu instid0(VALU_DEP_2) | instskip(NEXT) | instid1(VALU_DEP_2)
	v_add_f64_e64 v[48:49], v[48:49], -v[52:53]
	v_fma_f64 v[50:51], v[36:37], v[50:51], -v[54:55]
	v_cmp_class_f64_e64 vcc_lo, v[54:55], 0x204
	s_delay_alu instid0(VALU_DEP_2) | instskip(NEXT) | instid1(VALU_DEP_1)
	v_fmac_f64_e32 v[50:51], v[36:37], v[48:49]
	v_add_f64_e32 v[48:49], v[54:55], v[50:51]
	s_delay_alu instid0(VALU_DEP_1) | instskip(SKIP_1) | instid1(VALU_DEP_2)
	v_dual_cndmask_b32 v53, v49, v55 :: v_dual_cndmask_b32 v52, v48, v54
	v_add_f64_e64 v[48:49], v[48:49], -v[54:55]
	v_mul_f64_e32 v[64:65], 0x3ff71547652b82fe, v[52:53]
	v_cmp_neq_f64_e64 vcc_lo, 0x7ff00000, |v[52:53]|
	s_delay_alu instid0(VALU_DEP_3) | instskip(SKIP_1) | instid1(VALU_DEP_4)
	v_add_f64_e64 v[48:49], v[50:51], -v[48:49]
	v_mul_f64_e32 v[50:51], 0.5, v[36:37]
	v_rndne_f64_e32 v[64:65], v[64:65]
	s_delay_alu instid0(VALU_DEP_3) | instskip(NEXT) | instid1(VALU_DEP_2)
	v_dual_cndmask_b32 v49, 0, v49 :: v_dual_cndmask_b32 v48, 0, v48
	v_fmamk_f64 v[66:67], v[64:65], 0xbfe62e42fefa39ef, v[52:53]
	v_cvt_i32_f64_e32 v70, v[64:65]
	s_delay_alu instid0(VALU_DEP_2) | instskip(NEXT) | instid1(VALU_DEP_1)
	v_fmamk_f64 v[66:67], v[64:65], 0xbc7abc9e3b39803f, v[66:67]
	v_fmaak_f64 v[68:69], s[0:1], v[66:67], 0x3e928af3fca7ab0c
	v_cmp_nlt_f64_e64 s0, 0x40900000, v[52:53]
	v_cmp_ngt_f64_e64 s1, 0xc090cc00, v[52:53]
	s_delay_alu instid0(VALU_DEP_3) | instskip(NEXT) | instid1(VALU_DEP_1)
	v_fmaak_f64 v[68:69], v[66:67], v[68:69], 0x3ec71dee623fde64
	v_fmaak_f64 v[68:69], v[66:67], v[68:69], 0x3efa01997c89e6b0
	s_delay_alu instid0(VALU_DEP_1) | instskip(NEXT) | instid1(VALU_DEP_1)
	v_fmaak_f64 v[68:69], v[66:67], v[68:69], 0x3f2a01a014761f6e
	v_fmaak_f64 v[68:69], v[66:67], v[68:69], 0x3f56c16c1852b7b0
	s_and_b32 vcc_lo, s1, s0
	s_delay_alu instid0(VALU_DEP_1) | instskip(NEXT) | instid1(VALU_DEP_1)
	v_fmaak_f64 v[68:69], v[66:67], v[68:69], 0x3f81111111122322
	v_fmaak_f64 v[68:69], v[66:67], v[68:69], 0x3fa55555555502a1
	s_delay_alu instid0(VALU_DEP_1) | instskip(NEXT) | instid1(VALU_DEP_1)
	v_fmaak_f64 v[68:69], v[66:67], v[68:69], 0x3fc5555555555511
	v_fmaak_f64 v[68:69], v[66:67], v[68:69], 0x3fe000000000000b
	s_delay_alu instid0(VALU_DEP_1) | instskip(NEXT) | instid1(VALU_DEP_1)
	v_fma_f64 v[68:69], v[66:67], v[68:69], 1.0
	v_fma_f64 v[64:65], v[66:67], v[68:69], 1.0
	s_delay_alu instid0(VALU_DEP_1) | instskip(SKIP_1) | instid1(VALU_DEP_2)
	v_ldexp_f64 v[54:55], v[64:65], v70
	v_trunc_f64_e32 v[64:65], v[36:37]
	v_cndmask_b32_e64 v55, 0x7ff00000, v55, s0
	s_delay_alu instid0(VALU_DEP_1) | instskip(SKIP_1) | instid1(VALU_DEP_4)
	v_dual_cndmask_b32 v52, 0, v54, vcc_lo :: v_dual_cndmask_b32 v53, 0, v55, s1
	v_trunc_f64_e32 v[54:55], v[50:51]
	v_cmp_eq_f64_e64 s1, v[64:65], v[36:37]
	s_delay_alu instid0(VALU_DEP_3) | instskip(SKIP_1) | instid1(VALU_DEP_4)
	v_fma_f64 v[48:49], v[52:53], v[48:49], v[52:53]
	v_cmp_class_f64_e64 s0, v[52:53], 0x204
	v_cmp_neq_f64_e32 vcc_lo, v[54:55], v[50:51]
	s_delay_alu instid0(VALU_DEP_2) | instskip(SKIP_1) | instid1(VALU_DEP_2)
	v_dual_cndmask_b32 v48, v48, v52, s0 :: v_dual_cndmask_b32 v36, v49, v53, s0
	v_cmp_gt_f64_e64 s0, 0, v[38:39]
	v_cndmask_b32_e64 v37, 0, v48, s1
	s_and_b32 vcc_lo, s1, vcc_lo
	v_cndmask_b32_e32 v49, 0x3ff00000, v39, vcc_lo
	s_delay_alu instid0(VALU_DEP_1) | instskip(NEXT) | instid1(VALU_DEP_1)
	v_bfi_b32 v36, 0x7fffffff, v36, v49
	v_cndmask_b32_e64 v49, 0x7ff80000, v36, s1
	s_brev_b32 s1, 1
	s_delay_alu instid0(VALU_DEP_1) | instskip(SKIP_3) | instid1(VALU_DEP_1)
	v_cndmask_b32_e64 v49, v36, v49, s0
	v_cndmask_b32_e64 v36, v48, v37, s0
	v_cmp_class_f64_e64 s0, v[38:39], 0x204
	v_and_or_b32 v37, v39, s1, 0x7ff00000
	v_cndmask_b32_e32 v37, 0x7ff00000, v37, vcc_lo
	s_delay_alu instid0(VALU_DEP_3) | instskip(NEXT) | instid1(VALU_DEP_2)
	v_cndmask_b32_e64 v36, v36, 0, s0
	v_cndmask_b32_e64 v37, v49, v37, s0
	s_delay_alu instid0(VALU_DEP_1)
	v_mul_f64_e32 v[4:5], v[36:37], v[4:5]
.LBB1_7:
	s_or_b32 exec_lo, exec_lo, s2
	v_add_f64_e32 v[36:37], 0x40181945b9800000, v[0:1]
	v_cmp_ngt_f64_e32 vcc_lo, 0x40690000, v[0:1]
	v_cmp_ngt_f64_e64 s0, 0x40690000, v[2:3]
                                        ; implicit-def: $vgpr38_vgpr39
	s_delay_alu instid0(VALU_DEP_3) | instskip(SKIP_1) | instid1(SALU_CYCLE_1)
	v_add_f64_e32 v[36:37], -0.5, v[36:37]
	s_or_b32 s0, vcc_lo, s0
	s_and_saveexec_b32 s1, s0
	s_delay_alu instid0(SALU_CYCLE_1)
	s_xor_b32 s2, exec_lo, s1
	s_cbranch_execz .LBB1_9
; %bb.8:
	v_add_f64_e64 v[34:35], v[2:3], -v[0:1]
	s_mov_b64 s[0:1], 0x3fe5555555555555
	v_mul_f64_e32 v[2:3], 0xc0161945b9800000, v[2:3]
	s_delay_alu instid0(VALU_DEP_2) | instskip(NEXT) | instid1(VALU_DEP_1)
	v_add_f64_e32 v[34:35], 0xc0181945b9800000, v[34:35]
	v_add_f64_e32 v[34:35], 0.5, v[34:35]
	s_delay_alu instid0(VALU_DEP_1) | instskip(SKIP_1) | instid1(VALU_DEP_2)
	v_div_scale_f64 v[38:39], null, v[36:37], v[36:37], v[34:35]
	v_div_scale_f64 v[52:53], vcc_lo, v[34:35], v[36:37], v[34:35]
	v_rcp_f64_e32 v[48:49], v[38:39]
	v_nop
	s_delay_alu instid0(TRANS32_DEP_1) | instskip(NEXT) | instid1(VALU_DEP_1)
	v_fma_f64 v[50:51], -v[38:39], v[48:49], 1.0
	v_fmac_f64_e32 v[48:49], v[48:49], v[50:51]
	s_delay_alu instid0(VALU_DEP_1) | instskip(NEXT) | instid1(VALU_DEP_1)
	v_fma_f64 v[50:51], -v[38:39], v[48:49], 1.0
	v_fmac_f64_e32 v[48:49], v[48:49], v[50:51]
	s_delay_alu instid0(VALU_DEP_1) | instskip(NEXT) | instid1(VALU_DEP_1)
	v_mul_f64_e32 v[50:51], v[52:53], v[48:49]
	v_fma_f64 v[38:39], -v[38:39], v[50:51], v[52:53]
	s_delay_alu instid0(VALU_DEP_1) | instskip(NEXT) | instid1(VALU_DEP_1)
	v_div_fmas_f64 v[38:39], v[38:39], v[48:49], v[50:51]
	v_div_fixup_f64 v[34:35], v[38:39], v[36:37], v[34:35]
	s_delay_alu instid0(VALU_DEP_1) | instskip(NEXT) | instid1(VALU_DEP_1)
	v_add_f64_e32 v[38:39], 1.0, v[34:35]
	v_frexp_mant_f64_e32 v[48:49], v[38:39]
	v_frexp_exp_i32_f64_e32 v52, v[38:39]
	v_add_f64_e32 v[50:51], -1.0, v[38:39]
	s_delay_alu instid0(VALU_DEP_3) | instskip(SKIP_1) | instid1(VALU_DEP_2)
	v_cmp_gt_f64_e32 vcc_lo, s[0:1], v[48:49]
	s_mov_b64 s[0:1], 0x3fc3ab76bf559e2b
	v_add_f64_e64 v[48:49], v[50:51], -v[38:39]
	v_add_f64_e64 v[50:51], v[34:35], -v[50:51]
	v_subrev_co_ci_u32_e64 v84, null, 0, v52, vcc_lo
	s_delay_alu instid0(VALU_DEP_3) | instskip(NEXT) | instid1(VALU_DEP_2)
	v_add_f64_e32 v[48:49], 1.0, v[48:49]
	v_sub_nc_u32_e32 v54, 0, v84
	s_delay_alu instid0(VALU_DEP_1) | instskip(NEXT) | instid1(VALU_DEP_3)
	v_ldexp_f64 v[38:39], v[38:39], v54
	v_add_f64_e32 v[48:49], v[50:51], v[48:49]
	s_delay_alu instid0(VALU_DEP_2) | instskip(SKIP_1) | instid1(VALU_DEP_3)
	v_add_f64_e32 v[52:53], 1.0, v[38:39]
	v_add_f64_e32 v[66:67], -1.0, v[38:39]
	v_ldexp_f64 v[48:49], v[48:49], v54
	s_delay_alu instid0(VALU_DEP_3) | instskip(NEXT) | instid1(VALU_DEP_3)
	v_add_f64_e32 v[50:51], -1.0, v[52:53]
	v_add_f64_e32 v[68:69], 1.0, v[66:67]
	s_delay_alu instid0(VALU_DEP_2) | instskip(NEXT) | instid1(VALU_DEP_2)
	v_add_f64_e64 v[50:51], v[38:39], -v[50:51]
	v_add_f64_e64 v[38:39], v[38:39], -v[68:69]
	s_delay_alu instid0(VALU_DEP_2) | instskip(NEXT) | instid1(VALU_DEP_2)
	v_add_f64_e32 v[50:51], v[48:49], v[50:51]
	v_add_f64_e32 v[38:39], v[48:49], v[38:39]
	s_delay_alu instid0(VALU_DEP_2) | instskip(NEXT) | instid1(VALU_DEP_2)
	v_add_f64_e32 v[54:55], v[52:53], v[50:51]
	v_add_f64_e32 v[68:69], v[66:67], v[38:39]
	s_delay_alu instid0(VALU_DEP_2) | instskip(SKIP_1) | instid1(VALU_DEP_2)
	v_rcp_f64_e32 v[64:65], v[54:55]
	v_add_f64_e64 v[52:53], v[54:55], -v[52:53]
	v_add_f64_e64 v[66:67], v[68:69], -v[66:67]
	s_delay_alu instid0(VALU_DEP_2) | instskip(NEXT) | instid1(VALU_DEP_2)
	v_add_f64_e64 v[50:51], v[50:51], -v[52:53]
	v_add_f64_e64 v[38:39], v[38:39], -v[66:67]
	s_delay_alu instid0(TRANS32_DEP_1) | instskip(NEXT) | instid1(VALU_DEP_1)
	v_fma_f64 v[70:71], -v[54:55], v[64:65], 1.0
	v_fmac_f64_e32 v[64:65], v[70:71], v[64:65]
	s_delay_alu instid0(VALU_DEP_1) | instskip(NEXT) | instid1(VALU_DEP_1)
	v_fma_f64 v[48:49], -v[54:55], v[64:65], 1.0
	v_fmac_f64_e32 v[64:65], v[48:49], v[64:65]
	s_delay_alu instid0(VALU_DEP_1) | instskip(NEXT) | instid1(VALU_DEP_1)
	v_mul_f64_e32 v[48:49], v[68:69], v[64:65]
	v_mul_f64_e32 v[70:71], v[54:55], v[48:49]
	s_delay_alu instid0(VALU_DEP_1) | instskip(NEXT) | instid1(VALU_DEP_1)
	v_fma_f64 v[52:53], v[48:49], v[54:55], -v[70:71]
	v_fmac_f64_e32 v[52:53], v[48:49], v[50:51]
	s_delay_alu instid0(VALU_DEP_1) | instskip(NEXT) | instid1(VALU_DEP_1)
	v_add_f64_e32 v[80:81], v[70:71], v[52:53]
	v_add_f64_e64 v[82:83], v[68:69], -v[80:81]
	v_add_f64_e64 v[66:67], v[80:81], -v[70:71]
	s_delay_alu instid0(VALU_DEP_2) | instskip(NEXT) | instid1(VALU_DEP_2)
	v_add_f64_e64 v[68:69], v[68:69], -v[82:83]
	v_add_f64_e64 v[52:53], v[66:67], -v[52:53]
	s_delay_alu instid0(VALU_DEP_2) | instskip(NEXT) | instid1(VALU_DEP_1)
	v_add_f64_e64 v[68:69], v[68:69], -v[80:81]
	v_add_f64_e32 v[38:39], v[38:39], v[68:69]
	s_delay_alu instid0(VALU_DEP_1) | instskip(NEXT) | instid1(VALU_DEP_1)
	v_add_f64_e32 v[38:39], v[52:53], v[38:39]
	v_add_f64_e32 v[52:53], v[82:83], v[38:39]
	s_delay_alu instid0(VALU_DEP_1) | instskip(SKIP_1) | instid1(VALU_DEP_2)
	v_mul_f64_e32 v[66:67], v[64:65], v[52:53]
	v_add_f64_e64 v[80:81], v[82:83], -v[52:53]
	v_mul_f64_e32 v[68:69], v[54:55], v[66:67]
	s_delay_alu instid0(VALU_DEP_2) | instskip(SKIP_1) | instid1(VALU_DEP_3)
	v_add_f64_e32 v[38:39], v[38:39], v[80:81]
	v_div_scale_f64 v[80:81], null, v[36:37], v[36:37], v[2:3]
	v_fma_f64 v[54:55], v[66:67], v[54:55], -v[68:69]
	s_delay_alu instid0(VALU_DEP_1) | instskip(NEXT) | instid1(VALU_DEP_1)
	v_fmac_f64_e32 v[54:55], v[66:67], v[50:51]
	v_add_f64_e32 v[50:51], v[68:69], v[54:55]
	s_delay_alu instid0(VALU_DEP_1) | instskip(SKIP_1) | instid1(VALU_DEP_2)
	v_add_f64_e64 v[70:71], v[52:53], -v[50:51]
	v_add_f64_e64 v[68:69], v[50:51], -v[68:69]
	;; [unrolled: 1-line block ×3, first 2 shown]
	s_delay_alu instid0(VALU_DEP_1) | instskip(NEXT) | instid1(VALU_DEP_3)
	v_add_f64_e64 v[50:51], v[52:53], -v[50:51]
	v_add_f64_e64 v[52:53], v[68:69], -v[54:55]
	s_delay_alu instid0(VALU_DEP_2) | instskip(SKIP_1) | instid1(VALU_DEP_2)
	v_add_f64_e32 v[38:39], v[38:39], v[50:51]
	v_add_f64_e32 v[50:51], v[48:49], v[66:67]
	v_add_f64_e32 v[38:39], v[52:53], v[38:39]
	s_delay_alu instid0(VALU_DEP_2) | instskip(NEXT) | instid1(VALU_DEP_2)
	v_add_f64_e64 v[48:49], v[50:51], -v[48:49]
	v_add_f64_e32 v[38:39], v[70:71], v[38:39]
	s_delay_alu instid0(VALU_DEP_2) | instskip(NEXT) | instid1(VALU_DEP_2)
	v_add_f64_e64 v[48:49], v[66:67], -v[48:49]
	v_mul_f64_e32 v[38:39], v[64:65], v[38:39]
	s_delay_alu instid0(VALU_DEP_1) | instskip(NEXT) | instid1(VALU_DEP_1)
	v_add_f64_e32 v[38:39], v[48:49], v[38:39]
	v_add_f64_e32 v[48:49], v[50:51], v[38:39]
	s_delay_alu instid0(VALU_DEP_1) | instskip(NEXT) | instid1(VALU_DEP_1)
	v_mul_f64_e32 v[52:53], v[48:49], v[48:49]
	v_fmaak_f64 v[54:55], s[0:1], v[52:53], 0x3fc385386b47b09a
	v_mul_f64_e32 v[64:65], v[48:49], v[52:53]
	s_mov_b64 s[0:1], 0x3fe62e42fefa39ef
	s_delay_alu instid0(VALU_DEP_2) | instskip(NEXT) | instid1(VALU_DEP_1)
	v_fmaak_f64 v[54:55], v[52:53], v[54:55], 0x3fc7474dd7f4df2e
	v_fmaak_f64 v[54:55], v[52:53], v[54:55], 0x3fcc71c016291751
	s_delay_alu instid0(VALU_DEP_1) | instskip(NEXT) | instid1(VALU_DEP_1)
	v_fmaak_f64 v[54:55], v[52:53], v[54:55], 0x3fd249249b27acf1
	v_fmaak_f64 v[54:55], v[52:53], v[54:55], 0x3fd99999998ef7b6
	s_delay_alu instid0(VALU_DEP_1) | instskip(SKIP_2) | instid1(VALU_DEP_3)
	v_fmaak_f64 v[52:53], v[52:53], v[54:55], 0x3fe5555555555780
	v_ldexp_f64 v[54:55], v[48:49], 1
	v_add_f64_e64 v[48:49], v[48:49], -v[50:51]
	v_mul_f64_e32 v[52:53], v[64:65], v[52:53]
	v_cvt_f64_i32_e32 v[64:65], v84
	s_delay_alu instid0(VALU_DEP_3) | instskip(NEXT) | instid1(VALU_DEP_3)
	v_add_f64_e64 v[38:39], v[38:39], -v[48:49]
	v_add_f64_e32 v[50:51], v[54:55], v[52:53]
	s_delay_alu instid0(VALU_DEP_2) | instskip(NEXT) | instid1(VALU_DEP_2)
	v_ldexp_f64 v[38:39], v[38:39], 1
	v_add_f64_e64 v[48:49], v[50:51], -v[54:55]
	v_mul_f64_e32 v[54:55], 0x3fe62e42fefa39ef, v[64:65]
	s_delay_alu instid0(VALU_DEP_2) | instskip(NEXT) | instid1(VALU_DEP_2)
	v_add_f64_e64 v[48:49], v[52:53], -v[48:49]
	v_fma_f64 v[52:53], v[64:65], s[0:1], -v[54:55]
	v_cmp_neq_f64_e64 s1, 0x7ff00000, v[34:35]
	v_cmp_nge_f64_e64 s0, -1.0, v[34:35]
	s_delay_alu instid0(VALU_DEP_4) | instskip(NEXT) | instid1(VALU_DEP_4)
	v_add_f64_e32 v[38:39], v[38:39], v[48:49]
	v_fmamk_f64 v[48:49], v[64:65], 0x3c7abc9e3b39803f, v[52:53]
	s_delay_alu instid0(VALU_DEP_1) | instskip(NEXT) | instid1(VALU_DEP_3)
	v_add_f64_e32 v[52:53], v[54:55], v[48:49]
	v_add_f64_e32 v[64:65], v[50:51], v[38:39]
	s_delay_alu instid0(VALU_DEP_2) | instskip(NEXT) | instid1(VALU_DEP_2)
	v_add_f64_e64 v[54:55], v[52:53], -v[54:55]
	v_add_f64_e32 v[66:67], v[52:53], v[64:65]
	v_add_f64_e64 v[50:51], v[64:65], -v[50:51]
	s_delay_alu instid0(VALU_DEP_3) | instskip(SKIP_1) | instid1(VALU_DEP_3)
	v_add_f64_e64 v[48:49], v[48:49], -v[54:55]
	v_rcp_f64_e32 v[54:55], v[80:81]
	v_add_f64_e64 v[68:69], v[66:67], -v[52:53]
	s_delay_alu instid0(VALU_DEP_3) | instskip(NEXT) | instid1(VALU_DEP_2)
	v_add_f64_e64 v[38:39], v[38:39], -v[50:51]
	v_add_f64_e64 v[70:71], v[66:67], -v[68:69]
	;; [unrolled: 1-line block ×3, first 2 shown]
	s_delay_alu instid0(VALU_DEP_3) | instskip(NEXT) | instid1(VALU_DEP_3)
	v_add_f64_e32 v[64:65], v[48:49], v[38:39]
	v_add_f64_e64 v[52:53], v[52:53], -v[70:71]
	s_delay_alu instid0(VALU_DEP_2) | instskip(NEXT) | instid1(VALU_DEP_2)
	v_add_f64_e64 v[68:69], v[64:65], -v[48:49]
	v_add_f64_e32 v[50:51], v[50:51], v[52:53]
	s_delay_alu instid0(TRANS32_DEP_1) | instskip(NEXT) | instid1(VALU_DEP_3)
	v_fma_f64 v[52:53], -v[80:81], v[54:55], 1.0
	v_add_f64_e64 v[38:39], v[38:39], -v[68:69]
	s_delay_alu instid0(VALU_DEP_3) | instskip(NEXT) | instid1(VALU_DEP_3)
	v_add_f64_e32 v[50:51], v[64:65], v[50:51]
	v_fmac_f64_e32 v[54:55], v[54:55], v[52:53]
	v_add_f64_e64 v[52:53], v[64:65], -v[68:69]
	s_delay_alu instid0(VALU_DEP_3) | instskip(NEXT) | instid1(VALU_DEP_3)
	v_add_f64_e32 v[64:65], v[66:67], v[50:51]
	v_fma_f64 v[70:71], -v[80:81], v[54:55], 1.0
	s_delay_alu instid0(VALU_DEP_3) | instskip(NEXT) | instid1(VALU_DEP_3)
	v_add_f64_e64 v[48:49], v[48:49], -v[52:53]
	v_add_f64_e64 v[52:53], v[64:65], -v[66:67]
	v_div_scale_f64 v[66:67], vcc_lo, v[2:3], v[36:37], v[2:3]
	s_delay_alu instid0(VALU_DEP_4) | instskip(NEXT) | instid1(VALU_DEP_4)
	v_fmac_f64_e32 v[54:55], v[54:55], v[70:71]
	v_add_f64_e32 v[38:39], v[38:39], v[48:49]
	s_delay_alu instid0(VALU_DEP_4) | instskip(NEXT) | instid1(VALU_DEP_3)
	v_add_f64_e64 v[48:49], v[50:51], -v[52:53]
	v_mul_f64_e32 v[50:51], v[66:67], v[54:55]
	s_delay_alu instid0(VALU_DEP_2) | instskip(NEXT) | instid1(VALU_DEP_2)
	v_add_f64_e32 v[38:39], v[38:39], v[48:49]
	v_fma_f64 v[48:49], -v[80:81], v[50:51], v[66:67]
	s_delay_alu instid0(VALU_DEP_2) | instskip(NEXT) | instid1(VALU_DEP_2)
	v_add_f64_e32 v[38:39], v[64:65], v[38:39]
	v_div_fmas_f64 v[48:49], v[48:49], v[54:55], v[50:51]
	v_cmp_ngt_f64_e32 vcc_lo, -1.0, v[34:35]
	s_delay_alu instid0(VALU_DEP_3) | instskip(NEXT) | instid1(VALU_DEP_3)
	v_cndmask_b32_e64 v39, 0x7ff00000, v39, s1
	v_div_fixup_f64 v[2:3], v[48:49], v[36:37], v[2:3]
	s_delay_alu instid0(VALU_DEP_2)
	v_cndmask_b32_e32 v39, 0x7ff80000, v39, vcc_lo
	s_and_b32 vcc_lo, s0, s1
	s_mov_b64 s[0:1], 0x3e5ade156a5dcb37
	v_cndmask_b32_e32 v38, 0, v38, vcc_lo
	v_cmp_neq_f64_e32 vcc_lo, -1.0, v[34:35]
	v_cndmask_b32_e32 v39, 0xfff00000, v39, vcc_lo
	s_delay_alu instid0(VALU_DEP_1) | instskip(NEXT) | instid1(VALU_DEP_1)
	v_add_f64_e64 v[34:35], v[38:39], -v[34:35]
	v_fmac_f64_e32 v[2:3], v[0:1], v[34:35]
	s_delay_alu instid0(VALU_DEP_1) | instskip(SKIP_1) | instid1(VALU_DEP_2)
	v_mul_f64_e32 v[0:1], 0x3ff71547652b82fe, v[2:3]
	v_cmp_nlt_f64_e32 vcc_lo, 0x40900000, v[2:3]
	v_rndne_f64_e32 v[0:1], v[0:1]
	s_delay_alu instid0(VALU_DEP_1) | instskip(SKIP_1) | instid1(VALU_DEP_2)
	v_fmamk_f64 v[34:35], v[0:1], 0xbfe62e42fefa39ef, v[2:3]
	v_cvt_i32_f64_e32 v48, v[0:1]
	v_fmamk_f64 v[34:35], v[0:1], 0xbc7abc9e3b39803f, v[34:35]
	s_delay_alu instid0(VALU_DEP_1) | instskip(SKIP_1) | instid1(VALU_DEP_2)
	v_fmaak_f64 v[38:39], s[0:1], v[34:35], 0x3e928af3fca7ab0c
	v_cmp_ngt_f64_e64 s0, 0xc090cc00, v[2:3]
                                        ; implicit-def: $vgpr2_vgpr3
	v_fmaak_f64 v[38:39], v[34:35], v[38:39], 0x3ec71dee623fde64
	s_delay_alu instid0(VALU_DEP_1) | instskip(NEXT) | instid1(VALU_DEP_1)
	v_fmaak_f64 v[38:39], v[34:35], v[38:39], 0x3efa01997c89e6b0
	v_fmaak_f64 v[38:39], v[34:35], v[38:39], 0x3f2a01a014761f6e
	s_delay_alu instid0(VALU_DEP_1) | instskip(NEXT) | instid1(VALU_DEP_1)
	v_fmaak_f64 v[38:39], v[34:35], v[38:39], 0x3f56c16c1852b7b0
	;; [unrolled: 3-line block ×4, first 2 shown]
	v_fma_f64 v[38:39], v[34:35], v[38:39], 1.0
	s_delay_alu instid0(VALU_DEP_1) | instskip(NEXT) | instid1(VALU_DEP_1)
	v_fma_f64 v[0:1], v[34:35], v[38:39], 1.0
                                        ; implicit-def: $vgpr34_vgpr35
	v_ldexp_f64 v[0:1], v[0:1], v48
	s_delay_alu instid0(VALU_DEP_1)
	v_cndmask_b32_e32 v1, 0x7ff00000, v1, vcc_lo
	s_and_b32 vcc_lo, s0, vcc_lo
	s_delay_alu instid0(VALU_DEP_1) | instid1(SALU_CYCLE_1)
	v_dual_cndmask_b32 v38, 0, v0, vcc_lo :: v_dual_cndmask_b32 v39, 0, v1, s0
                                        ; implicit-def: $vgpr0_vgpr1
.LBB1_9:
	s_and_not1_saveexec_b32 s5, s2
	s_cbranch_execz .LBB1_11
; %bb.10:
	s_delay_alu instid0(VALU_DEP_1)
	v_div_scale_f64 v[38:39], null, v[36:37], v[36:37], v[2:3]
	v_div_scale_f64 v[52:53], vcc_lo, v[2:3], v[36:37], v[2:3]
	s_mov_b64 s[0:1], 0x3fe5555555555555
	v_mov_b64_e32 v[82:83], 0x3ec71dee623fde64
	v_rcp_f64_e32 v[48:49], v[38:39]
	v_nop
	s_delay_alu instid0(TRANS32_DEP_1) | instskip(NEXT) | instid1(VALU_DEP_1)
	v_fma_f64 v[50:51], -v[38:39], v[48:49], 1.0
	v_fmac_f64_e32 v[48:49], v[48:49], v[50:51]
	s_delay_alu instid0(VALU_DEP_1) | instskip(NEXT) | instid1(VALU_DEP_1)
	v_fma_f64 v[50:51], -v[38:39], v[48:49], 1.0
	v_fmac_f64_e32 v[48:49], v[48:49], v[50:51]
	s_delay_alu instid0(VALU_DEP_1) | instskip(NEXT) | instid1(VALU_DEP_1)
	v_mul_f64_e32 v[50:51], v[52:53], v[48:49]
	v_fma_f64 v[38:39], -v[38:39], v[50:51], v[52:53]
	s_delay_alu instid0(VALU_DEP_1) | instskip(NEXT) | instid1(VALU_DEP_1)
	v_div_fmas_f64 v[38:39], v[38:39], v[48:49], v[50:51]
	v_div_fixup_f64 v[2:3], v[38:39], v[36:37], v[2:3]
	s_delay_alu instid0(VALU_DEP_1) | instskip(SKIP_2) | instid1(VALU_DEP_1)
	v_cmp_neq_f64_e32 vcc_lo, 1.0, v[2:3]
	v_cndmask_b32_e32 v1, 0x3ff00000, v1, vcc_lo
	v_cndmask_b32_e32 v0, 0, v0, vcc_lo
	v_cmp_neq_f64_e32 vcc_lo, 0, v[0:1]
	v_cmp_neq_f64_e64 s3, v[0:1], |v[0:1]|
	v_cndmask_b32_e32 v3, 0x3ff00000, v3, vcc_lo
	v_cndmask_b32_e32 v2, 0, v2, vcc_lo
	s_delay_alu instid0(VALU_DEP_1) | instskip(SKIP_2) | instid1(VALU_DEP_3)
	v_frexp_mant_f64_e64 v[38:39], |v[2:3]|
	v_cmp_lt_f64_e64 s6, |v[2:3]|, 1.0
	v_cmp_eq_f64_e64 s2, 0, v[2:3]
	v_cmp_gt_f64_e32 vcc_lo, s[0:1], v[38:39]
	s_mov_b64 s[0:1], 0x3fbdee674222de17
	s_xor_b32 s3, s3, s6
	v_cmp_class_f64_e64 s6, v[2:3], 0x204
	v_cndmask_b32_e64 v48, 0, 1, vcc_lo
	s_delay_alu instid0(VALU_DEP_1) | instskip(NEXT) | instid1(VALU_DEP_1)
	v_ldexp_f64 v[38:39], v[38:39], v48
	v_add_f64_e32 v[48:49], 1.0, v[38:39]
	v_add_f64_e32 v[54:55], -1.0, v[38:39]
	s_delay_alu instid0(VALU_DEP_2) | instskip(SKIP_1) | instid1(VALU_DEP_1)
	v_rcp_f64_e32 v[50:51], v[48:49]
	v_add_f64_e32 v[64:65], -1.0, v[48:49]
	v_add_f64_e64 v[38:39], v[38:39], -v[64:65]
	s_delay_alu instid0(TRANS32_DEP_1) | instskip(NEXT) | instid1(VALU_DEP_1)
	v_fma_f64 v[52:53], -v[48:49], v[50:51], 1.0
	v_fmac_f64_e32 v[50:51], v[52:53], v[50:51]
	s_delay_alu instid0(VALU_DEP_1) | instskip(NEXT) | instid1(VALU_DEP_1)
	v_fma_f64 v[52:53], -v[48:49], v[50:51], 1.0
	v_fmac_f64_e32 v[50:51], v[52:53], v[50:51]
	s_delay_alu instid0(VALU_DEP_1) | instskip(NEXT) | instid1(VALU_DEP_1)
	v_mul_f64_e32 v[52:53], v[54:55], v[50:51]
	v_mul_f64_e32 v[66:67], v[48:49], v[52:53]
	s_delay_alu instid0(VALU_DEP_1) | instskip(NEXT) | instid1(VALU_DEP_1)
	v_fma_f64 v[48:49], v[52:53], v[48:49], -v[66:67]
	v_fmac_f64_e32 v[48:49], v[52:53], v[38:39]
	s_delay_alu instid0(VALU_DEP_1) | instskip(NEXT) | instid1(VALU_DEP_1)
	v_add_f64_e32 v[38:39], v[66:67], v[48:49]
	v_add_f64_e64 v[64:65], v[54:55], -v[38:39]
	v_add_f64_e64 v[66:67], v[38:39], -v[66:67]
	s_delay_alu instid0(VALU_DEP_2) | instskip(NEXT) | instid1(VALU_DEP_2)
	v_add_f64_e64 v[54:55], v[54:55], -v[64:65]
	v_add_f64_e64 v[48:49], v[66:67], -v[48:49]
	s_delay_alu instid0(VALU_DEP_2) | instskip(NEXT) | instid1(VALU_DEP_1)
	v_add_f64_e64 v[38:39], v[54:55], -v[38:39]
	v_add_f64_e32 v[38:39], v[48:49], v[38:39]
	s_delay_alu instid0(VALU_DEP_1) | instskip(NEXT) | instid1(VALU_DEP_1)
	v_add_f64_e32 v[38:39], v[64:65], v[38:39]
	v_mul_f64_e32 v[38:39], v[50:51], v[38:39]
	s_delay_alu instid0(VALU_DEP_1) | instskip(NEXT) | instid1(VALU_DEP_1)
	v_add_f64_e32 v[48:49], v[52:53], v[38:39]
	v_add_f64_e64 v[50:51], v[48:49], -v[52:53]
	v_mul_f64_e32 v[52:53], v[48:49], v[48:49]
	s_delay_alu instid0(VALU_DEP_2) | instskip(NEXT) | instid1(VALU_DEP_2)
	v_add_f64_e64 v[38:39], v[38:39], -v[50:51]
	v_fma_f64 v[50:51], v[48:49], v[48:49], -v[52:53]
	s_delay_alu instid0(VALU_DEP_2) | instskip(NEXT) | instid1(VALU_DEP_1)
	v_add_f64_e32 v[54:55], v[38:39], v[38:39]
	v_fmac_f64_e32 v[50:51], v[48:49], v[54:55]
	s_delay_alu instid0(VALU_DEP_1) | instskip(NEXT) | instid1(VALU_DEP_1)
	v_add_f64_e32 v[54:55], v[52:53], v[50:51]
	v_fmaak_f64 v[64:65], s[0:1], v[54:55], 0x3fba6564968915a9
	v_add_f64_e64 v[52:53], v[54:55], -v[52:53]
	v_mul_f64_e32 v[70:71], v[48:49], v[54:55]
	s_mov_b64 s[0:1], 0x3fe62e42fefa39ef
	s_delay_alu instid0(VALU_DEP_3) | instskip(NEXT) | instid1(VALU_DEP_1)
	v_fmaak_f64 v[64:65], v[54:55], v[64:65], 0x3fbe25e43abe935a
	v_fmaak_f64 v[64:65], v[54:55], v[64:65], 0x3fc110ef47e6c9c2
	s_delay_alu instid0(VALU_DEP_1) | instskip(NEXT) | instid1(VALU_DEP_1)
	v_fmaak_f64 v[64:65], v[54:55], v[64:65], 0x3fc3b13bcfa74449
	v_fmaak_f64 v[64:65], v[54:55], v[64:65], 0x3fc745d171bf3c30
	v_add_f64_e64 v[50:51], v[50:51], -v[52:53]
	s_delay_alu instid0(VALU_DEP_2) | instskip(NEXT) | instid1(VALU_DEP_1)
	v_fmaak_f64 v[64:65], v[54:55], v[64:65], 0x3fcc71c71c7792ce
	v_fmaak_f64 v[64:65], v[54:55], v[64:65], 0x3fd24924924920da
	s_delay_alu instid0(VALU_DEP_1) | instskip(NEXT) | instid1(VALU_DEP_1)
	v_fmaak_f64 v[64:65], v[54:55], v[64:65], 0x3fd999999999999c
	v_mul_f64_e32 v[66:67], v[54:55], v[64:65]
	s_delay_alu instid0(VALU_DEP_1) | instskip(NEXT) | instid1(VALU_DEP_1)
	v_fma_f64 v[52:53], v[54:55], v[64:65], -v[66:67]
	v_fmac_f64_e32 v[52:53], v[50:51], v[64:65]
	s_delay_alu instid0(VALU_DEP_1) | instskip(NEXT) | instid1(VALU_DEP_1)
	v_add_f64_e32 v[64:65], v[66:67], v[52:53]
	v_add_f64_e32 v[68:69], 0x3fe5555555555555, v[64:65]
	v_add_f64_e64 v[66:67], v[64:65], -v[66:67]
	s_delay_alu instid0(VALU_DEP_2) | instskip(NEXT) | instid1(VALU_DEP_2)
	v_add_f64_e32 v[80:81], 0xbfe5555555555555, v[68:69]
	v_add_f64_e64 v[52:53], v[52:53], -v[66:67]
	v_fma_f64 v[66:67], v[54:55], v[48:49], -v[70:71]
	s_delay_alu instid0(VALU_DEP_3) | instskip(NEXT) | instid1(VALU_DEP_3)
	v_add_f64_e64 v[64:65], v[64:65], -v[80:81]
	v_add_f64_e32 v[52:53], 0x3c8543b0d5df274d, v[52:53]
	s_delay_alu instid0(VALU_DEP_3) | instskip(SKIP_1) | instid1(VALU_DEP_3)
	v_fmac_f64_e32 v[66:67], v[54:55], v[38:39]
	v_ldexp_f64 v[38:39], v[38:39], 1
	v_add_f64_e32 v[52:53], v[52:53], v[64:65]
	s_delay_alu instid0(VALU_DEP_3) | instskip(SKIP_1) | instid1(VALU_DEP_3)
	v_fmac_f64_e32 v[66:67], v[50:51], v[48:49]
	v_ldexp_f64 v[48:49], v[48:49], 1
	v_add_f64_e32 v[50:51], v[68:69], v[52:53]
	s_delay_alu instid0(VALU_DEP_3) | instskip(NEXT) | instid1(VALU_DEP_2)
	v_add_f64_e32 v[54:55], v[70:71], v[66:67]
	v_add_f64_e64 v[64:65], v[68:69], -v[50:51]
	s_delay_alu instid0(VALU_DEP_2) | instskip(SKIP_1) | instid1(VALU_DEP_3)
	v_mul_f64_e32 v[68:69], v[54:55], v[50:51]
	v_add_f64_e64 v[70:71], v[54:55], -v[70:71]
	v_add_f64_e32 v[52:53], v[52:53], v[64:65]
	s_delay_alu instid0(VALU_DEP_3) | instskip(NEXT) | instid1(VALU_DEP_3)
	v_fma_f64 v[64:65], v[54:55], v[50:51], -v[68:69]
	v_add_f64_e64 v[66:67], v[66:67], -v[70:71]
	s_delay_alu instid0(VALU_DEP_2) | instskip(NEXT) | instid1(VALU_DEP_1)
	v_fmac_f64_e32 v[64:65], v[54:55], v[52:53]
	v_fmac_f64_e32 v[64:65], v[66:67], v[50:51]
	v_frexp_exp_i32_f64_e32 v66, v[2:3]
	s_delay_alu instid0(VALU_DEP_2) | instskip(NEXT) | instid1(VALU_DEP_2)
	v_add_f64_e32 v[50:51], v[68:69], v[64:65]
	v_subrev_co_ci_u32_e64 v66, null, 0, v66, vcc_lo
	s_delay_alu instid0(VALU_DEP_1) | instskip(NEXT) | instid1(VALU_DEP_3)
	v_cvt_f64_i32_e32 v[66:67], v66
	v_add_f64_e32 v[52:53], v[48:49], v[50:51]
	v_add_f64_e64 v[54:55], v[50:51], -v[68:69]
	s_delay_alu instid0(VALU_DEP_2) | instskip(NEXT) | instid1(VALU_DEP_2)
	v_add_f64_e64 v[48:49], v[52:53], -v[48:49]
	v_add_f64_e64 v[54:55], v[64:65], -v[54:55]
	v_mul_f64_e32 v[64:65], 0x3fe62e42fefa39ef, v[66:67]
	s_delay_alu instid0(VALU_DEP_3) | instskip(NEXT) | instid1(VALU_DEP_3)
	v_add_f64_e64 v[48:49], v[50:51], -v[48:49]
	v_add_f64_e32 v[38:39], v[38:39], v[54:55]
	s_delay_alu instid0(VALU_DEP_3) | instskip(NEXT) | instid1(VALU_DEP_2)
	v_fma_f64 v[50:51], v[66:67], s[0:1], -v[64:65]
	v_add_f64_e32 v[38:39], v[38:39], v[48:49]
	s_delay_alu instid0(VALU_DEP_2) | instskip(NEXT) | instid1(VALU_DEP_1)
	v_fmamk_f64 v[48:49], v[66:67], 0x3c7abc9e3b39803f, v[50:51]
	v_add_f64_e32 v[50:51], v[64:65], v[48:49]
	s_delay_alu instid0(VALU_DEP_3) | instskip(NEXT) | instid1(VALU_DEP_2)
	v_add_f64_e32 v[54:55], v[52:53], v[38:39]
	v_add_f64_e64 v[64:65], v[50:51], -v[64:65]
	s_delay_alu instid0(VALU_DEP_2) | instskip(SKIP_1) | instid1(VALU_DEP_3)
	v_add_f64_e32 v[66:67], v[50:51], v[54:55]
	v_add_f64_e64 v[52:53], v[54:55], -v[52:53]
	v_add_f64_e64 v[48:49], v[48:49], -v[64:65]
	s_delay_alu instid0(VALU_DEP_3) | instskip(NEXT) | instid1(VALU_DEP_3)
	v_add_f64_e64 v[68:69], v[66:67], -v[50:51]
	v_add_f64_e64 v[38:39], v[38:39], -v[52:53]
	s_delay_alu instid0(VALU_DEP_2) | instskip(SKIP_1) | instid1(VALU_DEP_3)
	v_add_f64_e64 v[70:71], v[66:67], -v[68:69]
	v_add_f64_e64 v[52:53], v[54:55], -v[68:69]
	v_add_f64_e32 v[54:55], v[48:49], v[38:39]
	s_delay_alu instid0(VALU_DEP_3) | instskip(SKIP_1) | instid1(VALU_DEP_2)
	v_add_f64_e64 v[50:51], v[50:51], -v[70:71]
	v_mov_b64_e32 v[70:71], 0x3e928af3fca7ab0c
	v_add_f64_e32 v[50:51], v[52:53], v[50:51]
	s_delay_alu instid0(VALU_DEP_4) | instskip(NEXT) | instid1(VALU_DEP_2)
	v_add_f64_e64 v[52:53], v[54:55], -v[48:49]
	v_add_f64_e32 v[50:51], v[54:55], v[50:51]
	s_delay_alu instid0(VALU_DEP_2) | instskip(SKIP_1) | instid1(VALU_DEP_3)
	v_add_f64_e64 v[54:55], v[54:55], -v[52:53]
	v_add_f64_e64 v[38:39], v[38:39], -v[52:53]
	v_add_f64_e32 v[64:65], v[66:67], v[50:51]
	s_delay_alu instid0(VALU_DEP_3) | instskip(SKIP_1) | instid1(VALU_DEP_3)
	v_add_f64_e64 v[48:49], v[48:49], -v[54:55]
	v_mul_f64_e32 v[54:55], 0x3ff71547652b82fe, v[34:35]
	v_add_f64_e64 v[52:53], v[64:65], -v[66:67]
	s_delay_alu instid0(VALU_DEP_3) | instskip(NEXT) | instid1(VALU_DEP_3)
	v_add_f64_e32 v[38:39], v[38:39], v[48:49]
	v_rndne_f64_e32 v[54:55], v[54:55]
	s_delay_alu instid0(VALU_DEP_3) | instskip(NEXT) | instid1(VALU_DEP_2)
	v_add_f64_e64 v[48:49], v[50:51], -v[52:53]
	v_fmamk_f64 v[66:67], v[54:55], 0xbfe62e42fefa39ef, v[34:35]
	s_delay_alu instid0(VALU_DEP_1) | instskip(NEXT) | instid1(VALU_DEP_3)
	v_fmac_f64_e32 v[66:67], 0xbc7abc9e3b39803f, v[54:55]
	v_add_f64_e32 v[38:39], v[38:39], v[48:49]
	s_delay_alu instid0(VALU_DEP_2) | instskip(NEXT) | instid1(VALU_DEP_2)
	v_fmamk_f64 v[80:81], v[66:67], 0x3e5ade156a5dcb37, v[70:71]
	v_add_f64_e32 v[48:49], v[64:65], v[38:39]
	s_delay_alu instid0(VALU_DEP_1) | instskip(SKIP_1) | instid1(VALU_DEP_2)
	v_add_f64_e64 v[50:51], v[48:49], -v[64:65]
	v_mul_f64_e32 v[52:53], v[0:1], v[48:49]
	v_add_f64_e64 v[38:39], v[38:39], -v[50:51]
	s_delay_alu instid0(VALU_DEP_2) | instskip(SKIP_1) | instid1(VALU_DEP_2)
	v_fma_f64 v[48:49], v[0:1], v[48:49], -v[52:53]
	v_cmp_class_f64_e64 vcc_lo, v[52:53], 0x204
	v_fmac_f64_e32 v[48:49], v[0:1], v[38:39]
	s_delay_alu instid0(VALU_DEP_1) | instskip(NEXT) | instid1(VALU_DEP_1)
	v_add_f64_e32 v[38:39], v[52:53], v[48:49]
	v_dual_cndmask_b32 v51, v39, v53 :: v_dual_cndmask_b32 v50, v38, v52
	v_add_f64_e64 v[38:39], v[38:39], -v[52:53]
	s_delay_alu instid0(VALU_DEP_2)
	v_mul_f64_e32 v[64:65], 0x3ff71547652b82fe, v[50:51]
	v_cmp_nlt_f64_e64 s0, 0x40900000, v[50:51]
	v_cmp_neq_f64_e64 vcc_lo, 0x7ff00000, |v[50:51]|
	v_cmp_ngt_f64_e64 s1, 0xc090cc00, v[50:51]
	v_add_f64_e64 v[38:39], v[48:49], -v[38:39]
	v_trunc_f64_e32 v[48:49], v[0:1]
	v_rndne_f64_e32 v[64:65], v[64:65]
	s_delay_alu instid0(VALU_DEP_3) | instskip(SKIP_1) | instid1(VALU_DEP_2)
	v_dual_cndmask_b32 v39, 0, v39 :: v_dual_cndmask_b32 v38, 0, v38
	s_and_b32 vcc_lo, s1, s0
	v_fmamk_f64 v[68:69], v[64:65], 0xbfe62e42fefa39ef, v[50:51]
	s_delay_alu instid0(VALU_DEP_1) | instskip(NEXT) | instid1(VALU_DEP_1)
	v_fmac_f64_e32 v[68:69], 0xbc7abc9e3b39803f, v[64:65]
	v_fmac_f64_e32 v[70:71], 0x3e5ade156a5dcb37, v[68:69]
	s_delay_alu instid0(VALU_DEP_1) | instskip(SKIP_1) | instid1(VALU_DEP_1)
	v_fmac_f64_e32 v[82:83], v[68:69], v[70:71]
	v_mov_b64_e32 v[70:71], 0x3efa01997c89e6b0
	v_fmac_f64_e32 v[70:71], v[68:69], v[82:83]
	v_mov_b64_e32 v[82:83], 0x3f2a01a014761f6e
	s_delay_alu instid0(VALU_DEP_1) | instskip(SKIP_1) | instid1(VALU_DEP_1)
	v_fmac_f64_e32 v[82:83], v[68:69], v[70:71]
	v_mov_b64_e32 v[70:71], 0x3f56c16c1852b7b0
	v_fmac_f64_e32 v[70:71], v[68:69], v[82:83]
	v_mov_b64_e32 v[82:83], 0x3f81111111122322
	;; [unrolled: 5-line block ×3, first 2 shown]
	s_delay_alu instid0(VALU_DEP_1) | instskip(SKIP_1) | instid1(VALU_DEP_1)
	v_fmac_f64_e32 v[82:83], v[68:69], v[70:71]
	v_mov_b64_e32 v[70:71], 0x3fe000000000000b
	v_fmac_f64_e32 v[70:71], v[68:69], v[82:83]
	v_cvt_i32_f64_e32 v82, v[64:65]
	s_delay_alu instid0(VALU_DEP_2) | instskip(NEXT) | instid1(VALU_DEP_1)
	v_fma_f64 v[70:71], v[68:69], v[70:71], 1.0
	v_fma_f64 v[64:65], v[68:69], v[70:71], 1.0
	v_fmaak_f64 v[68:69], v[66:67], v[80:81], 0x3ec71dee623fde64
	s_delay_alu instid0(VALU_DEP_1) | instskip(NEXT) | instid1(VALU_DEP_1)
	v_fmaak_f64 v[68:69], v[66:67], v[68:69], 0x3efa01997c89e6b0
	v_fmaak_f64 v[68:69], v[66:67], v[68:69], 0x3f2a01a014761f6e
	s_delay_alu instid0(VALU_DEP_1) | instskip(NEXT) | instid1(VALU_DEP_1)
	v_fmaak_f64 v[68:69], v[66:67], v[68:69], 0x3f56c16c1852b7b0
	v_fmaak_f64 v[68:69], v[66:67], v[68:69], 0x3f81111111122322
	v_ldexp_f64 v[52:53], v[64:65], v82
	v_mul_f64_e32 v[64:65], 0.5, v[0:1]
	s_delay_alu instid0(VALU_DEP_3) | instskip(NEXT) | instid1(VALU_DEP_1)
	v_fmaak_f64 v[68:69], v[66:67], v[68:69], 0x3fa55555555502a1
	v_fmaak_f64 v[68:69], v[66:67], v[68:69], 0x3fc5555555555511
	s_delay_alu instid0(VALU_DEP_4) | instskip(NEXT) | instid1(VALU_DEP_4)
	v_cndmask_b32_e64 v53, 0x7ff00000, v53, s0
	v_trunc_f64_e32 v[50:51], v[64:65]
	v_cndmask_b32_e32 v52, 0, v52, vcc_lo
	v_cmp_eq_f64_e32 vcc_lo, v[48:49], v[0:1]
	v_fmaak_f64 v[48:49], v[66:67], v[68:69], 0x3fe000000000000b
	v_cndmask_b32_e64 v53, 0, v53, s1
	s_delay_alu instid0(VALU_DEP_1) | instskip(SKIP_1) | instid1(VALU_DEP_4)
	v_fma_f64 v[38:39], v[52:53], v[38:39], v[52:53]
	v_cmp_class_f64_e64 s1, v[52:53], 0x204
	v_fma_f64 v[48:49], v[66:67], v[48:49], 1.0
	v_cmp_neq_f64_e64 s0, v[50:51], v[64:65]
	s_delay_alu instid0(VALU_DEP_3)
	v_dual_cndmask_b32 v51, v38, v52, s1 :: v_dual_cndmask_b32 v38, v39, v53, s1
	v_cmp_gt_f64_e64 s1, 0, v[0:1]
	v_cvt_i32_f64_e32 v52, v[54:55]
	v_cndmask_b32_e64 v53, 0x7ff00000, 0, s3
	v_cmp_neq_f64_e64 s3, |v[2:3]|, 1.0
	s_and_b32 s0, vcc_lo, s0
	s_delay_alu instid0(SALU_CYCLE_1) | instskip(NEXT) | instid1(VALU_DEP_1)
	v_cndmask_b32_e64 v50, 0x3ff00000, v3, s0
	v_bfi_b32 v50, 0x7fffffff, v38, v50
	v_fma_f64 v[38:39], v[66:67], v[48:49], 1.0
	v_cndmask_b32_e32 v49, 0, v51, vcc_lo
	s_delay_alu instid0(VALU_DEP_3) | instskip(SKIP_3) | instid1(VALU_DEP_4)
	v_cndmask_b32_e32 v48, 0x7ff80000, v50, vcc_lo
	v_cmp_gt_f64_e32 vcc_lo, 0, v[2:3]
	s_xor_b32 s1, s1, s2
	s_or_b32 s2, s2, s6
	v_ldexp_f64 v[38:39], v[38:39], v52
	v_cndmask_b32_e64 v52, 0x3ff00000, v53, s3
	v_dual_cndmask_b32 v49, v51, v49 :: v_dual_cndmask_b32 v48, v50, v48
	v_cmp_class_f64_e64 vcc_lo, v[0:1], 0x204
	v_cndmask_b32_e64 v0, 0x7ff00000, 0, s1
	v_cndmask_b32_e64 v1, 0, v3, s0
	v_cmp_nlt_f64_e64 s0, 0x40900000, v[34:35]
	v_cmp_ngt_f64_e64 s1, 0xc090cc00, v[34:35]
	s_delay_alu instid0(VALU_DEP_3) | instskip(SKIP_1) | instid1(VALU_DEP_4)
	v_bfi_b32 v0, 0x7fffffff, v0, v1
	v_cndmask_b32_e32 v1, v48, v52, vcc_lo
	v_cndmask_b32_e64 v39, 0x7ff00000, v39, s0
	s_and_b32 s0, s1, s0
	s_delay_alu instid0(VALU_DEP_2) | instskip(SKIP_4) | instid1(VALU_DEP_2)
	v_cndmask_b32_e64 v34, v1, v0, s2
	s_or_b32 s2, s2, vcc_lo
	v_cmp_o_f64_e32 vcc_lo, v[2:3], v[2:3]
	v_cndmask_b32_e64 v35, v49, 0, s2
	v_dual_cndmask_b32 v1, 0, v39, s1 :: v_dual_cndmask_b32 v0, 0, v38, s0
	v_cndmask_b32_e32 v2, 0, v35, vcc_lo
	v_cndmask_b32_e32 v3, 0x7ff80000, v34, vcc_lo
	s_delay_alu instid0(VALU_DEP_1)
	v_mul_f64_e32 v[38:39], v[0:1], v[2:3]
.LBB1_11:
	s_or_b32 exec_lo, exec_lo, s5
	s_wait_loadcnt 0xb
	v_fmac_f64_e32 v[30:31], v[8:9], v[32:33]
	s_mov_b64 s[0:1], 0x4005bf0a8b145769
	s_delay_alu instid0(VALU_DEP_2) | instid1(SALU_CYCLE_1)
	v_div_scale_f64 v[0:1], null, s[0:1], s[0:1], v[36:37]
	s_wait_loadcnt 0xa
	s_delay_alu instid0(VALU_DEP_2) | instskip(NEXT) | instid1(VALU_DEP_2)
	v_fmac_f64_e32 v[26:27], v[8:9], v[30:31]
	v_rcp_f64_e32 v[2:3], v[0:1]
	s_wait_loadcnt 0x9
	s_delay_alu instid0(VALU_DEP_1) | instskip(SKIP_1) | instid1(VALU_DEP_1)
	v_fmac_f64_e32 v[22:23], v[8:9], v[26:27]
	s_wait_loadcnt 0x8
	v_fmac_f64_e32 v[28:29], v[8:9], v[22:23]
	s_delay_alu instid0(TRANS32_DEP_1) | instskip(SKIP_1) | instid1(VALU_DEP_2)
	v_fma_f64 v[22:23], -v[0:1], v[2:3], 1.0
	s_wait_loadcnt 0x7
	v_fmac_f64_e32 v[24:25], v[8:9], v[28:29]
	s_delay_alu instid0(VALU_DEP_2) | instskip(SKIP_1) | instid1(VALU_DEP_2)
	v_fmac_f64_e32 v[2:3], v[2:3], v[22:23]
	s_wait_loadcnt 0x6
	v_fmac_f64_e32 v[20:21], v[8:9], v[24:25]
	s_delay_alu instid0(VALU_DEP_2) | instskip(SKIP_1) | instid1(VALU_DEP_2)
	v_fma_f64 v[22:23], -v[0:1], v[2:3], 1.0
	s_wait_loadcnt 0x5
	v_fmac_f64_e32 v[16:17], v[8:9], v[20:21]
	v_div_scale_f64 v[20:21], vcc_lo, v[36:37], s[0:1], v[36:37]
	s_delay_alu instid0(VALU_DEP_3) | instskip(SKIP_1) | instid1(VALU_DEP_3)
	v_fmac_f64_e32 v[2:3], v[2:3], v[22:23]
	s_wait_loadcnt 0x4
	v_fmac_f64_e32 v[14:15], v[8:9], v[16:17]
	s_delay_alu instid0(VALU_DEP_2) | instskip(SKIP_1) | instid1(VALU_DEP_2)
	v_mul_f64_e32 v[16:17], v[20:21], v[2:3]
	s_wait_loadcnt 0x3
	v_fmac_f64_e32 v[18:19], v[8:9], v[14:15]
	s_delay_alu instid0(VALU_DEP_2) | instskip(SKIP_1) | instid1(VALU_DEP_2)
	v_fma_f64 v[0:1], -v[0:1], v[16:17], v[20:21]
	s_wait_loadcnt 0x2
	v_fmac_f64_e32 v[12:13], v[8:9], v[18:19]
	s_delay_alu instid0(VALU_DEP_2) | instskip(SKIP_1) | instid1(VALU_DEP_2)
	v_div_fmas_f64 v[0:1], v[0:1], v[2:3], v[16:17]
	s_wait_loadcnt 0x1
	v_fmac_f64_e32 v[10:11], v[8:9], v[12:13]
	s_delay_alu instid0(VALU_DEP_2) | instskip(SKIP_1) | instid1(VALU_DEP_2)
	v_div_fixup_f64 v[0:1], v[0:1], s[0:1], v[36:37]
	s_wait_loadcnt 0x0
	v_fmac_f64_e32 v[6:7], v[8:9], v[10:11]
	s_delay_alu instid0(VALU_DEP_2) | instskip(NEXT) | instid1(VALU_DEP_2)
	v_cmp_gt_f64_e64 s0, 0x10000000, v[0:1]
	v_div_scale_f64 v[18:19], vcc_lo, v[4:5], v[6:7], v[4:5]
	s_delay_alu instid0(VALU_DEP_2) | instskip(NEXT) | instid1(VALU_DEP_1)
	v_cndmask_b32_e64 v2, 0, 0x100, s0
	v_ldexp_f64 v[0:1], v[0:1], v2
	v_div_scale_f64 v[2:3], null, v[6:7], v[6:7], v[4:5]
	s_delay_alu instid0(VALU_DEP_2) | instskip(NEXT) | instid1(VALU_DEP_1)
	v_rsq_f64_e32 v[8:9], v[0:1]
	v_rcp_f64_e32 v[10:11], v[2:3]
	s_delay_alu instid0(TRANS32_DEP_2) | instskip(SKIP_1) | instid1(TRANS32_DEP_1)
	v_mul_f64_e32 v[12:13], v[0:1], v[8:9]
	v_mul_f64_e32 v[8:9], 0.5, v[8:9]
	v_fma_f64 v[14:15], -v[2:3], v[10:11], 1.0
	s_delay_alu instid0(VALU_DEP_2) | instskip(NEXT) | instid1(VALU_DEP_2)
	v_fma_f64 v[16:17], -v[8:9], v[12:13], 0.5
	v_fmac_f64_e32 v[10:11], v[10:11], v[14:15]
	s_delay_alu instid0(VALU_DEP_2) | instskip(SKIP_1) | instid1(VALU_DEP_3)
	v_fmac_f64_e32 v[12:13], v[12:13], v[16:17]
	v_fmac_f64_e32 v[8:9], v[8:9], v[16:17]
	v_fma_f64 v[14:15], -v[2:3], v[10:11], 1.0
	s_delay_alu instid0(VALU_DEP_3) | instskip(NEXT) | instid1(VALU_DEP_2)
	v_fma_f64 v[16:17], -v[12:13], v[12:13], v[0:1]
	v_fmac_f64_e32 v[10:11], v[10:11], v[14:15]
	s_delay_alu instid0(VALU_DEP_2) | instskip(NEXT) | instid1(VALU_DEP_1)
	v_fmac_f64_e32 v[12:13], v[16:17], v[8:9]
	v_fma_f64 v[16:17], -v[12:13], v[12:13], v[0:1]
	s_delay_alu instid0(VALU_DEP_1) | instskip(SKIP_1) | instid1(VALU_DEP_1)
	v_fmac_f64_e32 v[12:13], v[16:17], v[8:9]
	v_cndmask_b32_e64 v8, 0, 0xffffff80, s0
	v_ldexp_f64 v[8:9], v[12:13], v8
	v_mul_f64_e32 v[14:15], v[18:19], v[10:11]
	s_delay_alu instid0(VALU_DEP_1) | instskip(NEXT) | instid1(VALU_DEP_1)
	v_fma_f64 v[2:3], -v[2:3], v[14:15], v[18:19]
	v_div_fmas_f64 v[2:3], v[2:3], v[10:11], v[14:15]
	v_cmp_class_f64_e64 vcc_lo, v[0:1], 0x260
	s_delay_alu instid0(VALU_DEP_2) | instskip(SKIP_1) | instid1(VALU_DEP_1)
	v_div_fixup_f64 v[2:3], v[2:3], v[6:7], v[4:5]
	v_dual_cndmask_b32 v1, v9, v1 :: v_dual_cndmask_b32 v0, v8, v0
	v_div_scale_f64 v[4:5], null, v[2:3], v[2:3], v[0:1]
	s_delay_alu instid0(VALU_DEP_1) | instskip(SKIP_1) | instid1(TRANS32_DEP_1)
	v_rcp_f64_e32 v[6:7], v[4:5]
	v_nop
	v_fma_f64 v[8:9], -v[4:5], v[6:7], 1.0
	s_delay_alu instid0(VALU_DEP_1) | instskip(NEXT) | instid1(VALU_DEP_1)
	v_fmac_f64_e32 v[6:7], v[6:7], v[8:9]
	v_fma_f64 v[8:9], -v[4:5], v[6:7], 1.0
	s_delay_alu instid0(VALU_DEP_1) | instskip(SKIP_1) | instid1(VALU_DEP_1)
	v_fmac_f64_e32 v[6:7], v[6:7], v[8:9]
	v_div_scale_f64 v[8:9], vcc_lo, v[0:1], v[2:3], v[0:1]
	v_mul_f64_e32 v[10:11], v[8:9], v[6:7]
	s_delay_alu instid0(VALU_DEP_1) | instskip(NEXT) | instid1(VALU_DEP_1)
	v_fma_f64 v[4:5], -v[4:5], v[10:11], v[8:9]
	v_div_fmas_f64 v[4:5], v[4:5], v[6:7], v[10:11]
                                        ; implicit-def: $vgpr6
	s_delay_alu instid0(VALU_DEP_1) | instskip(NEXT) | instid1(VALU_DEP_1)
	v_div_fixup_f64 v[0:1], v[4:5], v[2:3], v[0:1]
                                        ; implicit-def: $vgpr2_vgpr3
	v_mul_f64_e32 v[4:5], v[0:1], v[38:39]
                                        ; implicit-def: $vgpr0_vgpr1
	s_and_not1_saveexec_b32 s3, s4
	s_cbranch_execz .LBB1_2
.LBB1_12:
	v_and_b32_e32 v7, 0x7fffffff, v1
                                        ; implicit-def: $vgpr4_vgpr5
	s_mov_b32 s0, exec_lo
	s_delay_alu instid0(VALU_DEP_1)
	v_cmpx_lt_u32_e32 0x3f6fffff, v7
	s_xor_b32 s4, exec_lo, s0
	s_cbranch_execz .LBB1_38
; %bb.13:
                                        ; implicit-def: $vgpr4_vgpr5
	s_mov_b32 s0, exec_lo
	v_cmpx_lt_u32_e32 0x3fffffff, v7
	s_xor_b32 s1, exec_lo, s0
	s_cbranch_execz .LBB1_23
; %bb.14:
                                        ; implicit-def: $vgpr4_vgpr5
	s_mov_b32 s0, exec_lo
	;; [unrolled: 6-line block ×3, first 2 shown]
	v_cmpx_lt_u32_e32 0x438fffff, v7
	s_xor_b32 s5, exec_lo, s0
	s_cbranch_execz .LBB1_17
; %bb.16:
	v_frexp_mant_f64_e64 v[4:5], |v[0:1]|
	s_mov_b64 s[6:7], 0x3fe5555555555555
	v_cmp_neq_f64_e64 s0, 0, v[0:1]
	s_delay_alu instid0(VALU_DEP_2) | instskip(SKIP_2) | instid1(VALU_DEP_1)
	v_cmp_gt_f64_e32 vcc_lo, s[6:7], v[4:5]
	s_mov_b64 s[6:7], 0x3fc3ab76bf559e2b
	v_cndmask_b32_e64 v8, 0, 1, vcc_lo
	v_ldexp_f64 v[4:5], v[4:5], v8
	s_delay_alu instid0(VALU_DEP_1) | instskip(SKIP_1) | instid1(VALU_DEP_2)
	v_add_f64_e32 v[8:9], 1.0, v[4:5]
	v_add_f64_e32 v[14:15], -1.0, v[4:5]
	v_rcp_f64_e32 v[10:11], v[8:9]
	v_add_f64_e32 v[16:17], -1.0, v[8:9]
	s_delay_alu instid0(VALU_DEP_1) | instskip(NEXT) | instid1(TRANS32_DEP_1)
	v_add_f64_e64 v[4:5], v[4:5], -v[16:17]
	v_fma_f64 v[12:13], -v[8:9], v[10:11], 1.0
	s_delay_alu instid0(VALU_DEP_1) | instskip(NEXT) | instid1(VALU_DEP_1)
	v_fmac_f64_e32 v[10:11], v[12:13], v[10:11]
	v_fma_f64 v[12:13], -v[8:9], v[10:11], 1.0
	s_delay_alu instid0(VALU_DEP_1) | instskip(NEXT) | instid1(VALU_DEP_1)
	v_fmac_f64_e32 v[10:11], v[12:13], v[10:11]
	v_mul_f64_e32 v[12:13], v[14:15], v[10:11]
	s_delay_alu instid0(VALU_DEP_1) | instskip(NEXT) | instid1(VALU_DEP_1)
	v_mul_f64_e32 v[18:19], v[8:9], v[12:13]
	v_fma_f64 v[8:9], v[12:13], v[8:9], -v[18:19]
	s_delay_alu instid0(VALU_DEP_1) | instskip(NEXT) | instid1(VALU_DEP_1)
	v_fmac_f64_e32 v[8:9], v[12:13], v[4:5]
	v_add_f64_e32 v[4:5], v[18:19], v[8:9]
	s_delay_alu instid0(VALU_DEP_1) | instskip(SKIP_1) | instid1(VALU_DEP_2)
	v_add_f64_e64 v[16:17], v[14:15], -v[4:5]
	v_add_f64_e64 v[18:19], v[4:5], -v[18:19]
	v_add_f64_e64 v[14:15], v[14:15], -v[16:17]
	s_delay_alu instid0(VALU_DEP_2) | instskip(NEXT) | instid1(VALU_DEP_2)
	v_add_f64_e64 v[8:9], v[18:19], -v[8:9]
	v_add_f64_e64 v[4:5], v[14:15], -v[4:5]
	s_delay_alu instid0(VALU_DEP_1) | instskip(NEXT) | instid1(VALU_DEP_1)
	v_add_f64_e32 v[4:5], v[8:9], v[4:5]
	v_add_f64_e32 v[4:5], v[16:17], v[4:5]
	s_delay_alu instid0(VALU_DEP_1) | instskip(NEXT) | instid1(VALU_DEP_1)
	v_mul_f64_e32 v[4:5], v[10:11], v[4:5]
	v_add_f64_e32 v[8:9], v[12:13], v[4:5]
	s_delay_alu instid0(VALU_DEP_1) | instskip(NEXT) | instid1(VALU_DEP_1)
	v_mul_f64_e32 v[10:11], v[8:9], v[8:9]
	v_fmaak_f64 v[14:15], s[6:7], v[10:11], 0x3fc385386b47b09a
	v_mul_f64_e32 v[16:17], v[8:9], v[10:11]
	s_mov_b64 s[6:7], 0x3fe62e42fefa39ef
	s_delay_alu instid0(VALU_DEP_2) | instskip(NEXT) | instid1(VALU_DEP_1)
	v_fmaak_f64 v[14:15], v[10:11], v[14:15], 0x3fc7474dd7f4df2e
	v_fmaak_f64 v[14:15], v[10:11], v[14:15], 0x3fcc71c016291751
	s_delay_alu instid0(VALU_DEP_1) | instskip(NEXT) | instid1(VALU_DEP_1)
	v_fmaak_f64 v[14:15], v[10:11], v[14:15], 0x3fd249249b27acf1
	v_fmaak_f64 v[14:15], v[10:11], v[14:15], 0x3fd99999998ef7b6
	s_delay_alu instid0(VALU_DEP_1) | instskip(SKIP_2) | instid1(VALU_DEP_3)
	v_fmaak_f64 v[10:11], v[10:11], v[14:15], 0x3fe5555555555780
	v_ldexp_f64 v[14:15], v[8:9], 1
	v_add_f64_e64 v[8:9], v[8:9], -v[12:13]
	v_mul_f64_e32 v[10:11], v[16:17], v[10:11]
	v_frexp_exp_i32_f64_e32 v16, v[0:1]
	s_delay_alu instid0(VALU_DEP_3) | instskip(NEXT) | instid1(VALU_DEP_3)
	v_add_f64_e64 v[4:5], v[4:5], -v[8:9]
	v_add_f64_e32 v[12:13], v[14:15], v[10:11]
	s_delay_alu instid0(VALU_DEP_3) | instskip(SKIP_1) | instid1(VALU_DEP_2)
	v_subrev_co_ci_u32_e64 v16, null, 0, v16, vcc_lo
	v_cmp_neq_f64_e64 vcc_lo, 0x7ff00000, |v[0:1]|
	v_cvt_f64_i32_e32 v[16:17], v16
	v_ldexp_f64 v[4:5], v[4:5], 1
	v_add_f64_e64 v[8:9], v[12:13], -v[14:15]
	s_delay_alu instid0(VALU_DEP_3) | instskip(NEXT) | instid1(VALU_DEP_2)
	v_mul_f64_e32 v[14:15], 0x3fe62e42fefa39ef, v[16:17]
	v_add_f64_e64 v[8:9], v[10:11], -v[8:9]
	s_delay_alu instid0(VALU_DEP_2) | instskip(NEXT) | instid1(VALU_DEP_2)
	v_fma_f64 v[10:11], v[16:17], s[6:7], -v[14:15]
	v_add_f64_e32 v[4:5], v[4:5], v[8:9]
	s_delay_alu instid0(VALU_DEP_2) | instskip(NEXT) | instid1(VALU_DEP_1)
	v_fmamk_f64 v[8:9], v[16:17], 0x3c7abc9e3b39803f, v[10:11]
	v_add_f64_e32 v[10:11], v[14:15], v[8:9]
	s_delay_alu instid0(VALU_DEP_3) | instskip(NEXT) | instid1(VALU_DEP_2)
	v_add_f64_e32 v[16:17], v[12:13], v[4:5]
	v_add_f64_e64 v[14:15], v[10:11], -v[14:15]
	s_delay_alu instid0(VALU_DEP_2) | instskip(SKIP_1) | instid1(VALU_DEP_3)
	v_add_f64_e32 v[18:19], v[10:11], v[16:17]
	v_add_f64_e64 v[12:13], v[16:17], -v[12:13]
	v_add_f64_e64 v[8:9], v[8:9], -v[14:15]
	s_delay_alu instid0(VALU_DEP_3) | instskip(NEXT) | instid1(VALU_DEP_3)
	v_add_f64_e64 v[20:21], v[18:19], -v[10:11]
	v_add_f64_e64 v[4:5], v[4:5], -v[12:13]
	s_delay_alu instid0(VALU_DEP_2) | instskip(SKIP_1) | instid1(VALU_DEP_3)
	v_add_f64_e64 v[22:23], v[18:19], -v[20:21]
	v_add_f64_e64 v[12:13], v[16:17], -v[20:21]
	v_add_f64_e32 v[14:15], v[8:9], v[4:5]
	s_delay_alu instid0(VALU_DEP_3) | instskip(NEXT) | instid1(VALU_DEP_1)
	v_add_f64_e64 v[10:11], v[10:11], -v[22:23]
	v_add_f64_e32 v[10:11], v[12:13], v[10:11]
	s_delay_alu instid0(VALU_DEP_3) | instskip(NEXT) | instid1(VALU_DEP_2)
	v_add_f64_e64 v[12:13], v[14:15], -v[8:9]
	v_add_f64_e32 v[10:11], v[14:15], v[10:11]
	s_delay_alu instid0(VALU_DEP_2) | instskip(SKIP_1) | instid1(VALU_DEP_3)
	v_add_f64_e64 v[14:15], v[14:15], -v[12:13]
	v_add_f64_e64 v[4:5], v[4:5], -v[12:13]
	v_add_f64_e32 v[16:17], v[18:19], v[10:11]
	s_delay_alu instid0(VALU_DEP_3) | instskip(NEXT) | instid1(VALU_DEP_2)
	v_add_f64_e64 v[8:9], v[8:9], -v[14:15]
	v_add_f64_e64 v[12:13], v[16:17], -v[18:19]
	s_delay_alu instid0(VALU_DEP_2) | instskip(NEXT) | instid1(VALU_DEP_2)
	v_add_f64_e32 v[4:5], v[4:5], v[8:9]
	v_add_f64_e64 v[8:9], v[10:11], -v[12:13]
	s_delay_alu instid0(VALU_DEP_1) | instskip(NEXT) | instid1(VALU_DEP_1)
	v_add_f64_e32 v[4:5], v[4:5], v[8:9]
	v_add_f64_e32 v[4:5], v[16:17], v[4:5]
	s_delay_alu instid0(VALU_DEP_1) | instskip(SKIP_1) | instid1(VALU_DEP_2)
	v_cndmask_b32_e32 v5, 0x7ff00000, v5, vcc_lo
	s_and_b32 vcc_lo, s0, vcc_lo
	v_cndmask_b32_e32 v4, 0, v4, vcc_lo
	s_delay_alu instid0(VALU_DEP_2) | instskip(NEXT) | instid1(VALU_DEP_1)
	v_cndmask_b32_e64 v5, 0xfff00000, v5, s0
	v_fma_f64 v[4:5], |v[0:1]|, v[4:5], -|v[0:1]|
.LBB1_17:
	s_and_not1_saveexec_b32 s5, s5
	s_cbranch_execz .LBB1_19
; %bb.18:
	v_frexp_mant_f64_e64 v[4:5], |v[0:1]|
	s_mov_b64 s[6:7], 0x3fe5555555555555
	v_and_b32_e32 v21, 0x7fffffff, v1
	v_cmp_neq_f64_e64 s0, 0, v[0:1]
	v_mov_b32_e32 v20, v0
	s_delay_alu instid0(VALU_DEP_1) | instskip(SKIP_2) | instid1(VALU_DEP_2)
	v_div_scale_f64 v[22:23], null, v[20:21], v[20:21], 1.0
	v_cmp_gt_f64_e32 vcc_lo, s[6:7], v[4:5]
	s_mov_b64 s[6:7], 0x3fc3ab76bf559e2b
	v_rcp_f64_e32 v[26:27], v[22:23]
	v_cndmask_b32_e64 v8, 0, 1, vcc_lo
	s_delay_alu instid0(VALU_DEP_1) | instskip(NEXT) | instid1(TRANS32_DEP_1)
	v_ldexp_f64 v[4:5], v[4:5], v8
	v_fma_f64 v[30:31], -v[22:23], v[26:27], 1.0
	s_delay_alu instid0(VALU_DEP_2) | instskip(SKIP_1) | instid1(VALU_DEP_3)
	v_add_f64_e32 v[8:9], 1.0, v[4:5]
	v_add_f64_e32 v[14:15], -1.0, v[4:5]
	v_fmac_f64_e32 v[26:27], v[26:27], v[30:31]
	s_delay_alu instid0(VALU_DEP_3) | instskip(SKIP_1) | instid1(VALU_DEP_1)
	v_rcp_f64_e32 v[10:11], v[8:9]
	v_add_f64_e32 v[16:17], -1.0, v[8:9]
	v_add_f64_e64 v[4:5], v[4:5], -v[16:17]
	s_delay_alu instid0(TRANS32_DEP_1) | instskip(NEXT) | instid1(VALU_DEP_1)
	v_fma_f64 v[12:13], -v[8:9], v[10:11], 1.0
	v_fmac_f64_e32 v[10:11], v[12:13], v[10:11]
	s_delay_alu instid0(VALU_DEP_1) | instskip(NEXT) | instid1(VALU_DEP_1)
	v_fma_f64 v[12:13], -v[8:9], v[10:11], 1.0
	v_fmac_f64_e32 v[10:11], v[12:13], v[10:11]
	s_delay_alu instid0(VALU_DEP_1) | instskip(NEXT) | instid1(VALU_DEP_1)
	v_mul_f64_e32 v[12:13], v[14:15], v[10:11]
	v_mul_f64_e32 v[18:19], v[8:9], v[12:13]
	s_delay_alu instid0(VALU_DEP_1) | instskip(NEXT) | instid1(VALU_DEP_1)
	v_fma_f64 v[8:9], v[12:13], v[8:9], -v[18:19]
	v_fmac_f64_e32 v[8:9], v[12:13], v[4:5]
	s_delay_alu instid0(VALU_DEP_1) | instskip(NEXT) | instid1(VALU_DEP_1)
	v_add_f64_e32 v[4:5], v[18:19], v[8:9]
	v_add_f64_e64 v[16:17], v[14:15], -v[4:5]
	v_add_f64_e64 v[18:19], v[4:5], -v[18:19]
	s_delay_alu instid0(VALU_DEP_2) | instskip(NEXT) | instid1(VALU_DEP_2)
	v_add_f64_e64 v[14:15], v[14:15], -v[16:17]
	v_add_f64_e64 v[8:9], v[18:19], -v[8:9]
	s_delay_alu instid0(VALU_DEP_2) | instskip(NEXT) | instid1(VALU_DEP_1)
	v_add_f64_e64 v[4:5], v[14:15], -v[4:5]
	v_add_f64_e32 v[4:5], v[8:9], v[4:5]
	s_delay_alu instid0(VALU_DEP_1) | instskip(NEXT) | instid1(VALU_DEP_1)
	v_add_f64_e32 v[4:5], v[16:17], v[4:5]
	v_mul_f64_e32 v[4:5], v[10:11], v[4:5]
	s_delay_alu instid0(VALU_DEP_1) | instskip(NEXT) | instid1(VALU_DEP_1)
	v_add_f64_e32 v[8:9], v[12:13], v[4:5]
	v_mul_f64_e32 v[10:11], v[8:9], v[8:9]
	s_delay_alu instid0(VALU_DEP_1) | instskip(SKIP_2) | instid1(VALU_DEP_2)
	v_fmaak_f64 v[14:15], s[6:7], v[10:11], 0x3fc385386b47b09a
	v_mul_f64_e32 v[16:17], v[8:9], v[10:11]
	s_mov_b64 s[6:7], 0x3fe62e42fefa39ef
	v_fmaak_f64 v[14:15], v[10:11], v[14:15], 0x3fc7474dd7f4df2e
	s_delay_alu instid0(VALU_DEP_1) | instskip(NEXT) | instid1(VALU_DEP_1)
	v_fmaak_f64 v[14:15], v[10:11], v[14:15], 0x3fcc71c016291751
	v_fmaak_f64 v[14:15], v[10:11], v[14:15], 0x3fd249249b27acf1
	s_delay_alu instid0(VALU_DEP_1) | instskip(NEXT) | instid1(VALU_DEP_1)
	v_fmaak_f64 v[14:15], v[10:11], v[14:15], 0x3fd99999998ef7b6
	v_fmaak_f64 v[10:11], v[10:11], v[14:15], 0x3fe5555555555780
	v_ldexp_f64 v[14:15], v[8:9], 1
	v_add_f64_e64 v[8:9], v[8:9], -v[12:13]
	s_delay_alu instid0(VALU_DEP_3) | instskip(SKIP_1) | instid1(VALU_DEP_3)
	v_mul_f64_e32 v[10:11], v[16:17], v[10:11]
	v_frexp_exp_i32_f64_e32 v16, v[0:1]
	v_add_f64_e64 v[4:5], v[4:5], -v[8:9]
	s_delay_alu instid0(VALU_DEP_3) | instskip(NEXT) | instid1(VALU_DEP_3)
	v_add_f64_e32 v[12:13], v[14:15], v[10:11]
	v_subrev_co_ci_u32_e64 v16, null, 0, v16, vcc_lo
	v_div_scale_f64 v[20:21], vcc_lo, 1.0, v[20:21], 1.0
	s_delay_alu instid0(VALU_DEP_2) | instskip(SKIP_2) | instid1(VALU_DEP_3)
	v_cvt_f64_i32_e32 v[16:17], v16
	v_ldexp_f64 v[4:5], v[4:5], 1
	v_add_f64_e64 v[8:9], v[12:13], -v[14:15]
	v_mul_f64_e32 v[14:15], 0x3fe62e42fefa39ef, v[16:17]
	s_delay_alu instid0(VALU_DEP_2) | instskip(NEXT) | instid1(VALU_DEP_2)
	v_add_f64_e64 v[8:9], v[10:11], -v[8:9]
	v_fma_f64 v[10:11], v[16:17], s[6:7], -v[14:15]
	s_mov_b64 s[6:7], 0xbf5ab89d0b9e43e4
	s_delay_alu instid0(VALU_DEP_2) | instskip(NEXT) | instid1(VALU_DEP_2)
	v_add_f64_e32 v[4:5], v[4:5], v[8:9]
	v_fmamk_f64 v[8:9], v[16:17], 0x3c7abc9e3b39803f, v[10:11]
	s_delay_alu instid0(VALU_DEP_1) | instskip(NEXT) | instid1(VALU_DEP_3)
	v_add_f64_e32 v[10:11], v[14:15], v[8:9]
	v_add_f64_e32 v[16:17], v[12:13], v[4:5]
	s_delay_alu instid0(VALU_DEP_2) | instskip(NEXT) | instid1(VALU_DEP_2)
	v_add_f64_e64 v[14:15], v[10:11], -v[14:15]
	v_add_f64_e32 v[18:19], v[10:11], v[16:17]
	v_add_f64_e64 v[12:13], v[16:17], -v[12:13]
	s_delay_alu instid0(VALU_DEP_3) | instskip(NEXT) | instid1(VALU_DEP_3)
	v_add_f64_e64 v[8:9], v[8:9], -v[14:15]
	v_add_f64_e64 v[24:25], v[18:19], -v[10:11]
	s_delay_alu instid0(VALU_DEP_3) | instskip(NEXT) | instid1(VALU_DEP_2)
	v_add_f64_e64 v[4:5], v[4:5], -v[12:13]
	v_add_f64_e64 v[28:29], v[18:19], -v[24:25]
	v_add_f64_e64 v[12:13], v[16:17], -v[24:25]
	s_delay_alu instid0(VALU_DEP_3) | instskip(NEXT) | instid1(VALU_DEP_3)
	v_add_f64_e32 v[14:15], v[8:9], v[4:5]
	v_add_f64_e64 v[10:11], v[10:11], -v[28:29]
	s_delay_alu instid0(VALU_DEP_2) | instskip(NEXT) | instid1(VALU_DEP_2)
	v_add_f64_e64 v[16:17], v[14:15], -v[8:9]
	v_add_f64_e32 v[10:11], v[12:13], v[10:11]
	v_fma_f64 v[12:13], -v[22:23], v[26:27], 1.0
	s_delay_alu instid0(VALU_DEP_3) | instskip(NEXT) | instid1(VALU_DEP_3)
	v_add_f64_e64 v[4:5], v[4:5], -v[16:17]
	v_add_f64_e32 v[10:11], v[14:15], v[10:11]
	s_delay_alu instid0(VALU_DEP_3) | instskip(SKIP_1) | instid1(VALU_DEP_3)
	v_fmac_f64_e32 v[26:27], v[26:27], v[12:13]
	v_add_f64_e64 v[12:13], v[14:15], -v[16:17]
	v_add_f64_e32 v[14:15], v[18:19], v[10:11]
	s_delay_alu instid0(VALU_DEP_3) | instskip(NEXT) | instid1(VALU_DEP_3)
	v_mul_f64_e32 v[24:25], v[20:21], v[26:27]
	v_add_f64_e64 v[8:9], v[8:9], -v[12:13]
	s_delay_alu instid0(VALU_DEP_3) | instskip(NEXT) | instid1(VALU_DEP_3)
	v_add_f64_e64 v[12:13], v[14:15], -v[18:19]
	v_fma_f64 v[16:17], -v[22:23], v[24:25], v[20:21]
	s_delay_alu instid0(VALU_DEP_3) | instskip(NEXT) | instid1(VALU_DEP_3)
	v_add_f64_e32 v[4:5], v[4:5], v[8:9]
	v_add_f64_e64 v[8:9], v[10:11], -v[12:13]
	s_delay_alu instid0(VALU_DEP_3) | instskip(SKIP_1) | instid1(VALU_DEP_3)
	v_div_fmas_f64 v[10:11], v[16:17], v[26:27], v[24:25]
	v_cmp_neq_f64_e64 vcc_lo, 0x7ff00000, |v[0:1]|
	v_add_f64_e32 v[4:5], v[4:5], v[8:9]
	s_delay_alu instid0(VALU_DEP_3) | instskip(NEXT) | instid1(VALU_DEP_2)
	v_div_fixup_f64 v[8:9], v[10:11], |v[0:1]|, 1.0
	v_add_f64_e32 v[4:5], v[14:15], v[4:5]
	s_delay_alu instid0(VALU_DEP_2) | instskip(SKIP_1) | instid1(VALU_DEP_3)
	v_mul_f64_e32 v[10:11], v[8:9], v[8:9]
	v_add_f64_e64 v[14:15], |v[0:1]|, -0.5
	v_add_f64_e32 v[12:13], -1.0, v[4:5]
	s_delay_alu instid0(VALU_DEP_3) | instskip(NEXT) | instid1(VALU_DEP_1)
	v_fmaak_f64 v[4:5], s[6:7], v[10:11], 0x3f4b67ba4cdad5d1
	v_fmaak_f64 v[4:5], v[10:11], v[4:5], 0xbf4380cb8c0fe741
	s_delay_alu instid0(VALU_DEP_1) | instskip(NEXT) | instid1(VALU_DEP_1)
	v_fmaak_f64 v[4:5], v[10:11], v[4:5], 0x3f4a019f98cf38b6
	v_fmaak_f64 v[4:5], v[10:11], v[4:5], 0xbf66c16c16b02e5c
	s_delay_alu instid0(VALU_DEP_1) | instskip(SKIP_2) | instid1(VALU_DEP_2)
	v_fmaak_f64 v[4:5], v[10:11], v[4:5], 0x3fb555555555553b
	v_cndmask_b32_e32 v13, 0x7ff00000, v13, vcc_lo
	s_and_b32 vcc_lo, s0, vcc_lo
	v_fmaak_f64 v[4:5], v[8:9], v[4:5], 0x3fdacfe390c97d69
	s_delay_alu instid0(VALU_DEP_2) | instskip(SKIP_1) | instid1(VALU_DEP_1)
	v_cndmask_b32_e64 v9, 0xfff00000, v13, s0
	v_cndmask_b32_e32 v8, 0, v12, vcc_lo
	v_fmac_f64_e32 v[4:5], v[14:15], v[8:9]
.LBB1_19:
	s_or_b32 exec_lo, exec_lo, s5
.LBB1_20:
	s_and_not1_saveexec_b32 s2, s2
	s_cbranch_execz .LBB1_22
; %bb.21:
	v_cvt_i32_f64_e32 v6, v[6:7]
	s_mov_b64 s[6:7], 0x3fe5555555555555
	s_delay_alu instid0(VALU_DEP_1) | instskip(SKIP_2) | instid1(VALU_DEP_3)
	v_cvt_f64_i32_e32 v[4:5], v6
	v_cmp_lt_i32_e64 s0, 3, v6
	v_cmp_lt_i32_e32 vcc_lo, 2, v6
	v_add_f64_e64 v[4:5], |v[0:1]|, -v[4:5]
	s_delay_alu instid0(VALU_DEP_1) | instskip(NEXT) | instid1(VALU_DEP_1)
	v_add_f64_e32 v[10:11], 0x40080000, v[4:5]
	v_dual_add_f64 v[8:9], 2.0, v[4:5] :: v_dual_cndmask_b32 v10, 0, v10, s0
	s_delay_alu instid0(VALU_DEP_1) | instskip(NEXT) | instid1(VALU_DEP_2)
	v_cndmask_b32_e32 v9, 0x3ff00000, v9, vcc_lo
	v_cndmask_b32_e32 v8, 0, v8, vcc_lo
	s_delay_alu instid0(VALU_DEP_4) | instskip(SKIP_1) | instid1(VALU_DEP_2)
	v_cndmask_b32_e64 v11, 0x3ff00000, v11, s0
	v_cmp_lt_i32_e32 vcc_lo, 4, v6
	v_mul_f64_e32 v[8:9], v[8:9], v[10:11]
	v_add_f64_e32 v[10:11], 0x40140000, v[4:5]
	v_add_f64_e32 v[12:13], 4.0, v[4:5]
	s_delay_alu instid0(VALU_DEP_1) | instskip(NEXT) | instid1(VALU_DEP_2)
	v_cndmask_b32_e32 v13, 0x3ff00000, v13, vcc_lo
	v_cndmask_b32_e32 v12, 0, v12, vcc_lo
	v_cmp_lt_i32_e32 vcc_lo, 5, v6
	s_delay_alu instid0(VALU_DEP_2) | instskip(SKIP_4) | instid1(VALU_DEP_2)
	v_mul_f64_e32 v[8:9], v[12:13], v[8:9]
	v_add_f64_e32 v[12:13], 0x40180000, v[4:5]
	v_cndmask_b32_e32 v11, 0x3ff00000, v11, vcc_lo
	v_cndmask_b32_e32 v10, 0, v10, vcc_lo
	v_cmp_lt_i32_e32 vcc_lo, 6, v6
	v_mul_f64_e32 v[8:9], v[10:11], v[8:9]
	v_cndmask_b32_e32 v11, 0x3ff00000, v13, vcc_lo
	v_cndmask_b32_e32 v10, 0, v12, vcc_lo
	s_delay_alu instid0(VALU_DEP_1) | instskip(NEXT) | instid1(VALU_DEP_1)
	v_mul_f64_e32 v[8:9], v[10:11], v[8:9]
	v_frexp_mant_f64_e32 v[10:11], v[8:9]
	s_delay_alu instid0(VALU_DEP_1) | instskip(SKIP_2) | instid1(VALU_DEP_1)
	v_cmp_gt_f64_e32 vcc_lo, s[6:7], v[10:11]
	s_mov_b64 s[6:7], 0x3fc3ab76bf559e2b
	v_cndmask_b32_e64 v6, 0, 1, vcc_lo
	v_ldexp_f64 v[10:11], v[10:11], v6
	v_frexp_exp_i32_f64_e32 v6, v[8:9]
	s_delay_alu instid0(VALU_DEP_2) | instskip(SKIP_1) | instid1(VALU_DEP_3)
	v_add_f64_e32 v[12:13], 1.0, v[10:11]
	v_add_f64_e32 v[18:19], -1.0, v[10:11]
	v_subrev_co_ci_u32_e64 v6, null, 0, v6, vcc_lo
	s_delay_alu instid0(VALU_DEP_3) | instskip(SKIP_1) | instid1(VALU_DEP_1)
	v_rcp_f64_e32 v[14:15], v[12:13]
	v_add_f64_e32 v[20:21], -1.0, v[12:13]
	v_add_f64_e64 v[10:11], v[10:11], -v[20:21]
	s_delay_alu instid0(TRANS32_DEP_1) | instskip(NEXT) | instid1(VALU_DEP_1)
	v_fma_f64 v[16:17], -v[12:13], v[14:15], 1.0
	v_fmac_f64_e32 v[14:15], v[16:17], v[14:15]
	s_delay_alu instid0(VALU_DEP_1) | instskip(NEXT) | instid1(VALU_DEP_1)
	v_fma_f64 v[16:17], -v[12:13], v[14:15], 1.0
	v_fmac_f64_e32 v[14:15], v[16:17], v[14:15]
	s_delay_alu instid0(VALU_DEP_1) | instskip(NEXT) | instid1(VALU_DEP_1)
	v_mul_f64_e32 v[16:17], v[18:19], v[14:15]
	v_mul_f64_e32 v[22:23], v[12:13], v[16:17]
	s_delay_alu instid0(VALU_DEP_1) | instskip(NEXT) | instid1(VALU_DEP_1)
	v_fma_f64 v[12:13], v[16:17], v[12:13], -v[22:23]
	v_fmac_f64_e32 v[12:13], v[16:17], v[10:11]
	s_delay_alu instid0(VALU_DEP_1) | instskip(NEXT) | instid1(VALU_DEP_1)
	v_add_f64_e32 v[10:11], v[22:23], v[12:13]
	v_add_f64_e64 v[20:21], v[18:19], -v[10:11]
	v_add_f64_e64 v[22:23], v[10:11], -v[22:23]
	s_delay_alu instid0(VALU_DEP_2) | instskip(NEXT) | instid1(VALU_DEP_2)
	v_add_f64_e64 v[18:19], v[18:19], -v[20:21]
	v_add_f64_e64 v[12:13], v[22:23], -v[12:13]
	s_delay_alu instid0(VALU_DEP_2) | instskip(NEXT) | instid1(VALU_DEP_1)
	v_add_f64_e64 v[10:11], v[18:19], -v[10:11]
	v_add_f64_e32 v[10:11], v[12:13], v[10:11]
	s_delay_alu instid0(VALU_DEP_1) | instskip(NEXT) | instid1(VALU_DEP_1)
	v_add_f64_e32 v[10:11], v[20:21], v[10:11]
	v_mul_f64_e32 v[10:11], v[14:15], v[10:11]
	s_delay_alu instid0(VALU_DEP_1) | instskip(NEXT) | instid1(VALU_DEP_1)
	v_add_f64_e32 v[12:13], v[16:17], v[10:11]
	v_mul_f64_e32 v[14:15], v[12:13], v[12:13]
	s_delay_alu instid0(VALU_DEP_1) | instskip(SKIP_2) | instid1(VALU_DEP_2)
	v_fmaak_f64 v[18:19], s[6:7], v[14:15], 0x3fc385386b47b09a
	v_mul_f64_e32 v[20:21], v[12:13], v[14:15]
	s_mov_b64 s[6:7], 0x3fe62e42fefa39ef
	v_fmaak_f64 v[18:19], v[14:15], v[18:19], 0x3fc7474dd7f4df2e
	s_delay_alu instid0(VALU_DEP_1) | instskip(NEXT) | instid1(VALU_DEP_1)
	v_fmaak_f64 v[18:19], v[14:15], v[18:19], 0x3fcc71c016291751
	v_fmaak_f64 v[18:19], v[14:15], v[18:19], 0x3fd249249b27acf1
	s_delay_alu instid0(VALU_DEP_1) | instskip(NEXT) | instid1(VALU_DEP_1)
	v_fmaak_f64 v[18:19], v[14:15], v[18:19], 0x3fd99999998ef7b6
	v_fmaak_f64 v[14:15], v[14:15], v[18:19], 0x3fe5555555555780
	v_ldexp_f64 v[18:19], v[12:13], 1
	v_add_f64_e64 v[12:13], v[12:13], -v[16:17]
	s_delay_alu instid0(VALU_DEP_3) | instskip(SKIP_1) | instid1(VALU_DEP_3)
	v_mul_f64_e32 v[14:15], v[20:21], v[14:15]
	v_cvt_f64_i32_e32 v[20:21], v6
	v_add_f64_e64 v[10:11], v[10:11], -v[12:13]
	s_delay_alu instid0(VALU_DEP_3) | instskip(NEXT) | instid1(VALU_DEP_2)
	v_add_f64_e32 v[16:17], v[18:19], v[14:15]
	v_ldexp_f64 v[10:11], v[10:11], 1
	s_delay_alu instid0(VALU_DEP_2) | instskip(SKIP_1) | instid1(VALU_DEP_2)
	v_add_f64_e64 v[12:13], v[16:17], -v[18:19]
	v_mul_f64_e32 v[18:19], 0x3fe62e42fefa39ef, v[20:21]
	v_add_f64_e64 v[12:13], v[14:15], -v[12:13]
	s_delay_alu instid0(VALU_DEP_2) | instskip(SKIP_1) | instid1(SALU_CYCLE_1)
	v_fma_f64 v[14:15], v[20:21], s[6:7], -v[18:19]
	s_mov_b64 s[6:7], 0x3f00bfecdd17e945
	v_fmaak_f64 v[22:23], s[6:7], v[4:5], 0x3f5e26b67368f239
	s_mov_b64 s[6:7], 0x3edebaf7a5b38140
	s_delay_alu instid0(VALU_DEP_1) | instskip(NEXT) | instid1(VALU_DEP_1)
	v_fmaak_f64 v[22:23], v[4:5], v[22:23], 0x3f9b481c7e939961
	v_fmaak_f64 v[22:23], v[4:5], v[22:23], 0x3fc2bb9cbee5f2f7
	s_delay_alu instid0(VALU_DEP_1) | instskip(SKIP_3) | instid1(VALU_DEP_4)
	v_fmaak_f64 v[22:23], v[4:5], v[22:23], 0x3fd4d98f4f139f59
	v_add_f64_e32 v[10:11], v[10:11], v[12:13]
	v_fmaak_f64 v[12:13], s[6:7], v[4:5], 0x3f497ddaca41a95b
	v_fmamk_f64 v[14:15], v[20:21], 0x3c7abc9e3b39803f, v[14:15]
	v_fmaak_f64 v[20:21], v[4:5], v[22:23], 0x3fcb848b36e20878
	s_delay_alu instid0(VALU_DEP_3) | instskip(NEXT) | instid1(VALU_DEP_3)
	v_fmaak_f64 v[12:13], v[4:5], v[12:13], 0x3f9317ea742ed475
	v_add_f64_e32 v[22:23], v[18:19], v[14:15]
	s_delay_alu instid0(VALU_DEP_3) | instskip(NEXT) | instid1(VALU_DEP_3)
	v_fmaak_f64 v[20:21], v[4:5], v[20:21], 0xbfb3c467e37db0c8
	v_fmaak_f64 v[12:13], v[4:5], v[12:13], 0x3fc601edccfbdf27
	s_delay_alu instid0(VALU_DEP_2) | instskip(NEXT) | instid1(VALU_DEP_2)
	v_mul_f64_e32 v[20:21], v[4:5], v[20:21]
	v_fmaak_f64 v[12:13], v[4:5], v[12:13], 0x3fe71a1893d3dcdc
	s_delay_alu instid0(VALU_DEP_1) | instskip(SKIP_1) | instid1(VALU_DEP_2)
	v_fmaak_f64 v[12:13], v[4:5], v[12:13], 0x3ff645a762c4ab74
	v_add_f64_e32 v[24:25], v[16:17], v[10:11]
	v_fma_f64 v[12:13], v[4:5], v[12:13], 1.0
	v_add_f64_e64 v[18:19], v[22:23], -v[18:19]
	s_delay_alu instid0(VALU_DEP_3) | instskip(SKIP_1) | instid1(VALU_DEP_4)
	v_add_f64_e32 v[26:27], v[22:23], v[24:25]
	v_add_f64_e64 v[16:17], v[24:25], -v[16:17]
	v_div_scale_f64 v[28:29], null, v[12:13], v[12:13], v[20:21]
	s_delay_alu instid0(VALU_DEP_4) | instskip(NEXT) | instid1(VALU_DEP_4)
	v_add_f64_e64 v[14:15], v[14:15], -v[18:19]
	v_add_f64_e64 v[30:31], v[26:27], -v[22:23]
	s_delay_alu instid0(VALU_DEP_4) | instskip(NEXT) | instid1(VALU_DEP_4)
	v_add_f64_e64 v[10:11], v[10:11], -v[16:17]
	v_rcp_f64_e32 v[32:33], v[28:29]
	s_delay_alu instid0(VALU_DEP_2) | instskip(SKIP_2) | instid1(TRANS32_DEP_1)
	v_add_f64_e64 v[34:35], v[26:27], -v[30:31]
	v_add_f64_e64 v[16:17], v[24:25], -v[30:31]
	v_div_scale_f64 v[30:31], vcc_lo, v[20:21], v[12:13], v[20:21]
	v_fma_f64 v[36:37], -v[28:29], v[32:33], 1.0
	s_delay_alu instid0(VALU_DEP_4) | instskip(SKIP_1) | instid1(VALU_DEP_3)
	v_add_f64_e64 v[18:19], v[22:23], -v[34:35]
	v_add_f64_e32 v[22:23], v[14:15], v[10:11]
	v_fmac_f64_e32 v[32:33], v[32:33], v[36:37]
	s_delay_alu instid0(VALU_DEP_3) | instskip(NEXT) | instid1(VALU_DEP_3)
	v_add_f64_e32 v[16:17], v[16:17], v[18:19]
	v_add_f64_e64 v[24:25], v[22:23], -v[14:15]
	s_delay_alu instid0(VALU_DEP_3) | instskip(NEXT) | instid1(VALU_DEP_3)
	v_fma_f64 v[18:19], -v[28:29], v[32:33], 1.0
	v_add_f64_e32 v[16:17], v[22:23], v[16:17]
	s_delay_alu instid0(VALU_DEP_3) | instskip(NEXT) | instid1(VALU_DEP_3)
	v_add_f64_e64 v[10:11], v[10:11], -v[24:25]
	v_fmac_f64_e32 v[32:33], v[32:33], v[18:19]
	v_add_f64_e64 v[18:19], v[22:23], -v[24:25]
	s_delay_alu instid0(VALU_DEP_4) | instskip(NEXT) | instid1(VALU_DEP_3)
	v_add_f64_e32 v[22:23], v[26:27], v[16:17]
	v_mul_f64_e32 v[34:35], v[30:31], v[32:33]
	s_delay_alu instid0(VALU_DEP_3) | instskip(NEXT) | instid1(VALU_DEP_3)
	v_add_f64_e64 v[14:15], v[14:15], -v[18:19]
	v_add_f64_e64 v[18:19], v[22:23], -v[26:27]
	s_delay_alu instid0(VALU_DEP_3) | instskip(NEXT) | instid1(VALU_DEP_3)
	v_fma_f64 v[24:25], -v[28:29], v[34:35], v[30:31]
	v_add_f64_e32 v[10:11], v[10:11], v[14:15]
	s_delay_alu instid0(VALU_DEP_3) | instskip(NEXT) | instid1(VALU_DEP_3)
	v_add_f64_e64 v[14:15], v[16:17], -v[18:19]
	v_div_fmas_f64 v[16:17], v[24:25], v[32:33], v[34:35]
	v_cmp_class_f64_e64 vcc_lo, v[8:9], 0x204
	s_delay_alu instid0(VALU_DEP_3) | instskip(NEXT) | instid1(VALU_DEP_3)
	v_add_f64_e32 v[10:11], v[10:11], v[14:15]
	v_div_fixup_f64 v[12:13], v[16:17], v[12:13], v[20:21]
	s_delay_alu instid0(VALU_DEP_2) | instskip(NEXT) | instid1(VALU_DEP_2)
	v_add_f64_e32 v[10:11], v[22:23], v[10:11]
	v_fmac_f64_e32 v[12:13], 0.5, v[4:5]
	s_delay_alu instid0(VALU_DEP_2) | instskip(SKIP_1) | instid1(VALU_DEP_2)
	v_dual_cndmask_b32 v4, v10, v8 :: v_dual_cndmask_b32 v5, v11, v9
	v_cmp_ngt_f64_e32 vcc_lo, 0, v[8:9]
	v_cndmask_b32_e32 v5, 0x7ff80000, v5, vcc_lo
	v_cmp_nge_f64_e32 vcc_lo, 0, v[8:9]
	s_delay_alu instid0(VALU_DEP_4) | instskip(SKIP_1) | instid1(VALU_DEP_4)
	v_cndmask_b32_e32 v4, 0, v4, vcc_lo
	v_cmp_neq_f64_e32 vcc_lo, 0, v[8:9]
	v_cndmask_b32_e32 v5, 0xfff00000, v5, vcc_lo
	s_delay_alu instid0(VALU_DEP_1)
	v_add_f64_e32 v[4:5], v[12:13], v[4:5]
.LBB1_22:
	s_or_b32 exec_lo, exec_lo, s2
.LBB1_23:
	s_and_not1_saveexec_b32 s5, s1
	s_cbranch_execz .LBB1_37
; %bb.24:
                                        ; implicit-def: $vgpr6
                                        ; implicit-def: $vgpr8_vgpr9
	s_mov_b32 s0, exec_lo
	v_cmpx_lt_u32_e32 0x3feccccc, v7
	s_xor_b32 s1, exec_lo, s0
	s_cbranch_execz .LBB1_26
; %bb.25:
	s_mov_b64 s[6:7], 0xbff762d86356be3f
	v_add_f64_e64 v[4:5], -|v[0:1]|, 2.0
	v_add_f64_e64 v[8:9], |v[0:1]|, s[6:7]
	v_add_f64_e64 v[10:11], |v[0:1]|, -1.0
	v_cmp_gt_u32_e32 vcc_lo, 0x3ffbb4c3, v7
	v_cmp_gt_u32_e64 s0, 0x3ff3b4c4, v7
	v_cndmask_b32_e64 v6, 0, 1, vcc_lo
	s_delay_alu instid0(VALU_DEP_1) | instskip(SKIP_1) | instid1(VALU_DEP_1)
	v_cndmask_b32_e64 v6, v6, 2, s0
	v_dual_cndmask_b32 v4, v4, v8 :: v_dual_cndmask_b32 v5, v5, v9
	v_dual_cndmask_b32 v8, v4, v10, s0 :: v_dual_cndmask_b32 v9, v5, v11, s0
.LBB1_26:
	s_or_saveexec_b32 s6, s1
	v_mov_b64_e32 v[4:5], 0
	s_xor_b32 exec_lo, exec_lo, s6
	s_cbranch_execz .LBB1_28
; %bb.27:
	v_frexp_mant_f64_e64 v[4:5], |v[0:1]|
	s_mov_b64 s[0:1], 0x3fe5555555555555
	v_cmp_gt_u32_e64 s2, 0x3fcda661, v7
	s_delay_alu instid0(VALU_DEP_2) | instskip(SKIP_2) | instid1(VALU_DEP_1)
	v_cmp_gt_f64_e32 vcc_lo, s[0:1], v[4:5]
	s_mov_b64 s[0:1], 0x3fc3ab76bf559e2b
	v_cndmask_b32_e64 v6, 0, 1, vcc_lo
	v_ldexp_f64 v[4:5], v[4:5], v6
	v_frexp_exp_i32_f64_e32 v6, v[0:1]
	s_delay_alu instid0(VALU_DEP_2) | instskip(SKIP_1) | instid1(VALU_DEP_3)
	v_add_f64_e32 v[8:9], 1.0, v[4:5]
	v_add_f64_e32 v[14:15], -1.0, v[4:5]
	v_subrev_co_ci_u32_e64 v6, null, 0, v6, vcc_lo
	v_cmp_neq_f64_e64 vcc_lo, 0x7ff00000, |v[0:1]|
	s_delay_alu instid0(VALU_DEP_4) | instskip(SKIP_1) | instid1(VALU_DEP_1)
	v_rcp_f64_e32 v[10:11], v[8:9]
	v_add_f64_e32 v[16:17], -1.0, v[8:9]
	v_add_f64_e64 v[4:5], v[4:5], -v[16:17]
	s_delay_alu instid0(TRANS32_DEP_1) | instskip(NEXT) | instid1(VALU_DEP_1)
	v_fma_f64 v[12:13], -v[8:9], v[10:11], 1.0
	v_fmac_f64_e32 v[10:11], v[12:13], v[10:11]
	s_delay_alu instid0(VALU_DEP_1) | instskip(NEXT) | instid1(VALU_DEP_1)
	v_fma_f64 v[12:13], -v[8:9], v[10:11], 1.0
	v_fmac_f64_e32 v[10:11], v[12:13], v[10:11]
	s_delay_alu instid0(VALU_DEP_1) | instskip(NEXT) | instid1(VALU_DEP_1)
	v_mul_f64_e32 v[12:13], v[14:15], v[10:11]
	v_mul_f64_e32 v[18:19], v[8:9], v[12:13]
	s_delay_alu instid0(VALU_DEP_1) | instskip(NEXT) | instid1(VALU_DEP_1)
	v_fma_f64 v[8:9], v[12:13], v[8:9], -v[18:19]
	v_fmac_f64_e32 v[8:9], v[12:13], v[4:5]
	s_delay_alu instid0(VALU_DEP_1) | instskip(NEXT) | instid1(VALU_DEP_1)
	v_add_f64_e32 v[4:5], v[18:19], v[8:9]
	v_add_f64_e64 v[16:17], v[14:15], -v[4:5]
	v_add_f64_e64 v[18:19], v[4:5], -v[18:19]
	s_delay_alu instid0(VALU_DEP_2) | instskip(NEXT) | instid1(VALU_DEP_2)
	v_add_f64_e64 v[14:15], v[14:15], -v[16:17]
	v_add_f64_e64 v[8:9], v[18:19], -v[8:9]
	s_delay_alu instid0(VALU_DEP_2) | instskip(NEXT) | instid1(VALU_DEP_1)
	v_add_f64_e64 v[4:5], v[14:15], -v[4:5]
	v_add_f64_e32 v[4:5], v[8:9], v[4:5]
	s_delay_alu instid0(VALU_DEP_1) | instskip(NEXT) | instid1(VALU_DEP_1)
	v_add_f64_e32 v[4:5], v[16:17], v[4:5]
	v_mul_f64_e32 v[4:5], v[10:11], v[4:5]
	s_delay_alu instid0(VALU_DEP_1) | instskip(NEXT) | instid1(VALU_DEP_1)
	v_add_f64_e32 v[8:9], v[12:13], v[4:5]
	v_mul_f64_e32 v[10:11], v[8:9], v[8:9]
	s_delay_alu instid0(VALU_DEP_1) | instskip(SKIP_2) | instid1(VALU_DEP_2)
	v_fmaak_f64 v[14:15], s[0:1], v[10:11], 0x3fc385386b47b09a
	v_mul_f64_e32 v[16:17], v[8:9], v[10:11]
	s_mov_b64 s[0:1], 0x3fe62e42fefa39ef
	v_fmaak_f64 v[14:15], v[10:11], v[14:15], 0x3fc7474dd7f4df2e
	s_delay_alu instid0(VALU_DEP_1) | instskip(NEXT) | instid1(VALU_DEP_1)
	v_fmaak_f64 v[14:15], v[10:11], v[14:15], 0x3fcc71c016291751
	v_fmaak_f64 v[14:15], v[10:11], v[14:15], 0x3fd249249b27acf1
	s_delay_alu instid0(VALU_DEP_1) | instskip(NEXT) | instid1(VALU_DEP_1)
	v_fmaak_f64 v[14:15], v[10:11], v[14:15], 0x3fd99999998ef7b6
	v_fmaak_f64 v[10:11], v[10:11], v[14:15], 0x3fe5555555555780
	v_ldexp_f64 v[14:15], v[8:9], 1
	v_add_f64_e64 v[8:9], v[8:9], -v[12:13]
	s_delay_alu instid0(VALU_DEP_3) | instskip(SKIP_2) | instid1(VALU_DEP_4)
	v_mul_f64_e32 v[10:11], v[16:17], v[10:11]
	v_cvt_f64_i32_e32 v[16:17], v6
	v_and_b32_e32 v6, 0x7fffffff, v1
	v_add_f64_e64 v[4:5], v[4:5], -v[8:9]
	s_delay_alu instid0(VALU_DEP_4) | instskip(NEXT) | instid1(VALU_DEP_2)
	v_add_f64_e32 v[12:13], v[14:15], v[10:11]
	v_ldexp_f64 v[4:5], v[4:5], 1
	s_delay_alu instid0(VALU_DEP_2) | instskip(SKIP_1) | instid1(VALU_DEP_2)
	v_add_f64_e64 v[8:9], v[12:13], -v[14:15]
	v_mul_f64_e32 v[14:15], 0x3fe62e42fefa39ef, v[16:17]
	v_add_f64_e64 v[8:9], v[10:11], -v[8:9]
	s_delay_alu instid0(VALU_DEP_2) | instskip(SKIP_1) | instid1(VALU_DEP_2)
	v_fma_f64 v[10:11], v[16:17], s[0:1], -v[14:15]
	s_mov_b64 s[0:1], 0xbfdd8b618d5af8fc
	v_add_f64_e32 v[4:5], v[4:5], v[8:9]
	s_delay_alu instid0(VALU_DEP_2) | instskip(NEXT) | instid1(VALU_DEP_1)
	v_fmamk_f64 v[8:9], v[16:17], 0x3c7abc9e3b39803f, v[10:11]
	v_add_f64_e32 v[10:11], v[14:15], v[8:9]
	s_delay_alu instid0(VALU_DEP_3) | instskip(NEXT) | instid1(VALU_DEP_2)
	v_add_f64_e32 v[16:17], v[12:13], v[4:5]
	v_add_f64_e64 v[14:15], v[10:11], -v[14:15]
	s_delay_alu instid0(VALU_DEP_2) | instskip(SKIP_1) | instid1(VALU_DEP_3)
	v_add_f64_e32 v[18:19], v[10:11], v[16:17]
	v_add_f64_e64 v[12:13], v[16:17], -v[12:13]
	v_add_f64_e64 v[8:9], v[8:9], -v[14:15]
	s_delay_alu instid0(VALU_DEP_3) | instskip(NEXT) | instid1(VALU_DEP_3)
	v_add_f64_e64 v[20:21], v[18:19], -v[10:11]
	v_add_f64_e64 v[4:5], v[4:5], -v[12:13]
	s_delay_alu instid0(VALU_DEP_2) | instskip(SKIP_1) | instid1(VALU_DEP_3)
	v_add_f64_e64 v[22:23], v[18:19], -v[20:21]
	v_add_f64_e64 v[12:13], v[16:17], -v[20:21]
	v_add_f64_e32 v[14:15], v[8:9], v[4:5]
	s_delay_alu instid0(VALU_DEP_3) | instskip(NEXT) | instid1(VALU_DEP_1)
	v_add_f64_e64 v[10:11], v[10:11], -v[22:23]
	v_add_f64_e32 v[10:11], v[12:13], v[10:11]
	s_delay_alu instid0(VALU_DEP_3) | instskip(NEXT) | instid1(VALU_DEP_2)
	v_add_f64_e64 v[12:13], v[14:15], -v[8:9]
	v_add_f64_e32 v[10:11], v[14:15], v[10:11]
	s_delay_alu instid0(VALU_DEP_2) | instskip(SKIP_1) | instid1(VALU_DEP_3)
	v_add_f64_e64 v[14:15], v[14:15], -v[12:13]
	v_add_f64_e64 v[4:5], v[4:5], -v[12:13]
	v_add_f64_e32 v[16:17], v[18:19], v[10:11]
	s_delay_alu instid0(VALU_DEP_3) | instskip(NEXT) | instid1(VALU_DEP_2)
	v_add_f64_e64 v[8:9], v[8:9], -v[14:15]
	v_add_f64_e64 v[12:13], v[16:17], -v[18:19]
	s_delay_alu instid0(VALU_DEP_2) | instskip(NEXT) | instid1(VALU_DEP_2)
	v_add_f64_e32 v[4:5], v[4:5], v[8:9]
	v_add_f64_e64 v[8:9], v[10:11], -v[12:13]
	v_add_f64_e64 v[10:11], |v[0:1]|, s[0:1]
	v_cmp_neq_f64_e64 s0, 0, v[0:1]
	v_cmp_gt_u32_e64 s1, 0x3fe76944, v7
	s_delay_alu instid0(VALU_DEP_4) | instskip(SKIP_1) | instid1(VALU_DEP_2)
	v_add_f64_e32 v[4:5], v[4:5], v[8:9]
	v_add_f64_e64 v[8:9], -|v[0:1]|, 1.0
	v_add_f64_e32 v[4:5], v[16:17], v[4:5]
	s_delay_alu instid0(VALU_DEP_2) | instskip(SKIP_1) | instid1(VALU_DEP_2)
	v_dual_cndmask_b32 v8, v8, v10, s1 :: v_dual_cndmask_b32 v9, v9, v11, s1
	v_cndmask_b32_e64 v10, 0, 1, s1
	v_dual_cndmask_b32 v8, v8, v0, s2 :: v_dual_cndmask_b32 v9, v9, v6, s2
	s_delay_alu instid0(VALU_DEP_2) | instskip(SKIP_1) | instid1(VALU_DEP_1)
	v_cndmask_b32_e64 v6, v10, 2, s2
	v_xor_b32_e32 v5, 0x80000000, v5
	v_cndmask_b32_e32 v5, 0xfff00000, v5, vcc_lo
	s_and_b32 vcc_lo, s0, vcc_lo
	v_cndmask_b32_e32 v4, 0, v4, vcc_lo
	s_delay_alu instid0(VALU_DEP_2)
	v_cndmask_b32_e64 v5, 0x7ff00000, v5, s0
.LBB1_28:
	s_or_b32 exec_lo, exec_lo, s6
	s_delay_alu instid0(SALU_CYCLE_1)
	s_mov_b32 s0, exec_lo
                                        ; implicit-def: $vgpr12_vgpr13
	v_cmpx_lt_i32_e32 1, v6
	s_xor_b32 s0, exec_lo, s0
	s_cbranch_execz .LBB1_30
; %bb.29:
	s_mov_b64 s[6:7], 0x3f8b678bbf2bab09
                                        ; implicit-def: $vgpr6
	s_delay_alu instid0(SALU_CYCLE_1) | instskip(SKIP_1) | instid1(SALU_CYCLE_1)
	v_fmaak_f64 v[10:11], s[6:7], v[8:9], 0x3fcd4eaef6010924
	s_mov_b64 s[6:7], 0x3f6a5abb57d0cf61
	v_fmaak_f64 v[12:13], s[6:7], v[8:9], 0x3fbaae55d6537c88
	s_delay_alu instid0(VALU_DEP_2) | instskip(NEXT) | instid1(VALU_DEP_2)
	v_fmaak_f64 v[10:11], v[8:9], v[10:11], 0x3fef497644ea8450
	v_fmaak_f64 v[12:13], v[8:9], v[12:13], 0x3fe89dfbe45050af
	s_delay_alu instid0(VALU_DEP_2) | instskip(NEXT) | instid1(VALU_DEP_2)
	v_fmaak_f64 v[10:11], v[8:9], v[10:11], 0x3ff7475cd119bd6f
	v_fmaak_f64 v[12:13], v[8:9], v[12:13], 0x40010725a42b18f5
	s_delay_alu instid0(VALU_DEP_2) | instskip(NEXT) | instid1(VALU_DEP_2)
	v_fmaak_f64 v[10:11], v[8:9], v[10:11], 0x3fe4401e8b005dff
	v_fmaak_f64 v[12:13], v[8:9], v[12:13], 0x4003a5d7c2bd619c
	s_delay_alu instid0(VALU_DEP_2) | instskip(NEXT) | instid1(VALU_DEP_2)
	v_fmaak_f64 v[10:11], v[8:9], v[10:11], 0xbfb3c467e37db0c8
	v_fma_f64 v[12:13], v[8:9], v[12:13], 1.0
	s_delay_alu instid0(VALU_DEP_2) | instskip(NEXT) | instid1(VALU_DEP_1)
	v_mul_f64_e32 v[10:11], v[8:9], v[10:11]
	v_div_scale_f64 v[14:15], null, v[12:13], v[12:13], v[10:11]
	s_delay_alu instid0(VALU_DEP_1) | instskip(SKIP_1) | instid1(TRANS32_DEP_1)
	v_rcp_f64_e32 v[16:17], v[14:15]
	v_nop
	v_fma_f64 v[18:19], -v[14:15], v[16:17], 1.0
	s_delay_alu instid0(VALU_DEP_1) | instskip(NEXT) | instid1(VALU_DEP_1)
	v_fmac_f64_e32 v[16:17], v[16:17], v[18:19]
	v_fma_f64 v[18:19], -v[14:15], v[16:17], 1.0
	s_delay_alu instid0(VALU_DEP_1) | instskip(SKIP_1) | instid1(VALU_DEP_1)
	v_fmac_f64_e32 v[16:17], v[16:17], v[18:19]
	v_div_scale_f64 v[18:19], vcc_lo, v[10:11], v[12:13], v[10:11]
	v_mul_f64_e32 v[20:21], v[18:19], v[16:17]
	s_delay_alu instid0(VALU_DEP_1) | instskip(NEXT) | instid1(VALU_DEP_1)
	v_fma_f64 v[14:15], -v[14:15], v[20:21], v[18:19]
	v_div_fmas_f64 v[14:15], v[14:15], v[16:17], v[20:21]
	s_delay_alu instid0(VALU_DEP_1) | instskip(NEXT) | instid1(VALU_DEP_1)
	v_div_fixup_f64 v[12:13], v[14:15], v[12:13], v[10:11]
	v_fmac_f64_e32 v[12:13], -0.5, v[8:9]
                                        ; implicit-def: $vgpr8_vgpr9
.LBB1_30:
	s_and_not1_saveexec_b32 s0, s0
	s_cbranch_execz .LBB1_36
; %bb.31:
	v_mul_f64_e32 v[10:11], v[8:9], v[8:9]
	s_mov_b32 s1, exec_lo
                                        ; implicit-def: $vgpr12_vgpr13
	v_cmpx_ne_u32_e32 1, v6
	s_xor_b32 s1, exec_lo, s1
	s_cbranch_execz .LBB1_33
; %bb.32:
	s_mov_b64 s[6:7], 0x3f07858e90a45837
	s_delay_alu instid0(VALU_DEP_2) | instid1(SALU_CYCLE_1)
	v_fmaak_f64 v[12:13], s[6:7], v[10:11], 0x3f1c5088987dfb07
	s_mov_b64 s[6:7], 0x3efa7074428cfa52
	s_delay_alu instid0(SALU_CYCLE_1) | instskip(NEXT) | instid1(VALU_DEP_2)
	v_fmaak_f64 v[14:15], s[6:7], v[10:11], 0x3f2cf2eced10e54d
	v_fmaak_f64 v[12:13], v[10:11], v[12:13], 0x3f40b6c689b99c00
	s_delay_alu instid0(VALU_DEP_2) | instskip(NEXT) | instid1(VALU_DEP_2)
	v_fmaak_f64 v[14:15], v[10:11], v[14:15], 0x3f538a94116f3f5d
	v_fmaak_f64 v[12:13], v[10:11], v[12:13], 0x3f67add8ccb7926b
	s_delay_alu instid0(VALU_DEP_2) | instskip(NEXT) | instid1(VALU_DEP_2)
	;; [unrolled: 3-line block ×3, first 2 shown]
	v_fmaak_f64 v[14:15], v[10:11], v[14:15], 0x3fb13e001a5562a7
	v_fmaak_f64 v[12:13], v[10:11], v[12:13], 0x3fd4a34cc4a60fad
	s_delay_alu instid0(VALU_DEP_1) | instskip(NEXT) | instid1(VALU_DEP_3)
	v_mul_f64_e32 v[12:13], v[10:11], v[12:13]
	v_fmaak_f64 v[10:11], v[10:11], v[14:15], 0x3fb3c467e37db0c8
	s_delay_alu instid0(VALU_DEP_1) | instskip(NEXT) | instid1(VALU_DEP_1)
	v_fmac_f64_e32 v[12:13], v[8:9], v[10:11]
                                        ; implicit-def: $vgpr10_vgpr11
	v_fmac_f64_e32 v[12:13], -0.5, v[8:9]
                                        ; implicit-def: $vgpr8_vgpr9
.LBB1_33:
	s_and_not1_saveexec_b32 s1, s1
	s_cbranch_execz .LBB1_35
; %bb.34:
	s_delay_alu instid0(VALU_DEP_2) | instskip(SKIP_2) | instid1(VALU_DEP_1)
	v_mul_f64_e32 v[12:13], v[8:9], v[10:11]
	s_mov_b64 s[6:7], 0xbf347f24ecc38c38
	s_mov_b64 s[8:9], 0x3f35fd3ee8c2d3f4
	v_fmaak_f64 v[14:15], s[6:7], v[12:13], 0x3f4cdf0cef61a8e9
	v_fmaak_f64 v[16:17], s[8:9], v[12:13], 0xbf41a6109c73e0ec
	s_mov_b64 s[6:7], 0xbc50c7caa48a971f
	s_delay_alu instid0(VALU_DEP_2) | instskip(NEXT) | instid1(VALU_DEP_2)
	v_fmaak_f64 v[14:15], v[12:13], v[14:15], 0xbf6e2effb3e914d7
	v_fmaak_f64 v[16:17], v[12:13], v[16:17], 0x3f6282d32e15c915
	s_delay_alu instid0(VALU_DEP_2) | instskip(NEXT) | instid1(VALU_DEP_2)
	v_fmaak_f64 v[14:15], v[12:13], v[14:15], 0x3f9266e7970af9ec
	v_fmaak_f64 v[16:17], v[12:13], v[16:17], 0xbf851f9fba91ec6a
	;; [unrolled: 3-line block ×3, first 2 shown]
	s_delay_alu instid0(VALU_DEP_1) | instskip(NEXT) | instid1(VALU_DEP_1)
	v_fmac_f64_e32 v[14:15], v[8:9], v[16:17]
	v_fma_f64 v[8:9], v[12:13], -v[14:15], s[6:7]
	s_mov_b64 s[6:7], 0x3f34af6d6c0ebbf7
	s_delay_alu instid0(SALU_CYCLE_1) | instskip(NEXT) | instid1(VALU_DEP_1)
	v_fmaak_f64 v[14:15], s[6:7], v[12:13], 0xbf56fe8ebf2d1af1
	v_fmaak_f64 v[14:15], v[12:13], v[14:15], 0x3f78fce0e370e344
	s_delay_alu instid0(VALU_DEP_1) | instskip(NEXT) | instid1(VALU_DEP_1)
	v_fmaak_f64 v[14:15], v[12:13], v[14:15], 0xbfa0c9a8df35b713
	v_fmaak_f64 v[12:13], v[12:13], v[14:15], 0x3fdef72bc8ee38a2
	s_delay_alu instid0(VALU_DEP_1) | instskip(NEXT) | instid1(VALU_DEP_1)
	v_fma_f64 v[8:9], v[10:11], v[12:13], -v[8:9]
	v_add_f64_e32 v[12:13], 0xbfbf19b9bcc38a42, v[8:9]
.LBB1_35:
	s_or_b32 exec_lo, exec_lo, s1
.LBB1_36:
	s_delay_alu instid0(SALU_CYCLE_1) | instskip(NEXT) | instid1(VALU_DEP_1)
	s_or_b32 exec_lo, exec_lo, s0
	v_add_f64_e32 v[4:5], v[4:5], v[12:13]
.LBB1_37:
	s_or_b32 exec_lo, exec_lo, s5
.LBB1_38:
	s_and_not1_saveexec_b32 s1, s4
	s_cbranch_execz .LBB1_40
; %bb.39:
	v_frexp_mant_f64_e64 v[4:5], |v[0:1]|
	s_mov_b64 s[4:5], 0x3fe5555555555555
	s_mov_b64 s[6:7], 0xbfca8b9c17aa6149
	v_cmp_neq_f64_e64 s0, 0, v[0:1]
	s_delay_alu instid0(VALU_DEP_2) | instskip(SKIP_2) | instid1(VALU_DEP_1)
	v_cmp_gt_f64_e32 vcc_lo, s[4:5], v[4:5]
	s_mov_b64 s[4:5], 0x3fc3ab76bf559e2b
	v_cndmask_b32_e64 v6, 0, 1, vcc_lo
	v_ldexp_f64 v[4:5], v[4:5], v6
	v_frexp_exp_i32_f64_e32 v6, v[0:1]
	s_delay_alu instid0(VALU_DEP_2) | instskip(SKIP_1) | instid1(VALU_DEP_3)
	v_add_f64_e32 v[8:9], 1.0, v[4:5]
	v_add_f64_e32 v[14:15], -1.0, v[4:5]
	v_subrev_co_ci_u32_e64 v6, null, 0, v6, vcc_lo
	v_cmp_neq_f64_e64 vcc_lo, 0x7ff00000, |v[0:1]|
	s_delay_alu instid0(VALU_DEP_4) | instskip(SKIP_1) | instid1(VALU_DEP_1)
	v_rcp_f64_e32 v[10:11], v[8:9]
	v_add_f64_e32 v[16:17], -1.0, v[8:9]
	v_add_f64_e64 v[4:5], v[4:5], -v[16:17]
	s_delay_alu instid0(TRANS32_DEP_1) | instskip(NEXT) | instid1(VALU_DEP_1)
	v_fma_f64 v[12:13], -v[8:9], v[10:11], 1.0
	v_fmac_f64_e32 v[10:11], v[12:13], v[10:11]
	s_delay_alu instid0(VALU_DEP_1) | instskip(NEXT) | instid1(VALU_DEP_1)
	v_fma_f64 v[12:13], -v[8:9], v[10:11], 1.0
	v_fmac_f64_e32 v[10:11], v[12:13], v[10:11]
	s_delay_alu instid0(VALU_DEP_1) | instskip(NEXT) | instid1(VALU_DEP_1)
	v_mul_f64_e32 v[12:13], v[14:15], v[10:11]
	v_mul_f64_e32 v[18:19], v[8:9], v[12:13]
	s_delay_alu instid0(VALU_DEP_1) | instskip(NEXT) | instid1(VALU_DEP_1)
	v_fma_f64 v[8:9], v[12:13], v[8:9], -v[18:19]
	v_fmac_f64_e32 v[8:9], v[12:13], v[4:5]
	s_delay_alu instid0(VALU_DEP_1) | instskip(NEXT) | instid1(VALU_DEP_1)
	v_add_f64_e32 v[4:5], v[18:19], v[8:9]
	v_add_f64_e64 v[16:17], v[14:15], -v[4:5]
	v_add_f64_e64 v[18:19], v[4:5], -v[18:19]
	s_delay_alu instid0(VALU_DEP_2) | instskip(NEXT) | instid1(VALU_DEP_2)
	v_add_f64_e64 v[14:15], v[14:15], -v[16:17]
	v_add_f64_e64 v[8:9], v[18:19], -v[8:9]
	s_delay_alu instid0(VALU_DEP_2) | instskip(NEXT) | instid1(VALU_DEP_1)
	v_add_f64_e64 v[4:5], v[14:15], -v[4:5]
	v_add_f64_e32 v[4:5], v[8:9], v[4:5]
	s_delay_alu instid0(VALU_DEP_1) | instskip(NEXT) | instid1(VALU_DEP_1)
	v_add_f64_e32 v[4:5], v[16:17], v[4:5]
	v_mul_f64_e32 v[4:5], v[10:11], v[4:5]
	s_delay_alu instid0(VALU_DEP_1) | instskip(NEXT) | instid1(VALU_DEP_1)
	v_add_f64_e32 v[8:9], v[12:13], v[4:5]
	v_mul_f64_e32 v[10:11], v[8:9], v[8:9]
	s_delay_alu instid0(VALU_DEP_1) | instskip(SKIP_2) | instid1(VALU_DEP_2)
	v_fmaak_f64 v[14:15], s[4:5], v[10:11], 0x3fc385386b47b09a
	v_mul_f64_e32 v[16:17], v[8:9], v[10:11]
	s_mov_b64 s[4:5], 0x3fe62e42fefa39ef
	v_fmaak_f64 v[14:15], v[10:11], v[14:15], 0x3fc7474dd7f4df2e
	s_delay_alu instid0(VALU_DEP_1) | instskip(NEXT) | instid1(VALU_DEP_1)
	v_fmaak_f64 v[14:15], v[10:11], v[14:15], 0x3fcc71c016291751
	v_fmaak_f64 v[14:15], v[10:11], v[14:15], 0x3fd249249b27acf1
	s_delay_alu instid0(VALU_DEP_1) | instskip(NEXT) | instid1(VALU_DEP_1)
	v_fmaak_f64 v[14:15], v[10:11], v[14:15], 0x3fd99999998ef7b6
	v_fmaak_f64 v[10:11], v[10:11], v[14:15], 0x3fe5555555555780
	v_ldexp_f64 v[14:15], v[8:9], 1
	v_add_f64_e64 v[8:9], v[8:9], -v[12:13]
	s_delay_alu instid0(VALU_DEP_3) | instskip(SKIP_1) | instid1(VALU_DEP_3)
	v_mul_f64_e32 v[10:11], v[16:17], v[10:11]
	v_cvt_f64_i32_e32 v[16:17], v6
	v_add_f64_e64 v[4:5], v[4:5], -v[8:9]
	s_delay_alu instid0(VALU_DEP_3) | instskip(NEXT) | instid1(VALU_DEP_2)
	v_add_f64_e32 v[12:13], v[14:15], v[10:11]
	v_ldexp_f64 v[4:5], v[4:5], 1
	s_delay_alu instid0(VALU_DEP_2) | instskip(SKIP_1) | instid1(VALU_DEP_2)
	v_add_f64_e64 v[8:9], v[12:13], -v[14:15]
	v_mul_f64_e32 v[14:15], 0x3fe62e42fefa39ef, v[16:17]
	v_add_f64_e64 v[8:9], v[10:11], -v[8:9]
	s_delay_alu instid0(VALU_DEP_2) | instskip(SKIP_1) | instid1(VALU_DEP_2)
	v_fma_f64 v[10:11], v[16:17], s[4:5], -v[14:15]
	s_mov_b64 s[4:5], 0x3fd151322ac7d848
	v_add_f64_e32 v[4:5], v[4:5], v[8:9]
	s_delay_alu instid0(VALU_DEP_2) | instskip(NEXT) | instid1(VALU_DEP_1)
	v_fmamk_f64 v[8:9], v[16:17], 0x3c7abc9e3b39803f, v[10:11]
	v_add_f64_e32 v[10:11], v[14:15], v[8:9]
	s_delay_alu instid0(VALU_DEP_3) | instskip(NEXT) | instid1(VALU_DEP_2)
	v_add_f64_e32 v[16:17], v[12:13], v[4:5]
	v_add_f64_e64 v[14:15], v[10:11], -v[14:15]
	s_delay_alu instid0(VALU_DEP_2) | instskip(SKIP_1) | instid1(VALU_DEP_3)
	v_add_f64_e32 v[18:19], v[10:11], v[16:17]
	v_add_f64_e64 v[12:13], v[16:17], -v[12:13]
	v_add_f64_e64 v[8:9], v[8:9], -v[14:15]
	s_delay_alu instid0(VALU_DEP_3) | instskip(NEXT) | instid1(VALU_DEP_3)
	v_add_f64_e64 v[20:21], v[18:19], -v[10:11]
	v_add_f64_e64 v[4:5], v[4:5], -v[12:13]
	s_delay_alu instid0(VALU_DEP_2) | instskip(SKIP_1) | instid1(VALU_DEP_3)
	v_add_f64_e64 v[22:23], v[18:19], -v[20:21]
	v_add_f64_e64 v[12:13], v[16:17], -v[20:21]
	v_add_f64_e32 v[14:15], v[8:9], v[4:5]
	s_delay_alu instid0(VALU_DEP_3) | instskip(NEXT) | instid1(VALU_DEP_1)
	v_add_f64_e64 v[10:11], v[10:11], -v[22:23]
	v_add_f64_e32 v[10:11], v[12:13], v[10:11]
	s_delay_alu instid0(VALU_DEP_3) | instskip(NEXT) | instid1(VALU_DEP_2)
	v_add_f64_e64 v[12:13], v[14:15], -v[8:9]
	v_add_f64_e32 v[10:11], v[14:15], v[10:11]
	s_delay_alu instid0(VALU_DEP_2) | instskip(SKIP_1) | instid1(VALU_DEP_3)
	v_add_f64_e64 v[14:15], v[14:15], -v[12:13]
	v_add_f64_e64 v[4:5], v[4:5], -v[12:13]
	v_add_f64_e32 v[16:17], v[18:19], v[10:11]
	s_delay_alu instid0(VALU_DEP_3) | instskip(NEXT) | instid1(VALU_DEP_2)
	v_add_f64_e64 v[8:9], v[8:9], -v[14:15]
	v_add_f64_e64 v[12:13], v[16:17], -v[18:19]
	s_delay_alu instid0(VALU_DEP_2) | instskip(NEXT) | instid1(VALU_DEP_2)
	v_add_f64_e32 v[4:5], v[4:5], v[8:9]
	v_add_f64_e64 v[8:9], v[10:11], -v[12:13]
	v_fma_f64 v[10:11], |v[0:1]|, s[6:7], s[4:5]
	s_mov_b64 s[4:5], 0xbfd9a4d55beab2d7
	s_delay_alu instid0(VALU_DEP_2) | instskip(NEXT) | instid1(VALU_DEP_2)
	v_add_f64_e32 v[4:5], v[4:5], v[8:9]
	v_fma_f64 v[8:9], |v[0:1]|, v[10:11], s[4:5]
	s_mov_b64 s[4:5], 0x3fea51a6625307d3
	s_delay_alu instid0(VALU_DEP_2) | instskip(NEXT) | instid1(VALU_DEP_2)
	v_add_f64_e32 v[4:5], v[16:17], v[4:5]
	v_fma_f64 v[8:9], |v[0:1]|, v[8:9], s[4:5]
	s_mov_b64 s[4:5], 0xbfe2788cfc6fb619
	s_delay_alu instid0(VALU_DEP_2) | instskip(NEXT) | instid1(VALU_DEP_2)
	v_xor_b32_e32 v5, 0x80000000, v5
	v_fma_f64 v[8:9], |v[0:1]|, v[8:9], s[4:5]
	s_delay_alu instid0(VALU_DEP_2) | instskip(SKIP_2) | instid1(VALU_DEP_2)
	v_cndmask_b32_e32 v5, 0xfff00000, v5, vcc_lo
	s_and_b32 vcc_lo, s0, vcc_lo
	v_cndmask_b32_e32 v4, 0, v4, vcc_lo
	v_cndmask_b32_e64 v5, 0x7ff00000, v5, s0
	s_delay_alu instid0(VALU_DEP_1)
	v_fma_f64 v[4:5], |v[0:1]|, v[8:9], v[4:5]
.LBB1_40:
	s_or_b32 exec_lo, exec_lo, s1
	s_delay_alu instid0(SALU_CYCLE_1)
	s_mov_b32 s0, exec_lo
	v_cmpx_le_f64_e32 0, v[0:1]
	s_xor_b32 s1, exec_lo, s0
	s_cbranch_execz .LBB1_42
; %bb.41:
	v_cmp_eq_f64_e32 vcc_lo, 1.0, v[0:1]
	v_cmp_eq_f64_e64 s0, 2.0, v[0:1]
	s_or_b32 s0, vcc_lo, s0
	s_delay_alu instid0(SALU_CYCLE_1)
	v_cndmask_b32_e64 v5, v5, 0, s0
	v_cndmask_b32_e64 v4, v4, 0, s0
.LBB1_42:
	s_and_not1_saveexec_b32 s1, s1
	s_cbranch_execz .LBB1_46
; %bb.43:
	v_add_nc_u32_e32 v6, 0xc32fffff, v7
	s_mov_b32 s2, exec_lo
	s_delay_alu instid0(VALU_DEP_1)
	v_cmpx_gt_u32_e32 0x65fffff, v6
	s_cbranch_execz .LBB1_45
; %bb.44:
	v_mul_f64_e64 v[8:9], |v[0:1]|, 0.5
	v_and_b32_e32 v6, 0x7fffffff, v1
	s_mov_b64 s[4:5], 0x3f3e357ef99eb0bb
	v_cmp_class_f64_e64 s0, v[0:1], 0x1f8
	s_delay_alu instid0(VALU_DEP_3) | instskip(SKIP_1) | instid1(VALU_DEP_2)
	v_fract_f64_e32 v[10:11], v[8:9]
	v_cmp_neq_f64_e64 vcc_lo, 0x7ff00000, |v[8:9]|
	v_add_f64_e32 v[10:11], v[10:11], v[10:11]
	s_delay_alu instid0(VALU_DEP_1) | instskip(SKIP_1) | instid1(VALU_DEP_2)
	v_dual_cndmask_b32 v8, 0, v10 :: v_dual_cndmask_b32 v9, 0, v11
	v_cmp_gt_f64_e64 vcc_lo, |v[0:1]|, 1.0
	v_dual_cndmask_b32 v9, v6, v9 :: v_dual_cndmask_b32 v8, v0, v8
	s_delay_alu instid0(VALU_DEP_1) | instskip(NEXT) | instid1(VALU_DEP_1)
	v_add_f64_e32 v[10:11], v[8:9], v[8:9]
	v_rndne_f64_e32 v[10:11], v[10:11]
	s_delay_alu instid0(VALU_DEP_1) | instskip(SKIP_1) | instid1(VALU_DEP_2)
	v_fmac_f64_e32 v[8:9], -0.5, v[10:11]
	v_cvt_i32_f64_e32 v6, v[10:11]
	v_mul_f64_e32 v[12:13], v[8:9], v[8:9]
	s_delay_alu instid0(VALU_DEP_1) | instskip(SKIP_2) | instid1(SALU_CYCLE_1)
	v_fmaak_f64 v[14:15], s[4:5], v[12:13], 0xbf7e2fe76fdffd2b
	v_mul_f64_e32 v[16:17], v[8:9], v[12:13]
	s_mov_b64 s[4:5], 0xbf1b167302e21c33
	v_fmaak_f64 v[18:19], s[4:5], v[12:13], 0x3f5f9c89ca1d4f33
	s_mov_b64 s[4:5], 0x400921fb54442d18
	s_delay_alu instid0(VALU_DEP_3) | instskip(NEXT) | instid1(VALU_DEP_2)
	v_fmaak_f64 v[14:15], v[12:13], v[14:15], 0x3fb50782d5f14825
	v_fmaak_f64 v[18:19], v[12:13], v[18:19], 0xbf9a6d1e7294bff9
	s_delay_alu instid0(VALU_DEP_2) | instskip(NEXT) | instid1(VALU_DEP_1)
	v_fmaak_f64 v[14:15], v[12:13], v[14:15], 0xbfe32d2ccdfe9424
	v_fmaak_f64 v[14:15], v[12:13], v[14:15], 0x400466bc67754fff
	s_delay_alu instid0(VALU_DEP_1) | instskip(NEXT) | instid1(VALU_DEP_1)
	v_fmaak_f64 v[14:15], v[12:13], v[14:15], 0xc014abbce625be09
	v_mul_f64_e32 v[14:15], v[16:17], v[14:15]
	v_fmaak_f64 v[16:17], v[12:13], v[18:19], 0x3fce1f5067b90b37
	s_delay_alu instid0(VALU_DEP_1) | instskip(NEXT) | instid1(VALU_DEP_1)
	v_fmaak_f64 v[16:17], v[12:13], v[16:17], 0xbff55d3c7e3c325b
	v_fmaak_f64 v[16:17], v[12:13], v[16:17], 0x40103c1f081b5a67
	s_delay_alu instid0(VALU_DEP_1) | instskip(NEXT) | instid1(VALU_DEP_1)
	v_fmaak_f64 v[16:17], v[12:13], v[16:17], 0xc013bd3cc9be45de
	v_fma_f64 v[10:11], v[12:13], v[16:17], 1.0
	v_fmac_f64_e32 v[14:15], 0x400921fb54442d18, v[8:9]
	v_dual_lshlrev_b32 v6, 30, v6 :: v_dual_bitop2_b32 v8, 1, v6 bitop3:0x40
	s_delay_alu instid0(VALU_DEP_1) | instskip(NEXT) | instid1(VALU_DEP_2)
	v_cmp_eq_u32_e32 vcc_lo, 0, v8
	v_dual_cndmask_b32 v9, v11, v15, vcc_lo :: v_dual_bitop2_b32 v6, v6, v1 bitop3:0x14
	s_delay_alu instid0(VALU_DEP_4) | instskip(NEXT) | instid1(VALU_DEP_2)
	v_cndmask_b32_e32 v8, v10, v14, vcc_lo
	v_bitop3_b32 v6, v9, v6, 0x80000000 bitop3:0x78
	s_delay_alu instid0(VALU_DEP_2) | instskip(NEXT) | instid1(VALU_DEP_2)
	v_cndmask_b32_e64 v8, 0, v8, s0
	v_cndmask_b32_e64 v9, 0x7ff80000, v6, s0
	v_cmp_class_f64_e64 s0, v[0:1], 0x204
	s_delay_alu instid0(VALU_DEP_2) | instskip(NEXT) | instid1(VALU_DEP_1)
	v_mul_f64_e32 v[8:9], v[0:1], v[8:9]
	v_and_b32_e32 v11, 0x7fffffff, v9
	s_delay_alu instid0(VALU_DEP_2) | instskip(NEXT) | instid1(VALU_DEP_1)
	v_mov_b32_e32 v10, v8
	v_div_scale_f64 v[12:13], null, v[10:11], v[10:11], s[4:5]
	v_div_scale_f64 v[10:11], vcc_lo, s[4:5], v[10:11], s[4:5]
	s_delay_alu instid0(VALU_DEP_2) | instskip(SKIP_1) | instid1(TRANS32_DEP_1)
	v_rcp_f64_e32 v[14:15], v[12:13]
	v_nop
	v_fma_f64 v[16:17], -v[12:13], v[14:15], 1.0
	s_delay_alu instid0(VALU_DEP_1) | instskip(NEXT) | instid1(VALU_DEP_1)
	v_fmac_f64_e32 v[14:15], v[14:15], v[16:17]
	v_fma_f64 v[16:17], -v[12:13], v[14:15], 1.0
	s_delay_alu instid0(VALU_DEP_1) | instskip(NEXT) | instid1(VALU_DEP_1)
	v_fmac_f64_e32 v[14:15], v[14:15], v[16:17]
	v_mul_f64_e32 v[16:17], v[10:11], v[14:15]
	s_delay_alu instid0(VALU_DEP_1) | instskip(NEXT) | instid1(VALU_DEP_1)
	v_fma_f64 v[10:11], -v[12:13], v[16:17], v[10:11]
	v_div_fmas_f64 v[10:11], v[10:11], v[14:15], v[16:17]
	s_delay_alu instid0(VALU_DEP_1) | instskip(SKIP_1) | instid1(VALU_DEP_1)
	v_div_fixup_f64 v[8:9], v[10:11], |v[8:9]|, s[4:5]
	s_mov_b64 s[4:5], 0x3fe5555555555555
	v_frexp_mant_f64_e32 v[10:11], v[8:9]
	s_delay_alu instid0(VALU_DEP_1) | instskip(SKIP_2) | instid1(VALU_DEP_1)
	v_cmp_gt_f64_e32 vcc_lo, s[4:5], v[10:11]
	s_mov_b64 s[4:5], 0x3fc3ab76bf559e2b
	v_cndmask_b32_e64 v6, 0, 1, vcc_lo
	v_ldexp_f64 v[10:11], v[10:11], v6
	v_frexp_exp_i32_f64_e32 v6, v[8:9]
	s_delay_alu instid0(VALU_DEP_1) | instskip(SKIP_1) | instid1(VALU_DEP_4)
	v_subrev_co_ci_u32_e64 v6, null, 0, v6, vcc_lo
	v_cmp_class_f64_e64 vcc_lo, v[8:9], 0x204
	v_add_f64_e32 v[12:13], 1.0, v[10:11]
	v_add_f64_e32 v[18:19], -1.0, v[10:11]
	s_delay_alu instid0(VALU_DEP_2) | instskip(SKIP_1) | instid1(VALU_DEP_1)
	v_rcp_f64_e32 v[14:15], v[12:13]
	v_add_f64_e32 v[20:21], -1.0, v[12:13]
	v_add_f64_e64 v[10:11], v[10:11], -v[20:21]
	s_delay_alu instid0(TRANS32_DEP_1) | instskip(NEXT) | instid1(VALU_DEP_1)
	v_fma_f64 v[16:17], -v[12:13], v[14:15], 1.0
	v_fmac_f64_e32 v[14:15], v[16:17], v[14:15]
	s_delay_alu instid0(VALU_DEP_1) | instskip(NEXT) | instid1(VALU_DEP_1)
	v_fma_f64 v[16:17], -v[12:13], v[14:15], 1.0
	v_fmac_f64_e32 v[14:15], v[16:17], v[14:15]
	s_delay_alu instid0(VALU_DEP_1) | instskip(NEXT) | instid1(VALU_DEP_1)
	v_mul_f64_e32 v[16:17], v[18:19], v[14:15]
	v_mul_f64_e32 v[22:23], v[12:13], v[16:17]
	s_delay_alu instid0(VALU_DEP_1) | instskip(NEXT) | instid1(VALU_DEP_1)
	v_fma_f64 v[12:13], v[16:17], v[12:13], -v[22:23]
	v_fmac_f64_e32 v[12:13], v[16:17], v[10:11]
	s_delay_alu instid0(VALU_DEP_1) | instskip(NEXT) | instid1(VALU_DEP_1)
	v_add_f64_e32 v[10:11], v[22:23], v[12:13]
	v_add_f64_e64 v[20:21], v[18:19], -v[10:11]
	v_add_f64_e64 v[22:23], v[10:11], -v[22:23]
	s_delay_alu instid0(VALU_DEP_2) | instskip(NEXT) | instid1(VALU_DEP_2)
	v_add_f64_e64 v[18:19], v[18:19], -v[20:21]
	v_add_f64_e64 v[12:13], v[22:23], -v[12:13]
	s_delay_alu instid0(VALU_DEP_2) | instskip(NEXT) | instid1(VALU_DEP_1)
	v_add_f64_e64 v[10:11], v[18:19], -v[10:11]
	v_add_f64_e32 v[10:11], v[12:13], v[10:11]
	s_delay_alu instid0(VALU_DEP_1) | instskip(NEXT) | instid1(VALU_DEP_1)
	v_add_f64_e32 v[10:11], v[20:21], v[10:11]
	v_mul_f64_e32 v[10:11], v[14:15], v[10:11]
	s_delay_alu instid0(VALU_DEP_1) | instskip(NEXT) | instid1(VALU_DEP_1)
	v_add_f64_e32 v[12:13], v[16:17], v[10:11]
	v_mul_f64_e32 v[14:15], v[12:13], v[12:13]
	s_delay_alu instid0(VALU_DEP_1) | instskip(SKIP_2) | instid1(VALU_DEP_2)
	v_fmaak_f64 v[18:19], s[4:5], v[14:15], 0x3fc385386b47b09a
	v_mul_f64_e32 v[20:21], v[12:13], v[14:15]
	s_mov_b64 s[4:5], 0x3fe62e42fefa39ef
	v_fmaak_f64 v[18:19], v[14:15], v[18:19], 0x3fc7474dd7f4df2e
	s_delay_alu instid0(VALU_DEP_1) | instskip(NEXT) | instid1(VALU_DEP_1)
	v_fmaak_f64 v[18:19], v[14:15], v[18:19], 0x3fcc71c016291751
	v_fmaak_f64 v[18:19], v[14:15], v[18:19], 0x3fd249249b27acf1
	s_delay_alu instid0(VALU_DEP_1) | instskip(NEXT) | instid1(VALU_DEP_1)
	v_fmaak_f64 v[18:19], v[14:15], v[18:19], 0x3fd99999998ef7b6
	v_fmaak_f64 v[14:15], v[14:15], v[18:19], 0x3fe5555555555780
	v_ldexp_f64 v[18:19], v[12:13], 1
	v_add_f64_e64 v[12:13], v[12:13], -v[16:17]
	s_delay_alu instid0(VALU_DEP_3) | instskip(SKIP_1) | instid1(VALU_DEP_3)
	v_mul_f64_e32 v[14:15], v[20:21], v[14:15]
	v_cvt_f64_i32_e32 v[20:21], v6
	v_add_f64_e64 v[10:11], v[10:11], -v[12:13]
	s_delay_alu instid0(VALU_DEP_3) | instskip(NEXT) | instid1(VALU_DEP_2)
	v_add_f64_e32 v[16:17], v[18:19], v[14:15]
	v_ldexp_f64 v[10:11], v[10:11], 1
	s_delay_alu instid0(VALU_DEP_2) | instskip(SKIP_1) | instid1(VALU_DEP_2)
	v_add_f64_e64 v[12:13], v[16:17], -v[18:19]
	v_mul_f64_e32 v[18:19], 0x3fe62e42fefa39ef, v[20:21]
	v_add_f64_e64 v[12:13], v[14:15], -v[12:13]
	s_delay_alu instid0(VALU_DEP_2) | instskip(NEXT) | instid1(VALU_DEP_2)
	v_fma_f64 v[14:15], v[20:21], s[4:5], -v[18:19]
	v_add_f64_e32 v[10:11], v[10:11], v[12:13]
	s_delay_alu instid0(VALU_DEP_2) | instskip(NEXT) | instid1(VALU_DEP_1)
	v_fmamk_f64 v[12:13], v[20:21], 0x3c7abc9e3b39803f, v[14:15]
	v_add_f64_e32 v[14:15], v[18:19], v[12:13]
	s_delay_alu instid0(VALU_DEP_3) | instskip(NEXT) | instid1(VALU_DEP_2)
	v_add_f64_e32 v[20:21], v[16:17], v[10:11]
	v_add_f64_e64 v[18:19], v[14:15], -v[18:19]
	s_delay_alu instid0(VALU_DEP_2) | instskip(SKIP_1) | instid1(VALU_DEP_3)
	v_add_f64_e32 v[22:23], v[14:15], v[20:21]
	v_add_f64_e64 v[16:17], v[20:21], -v[16:17]
	v_add_f64_e64 v[12:13], v[12:13], -v[18:19]
	s_delay_alu instid0(VALU_DEP_3) | instskip(NEXT) | instid1(VALU_DEP_3)
	v_add_f64_e64 v[24:25], v[22:23], -v[14:15]
	v_add_f64_e64 v[10:11], v[10:11], -v[16:17]
	s_delay_alu instid0(VALU_DEP_2) | instskip(SKIP_1) | instid1(VALU_DEP_3)
	v_add_f64_e64 v[26:27], v[22:23], -v[24:25]
	v_add_f64_e64 v[16:17], v[20:21], -v[24:25]
	v_add_f64_e32 v[18:19], v[12:13], v[10:11]
	s_delay_alu instid0(VALU_DEP_3) | instskip(NEXT) | instid1(VALU_DEP_1)
	v_add_f64_e64 v[14:15], v[14:15], -v[26:27]
	v_add_f64_e32 v[14:15], v[16:17], v[14:15]
	s_delay_alu instid0(VALU_DEP_3) | instskip(NEXT) | instid1(VALU_DEP_2)
	v_add_f64_e64 v[16:17], v[18:19], -v[12:13]
	v_add_f64_e32 v[14:15], v[18:19], v[14:15]
	s_delay_alu instid0(VALU_DEP_2) | instskip(SKIP_1) | instid1(VALU_DEP_3)
	v_add_f64_e64 v[18:19], v[18:19], -v[16:17]
	v_add_f64_e64 v[10:11], v[10:11], -v[16:17]
	v_add_f64_e32 v[20:21], v[22:23], v[14:15]
	s_delay_alu instid0(VALU_DEP_3) | instskip(NEXT) | instid1(VALU_DEP_2)
	v_add_f64_e64 v[12:13], v[12:13], -v[18:19]
	v_add_f64_e64 v[16:17], v[20:21], -v[22:23]
	s_delay_alu instid0(VALU_DEP_2) | instskip(NEXT) | instid1(VALU_DEP_2)
	v_add_f64_e32 v[10:11], v[10:11], v[12:13]
	v_add_f64_e64 v[12:13], v[14:15], -v[16:17]
	s_delay_alu instid0(VALU_DEP_1) | instskip(NEXT) | instid1(VALU_DEP_1)
	v_add_f64_e32 v[10:11], v[10:11], v[12:13]
	v_add_f64_e32 v[10:11], v[20:21], v[10:11]
	s_delay_alu instid0(VALU_DEP_1) | instskip(SKIP_2) | instid1(VALU_DEP_3)
	v_dual_cndmask_b32 v6, v10, v8, vcc_lo :: v_dual_cndmask_b32 v10, v11, v9, vcc_lo
	v_cmp_neq_f64_e32 vcc_lo, 0, v[8:9]
	v_fract_f64_e32 v[8:9], v[0:1]
	v_cndmask_b32_e32 v11, 0xfff00000, v10, vcc_lo
	s_delay_alu instid0(VALU_DEP_4) | instskip(NEXT) | instid1(VALU_DEP_3)
	v_cndmask_b32_e32 v10, 0, v6, vcc_lo
	v_cmp_eq_f64_e32 vcc_lo, 0, v[8:9]
	s_delay_alu instid0(VALU_DEP_2)
	v_add_f64_e64 v[4:5], v[10:11], -v[4:5]
	s_or_b32 s0, s0, vcc_lo
	s_delay_alu instid0(VALU_DEP_1) | instid1(SALU_CYCLE_1)
	v_cndmask_b32_e64 v5, v5, 0x7ff00000, s0
	s_delay_alu instid0(VALU_DEP_2)
	v_cndmask_b32_e64 v4, v4, 0, s0
.LBB1_45:
	s_or_b32 exec_lo, exec_lo, s2
.LBB1_46:
	s_delay_alu instid0(SALU_CYCLE_1) | instskip(SKIP_3) | instid1(VALU_DEP_2)
	s_or_b32 exec_lo, exec_lo, s1
	v_frexp_mant_f64_e32 v[8:9], v[2:3]
	s_mov_b64 s[0:1], 0x3fe5555555555555
	v_cmp_class_f64_e64 s2, v[0:1], 0x264
	v_cmp_gt_f64_e32 vcc_lo, s[0:1], v[8:9]
	s_mov_b64 s[0:1], 0x3fc3ab76bf559e2b
	v_cndmask_b32_e64 v6, 0, 1, vcc_lo
	s_delay_alu instid0(VALU_DEP_1) | instskip(SKIP_1) | instid1(VALU_DEP_2)
	v_ldexp_f64 v[8:9], v[8:9], v6
	v_frexp_exp_i32_f64_e32 v6, v[2:3]
	v_add_f64_e32 v[10:11], 1.0, v[8:9]
	v_add_f64_e32 v[16:17], -1.0, v[8:9]
	s_delay_alu instid0(VALU_DEP_3) | instskip(SKIP_1) | instid1(VALU_DEP_4)
	v_subrev_co_ci_u32_e64 v6, null, 0, v6, vcc_lo
	v_cmp_gt_f64_e32 vcc_lo, 0, v[0:1]
	v_rcp_f64_e32 v[12:13], v[10:11]
	v_add_f64_e32 v[18:19], -1.0, v[10:11]
	s_delay_alu instid0(VALU_DEP_1) | instskip(NEXT) | instid1(TRANS32_DEP_1)
	v_add_f64_e64 v[8:9], v[8:9], -v[18:19]
	v_fma_f64 v[14:15], -v[10:11], v[12:13], 1.0
	s_delay_alu instid0(VALU_DEP_1) | instskip(NEXT) | instid1(VALU_DEP_1)
	v_fmac_f64_e32 v[12:13], v[14:15], v[12:13]
	v_fma_f64 v[14:15], -v[10:11], v[12:13], 1.0
	s_delay_alu instid0(VALU_DEP_1) | instskip(NEXT) | instid1(VALU_DEP_1)
	v_fmac_f64_e32 v[12:13], v[14:15], v[12:13]
	v_mul_f64_e32 v[14:15], v[16:17], v[12:13]
	s_delay_alu instid0(VALU_DEP_1) | instskip(NEXT) | instid1(VALU_DEP_1)
	v_mul_f64_e32 v[20:21], v[10:11], v[14:15]
	v_fma_f64 v[10:11], v[14:15], v[10:11], -v[20:21]
	s_delay_alu instid0(VALU_DEP_1) | instskip(NEXT) | instid1(VALU_DEP_1)
	v_fmac_f64_e32 v[10:11], v[14:15], v[8:9]
	v_add_f64_e32 v[8:9], v[20:21], v[10:11]
	s_delay_alu instid0(VALU_DEP_1) | instskip(SKIP_1) | instid1(VALU_DEP_2)
	v_add_f64_e64 v[18:19], v[16:17], -v[8:9]
	v_add_f64_e64 v[20:21], v[8:9], -v[20:21]
	v_add_f64_e64 v[16:17], v[16:17], -v[18:19]
	s_delay_alu instid0(VALU_DEP_2) | instskip(NEXT) | instid1(VALU_DEP_2)
	v_add_f64_e64 v[10:11], v[20:21], -v[10:11]
	v_add_f64_e64 v[8:9], v[16:17], -v[8:9]
	s_delay_alu instid0(VALU_DEP_1) | instskip(NEXT) | instid1(VALU_DEP_1)
	v_add_f64_e32 v[8:9], v[10:11], v[8:9]
	v_add_f64_e32 v[8:9], v[18:19], v[8:9]
	s_delay_alu instid0(VALU_DEP_1) | instskip(NEXT) | instid1(VALU_DEP_1)
	v_mul_f64_e32 v[8:9], v[12:13], v[8:9]
	v_add_f64_e32 v[10:11], v[14:15], v[8:9]
	s_delay_alu instid0(VALU_DEP_1) | instskip(NEXT) | instid1(VALU_DEP_1)
	v_mul_f64_e32 v[12:13], v[10:11], v[10:11]
	v_fmaak_f64 v[16:17], s[0:1], v[12:13], 0x3fc385386b47b09a
	v_mul_f64_e32 v[18:19], v[10:11], v[12:13]
	s_mov_b64 s[0:1], 0x3fe62e42fefa39ef
	s_delay_alu instid0(VALU_DEP_2) | instskip(NEXT) | instid1(VALU_DEP_1)
	v_fmaak_f64 v[16:17], v[12:13], v[16:17], 0x3fc7474dd7f4df2e
	v_fmaak_f64 v[16:17], v[12:13], v[16:17], 0x3fcc71c016291751
	s_delay_alu instid0(VALU_DEP_1) | instskip(NEXT) | instid1(VALU_DEP_1)
	v_fmaak_f64 v[16:17], v[12:13], v[16:17], 0x3fd249249b27acf1
	v_fmaak_f64 v[16:17], v[12:13], v[16:17], 0x3fd99999998ef7b6
	s_delay_alu instid0(VALU_DEP_1) | instskip(SKIP_2) | instid1(VALU_DEP_3)
	v_fmaak_f64 v[12:13], v[12:13], v[16:17], 0x3fe5555555555780
	v_ldexp_f64 v[16:17], v[10:11], 1
	v_add_f64_e64 v[10:11], v[10:11], -v[14:15]
	v_mul_f64_e32 v[12:13], v[18:19], v[12:13]
	v_cvt_f64_i32_e32 v[18:19], v6
	s_delay_alu instid0(VALU_DEP_3) | instskip(NEXT) | instid1(VALU_DEP_3)
	v_add_f64_e64 v[8:9], v[8:9], -v[10:11]
	v_add_f64_e32 v[14:15], v[16:17], v[12:13]
	s_delay_alu instid0(VALU_DEP_2) | instskip(NEXT) | instid1(VALU_DEP_2)
	v_ldexp_f64 v[8:9], v[8:9], 1
	v_add_f64_e64 v[10:11], v[14:15], -v[16:17]
	v_mul_f64_e32 v[16:17], 0x3fe62e42fefa39ef, v[18:19]
	s_delay_alu instid0(VALU_DEP_2) | instskip(NEXT) | instid1(VALU_DEP_2)
	v_add_f64_e64 v[10:11], v[12:13], -v[10:11]
	v_fma_f64 v[12:13], v[18:19], s[0:1], -v[16:17]
	v_cmp_class_f64_e64 s0, v[2:3], 0x204
	v_cmp_lt_u32_e64 s1, 0x432fffff, v7
	s_and_b32 s1, vcc_lo, s1
	v_cmp_ngt_f64_e32 vcc_lo, 0, v[2:3]
	v_add_f64_e32 v[8:9], v[8:9], v[10:11]
	v_fmamk_f64 v[10:11], v[18:19], 0x3c7abc9e3b39803f, v[12:13]
	s_delay_alu instid0(VALU_DEP_1) | instskip(NEXT) | instid1(VALU_DEP_3)
	v_add_f64_e32 v[12:13], v[16:17], v[10:11]
	v_add_f64_e32 v[18:19], v[14:15], v[8:9]
	s_delay_alu instid0(VALU_DEP_2) | instskip(NEXT) | instid1(VALU_DEP_2)
	v_add_f64_e64 v[16:17], v[12:13], -v[16:17]
	v_add_f64_e32 v[20:21], v[12:13], v[18:19]
	v_add_f64_e64 v[14:15], v[18:19], -v[14:15]
	s_delay_alu instid0(VALU_DEP_3) | instskip(NEXT) | instid1(VALU_DEP_3)
	v_add_f64_e64 v[10:11], v[10:11], -v[16:17]
	v_add_f64_e64 v[22:23], v[20:21], -v[12:13]
	s_delay_alu instid0(VALU_DEP_3) | instskip(NEXT) | instid1(VALU_DEP_2)
	v_add_f64_e64 v[8:9], v[8:9], -v[14:15]
	v_add_f64_e64 v[24:25], v[20:21], -v[22:23]
	;; [unrolled: 1-line block ×3, first 2 shown]
	s_delay_alu instid0(VALU_DEP_3) | instskip(NEXT) | instid1(VALU_DEP_3)
	v_add_f64_e32 v[16:17], v[10:11], v[8:9]
	v_add_f64_e64 v[12:13], v[12:13], -v[24:25]
	s_delay_alu instid0(VALU_DEP_1) | instskip(NEXT) | instid1(VALU_DEP_3)
	v_add_f64_e32 v[12:13], v[14:15], v[12:13]
	v_add_f64_e64 v[14:15], v[16:17], -v[10:11]
	s_delay_alu instid0(VALU_DEP_2) | instskip(NEXT) | instid1(VALU_DEP_2)
	v_add_f64_e32 v[12:13], v[16:17], v[12:13]
	v_add_f64_e64 v[16:17], v[16:17], -v[14:15]
	v_add_f64_e64 v[8:9], v[8:9], -v[14:15]
	s_delay_alu instid0(VALU_DEP_3) | instskip(NEXT) | instid1(VALU_DEP_3)
	v_add_f64_e32 v[18:19], v[20:21], v[12:13]
	v_add_f64_e64 v[10:11], v[10:11], -v[16:17]
	s_delay_alu instid0(VALU_DEP_2) | instskip(NEXT) | instid1(VALU_DEP_2)
	v_add_f64_e64 v[14:15], v[18:19], -v[20:21]
	v_add_f64_e32 v[8:9], v[8:9], v[10:11]
	s_delay_alu instid0(VALU_DEP_2) | instskip(NEXT) | instid1(VALU_DEP_1)
	v_add_f64_e64 v[10:11], v[12:13], -v[14:15]
	v_add_f64_e32 v[8:9], v[8:9], v[10:11]
	s_delay_alu instid0(VALU_DEP_1) | instskip(NEXT) | instid1(VALU_DEP_1)
	v_add_f64_e32 v[8:9], v[18:19], v[8:9]
	v_dual_cndmask_b32 v7, v9, v3, s0 :: v_dual_cndmask_b32 v6, v8, v2, s0
	s_or_b32 s0, s2, s1
	s_delay_alu instid0(SALU_CYCLE_1) | instskip(NEXT) | instid1(VALU_DEP_2)
	v_cndmask_b32_e64 v8, v4, 0, s0
	v_cndmask_b32_e32 v7, 0x7ff80000, v7, vcc_lo
	v_cmp_nge_f64_e32 vcc_lo, 0, v[2:3]
	v_cndmask_b32_e64 v9, v5, 0x7ff00000, s0
	s_mov_b64 s[0:1], 0xc0862e42fefa39ef
	v_cndmask_b32_e32 v4, 0, v6, vcc_lo
	v_cmp_neq_f64_e32 vcc_lo, 0, v[2:3]
	v_cndmask_b32_e32 v5, 0xfff00000, v7, vcc_lo
	v_cmp_u_f64_e32 vcc_lo, v[0:1], v[0:1]
	s_delay_alu instid0(VALU_DEP_2) | instskip(SKIP_2) | instid1(VALU_DEP_1)
	v_fma_f64 v[2:3], v[0:1], v[4:5], -v[2:3]
	v_mov_b64_e32 v[4:5], 0
	v_dual_cndmask_b32 v1, v9, v1 :: v_dual_cndmask_b32 v0, v8, v0
	v_add_f64_e64 v[0:1], v[2:3], -v[0:1]
	s_delay_alu instid0(VALU_DEP_1)
	v_cmp_ngt_f64_e32 vcc_lo, s[0:1], v[0:1]
	s_and_saveexec_b32 s0, vcc_lo
	s_cbranch_execz .LBB1_48
; %bb.47:
	v_mul_f64_e32 v[2:3], 0x3ff71547652b82fe, v[0:1]
	s_mov_b64 s[4:5], 0x3e5ade156a5dcb37
	v_cmp_nlt_f64_e32 vcc_lo, 0x40900000, v[0:1]
	s_delay_alu instid0(VALU_DEP_2) | instskip(NEXT) | instid1(VALU_DEP_1)
	v_rndne_f64_e32 v[2:3], v[2:3]
	v_fmamk_f64 v[4:5], v[2:3], 0xbfe62e42fefa39ef, v[0:1]
	v_cvt_i32_f64_e32 v8, v[2:3]
	s_delay_alu instid0(VALU_DEP_2) | instskip(NEXT) | instid1(VALU_DEP_1)
	v_fmamk_f64 v[4:5], v[2:3], 0xbc7abc9e3b39803f, v[4:5]
	v_fmaak_f64 v[6:7], s[4:5], v[4:5], 0x3e928af3fca7ab0c
	s_delay_alu instid0(VALU_DEP_1) | instskip(NEXT) | instid1(VALU_DEP_1)
	v_fmaak_f64 v[6:7], v[4:5], v[6:7], 0x3ec71dee623fde64
	v_fmaak_f64 v[6:7], v[4:5], v[6:7], 0x3efa01997c89e6b0
	s_delay_alu instid0(VALU_DEP_1) | instskip(NEXT) | instid1(VALU_DEP_1)
	v_fmaak_f64 v[6:7], v[4:5], v[6:7], 0x3f2a01a014761f6e
	;; [unrolled: 3-line block ×4, first 2 shown]
	v_fmaak_f64 v[6:7], v[4:5], v[6:7], 0x3fe000000000000b
	s_delay_alu instid0(VALU_DEP_1) | instskip(NEXT) | instid1(VALU_DEP_1)
	v_fma_f64 v[6:7], v[4:5], v[6:7], 1.0
	v_fma_f64 v[2:3], v[4:5], v[6:7], 1.0
	s_delay_alu instid0(VALU_DEP_1) | instskip(NEXT) | instid1(VALU_DEP_1)
	v_ldexp_f64 v[2:3], v[2:3], v8
	v_cndmask_b32_e32 v5, 0x7ff00000, v3, vcc_lo
	s_delay_alu instid0(VALU_DEP_2)
	v_cndmask_b32_e32 v4, 0, v2, vcc_lo
.LBB1_48:
	s_or_b32 exec_lo, exec_lo, s0
	s_delay_alu instid0(SALU_CYCLE_1) | instskip(NEXT) | instid1(VALU_DEP_1)
	s_or_b32 exec_lo, exec_lo, s3
	v_dual_mov_b32 v0, v4 :: v_dual_mov_b32 v1, v5
	s_set_pc_i64 s[30:31]
.Lfunc_end1:
	.size	_ZN12_GLOBAL__N_116_igam_helper_facIdEET_S1_S1_, .Lfunc_end1-_ZN12_GLOBAL__N_116_igam_helper_facIdEET_S1_S1_
                                        ; -- End function
	.set .L_ZN12_GLOBAL__N_116_igam_helper_facIdEET_S1_S1_.num_vgpr, 104
	.set .L_ZN12_GLOBAL__N_116_igam_helper_facIdEET_S1_S1_.num_agpr, 0
	.set .L_ZN12_GLOBAL__N_116_igam_helper_facIdEET_S1_S1_.numbered_sgpr, 32
	.set .L_ZN12_GLOBAL__N_116_igam_helper_facIdEET_S1_S1_.num_named_barrier, 0
	.set .L_ZN12_GLOBAL__N_116_igam_helper_facIdEET_S1_S1_.private_seg_size, 0
	.set .L_ZN12_GLOBAL__N_116_igam_helper_facIdEET_S1_S1_.uses_vcc, 1
	.set .L_ZN12_GLOBAL__N_116_igam_helper_facIdEET_S1_S1_.uses_flat_scratch, 0
	.set .L_ZN12_GLOBAL__N_116_igam_helper_facIdEET_S1_S1_.has_dyn_sized_stack, 0
	.set .L_ZN12_GLOBAL__N_116_igam_helper_facIdEET_S1_S1_.has_recursion, 0
	.set .L_ZN12_GLOBAL__N_116_igam_helper_facIdEET_S1_S1_.has_indirect_call, 0
	.section	.AMDGPU.csdata,"",@progbits
; Function info:
; codeLenInByte = 14692
; TotalNumSgprs: 34
; NumVgprs: 104
; ScratchSize: 0
; MemoryBound: 0
	.text
	.p2align	2                               ; -- Begin function _ZN12_GLOBAL__N_120_igamc_helper_seriesIdEET_S1_S1_
	.type	_ZN12_GLOBAL__N_120_igamc_helper_seriesIdEET_S1_S1_,@function
_ZN12_GLOBAL__N_120_igamc_helper_seriesIdEET_S1_S1_: ; @_ZN12_GLOBAL__N_120_igamc_helper_seriesIdEET_S1_S1_
; %bb.0:
	s_wait_loadcnt_dscnt 0x0
	s_wait_kmcnt 0x0
	v_mov_b64_e32 v[4:5], 0
	v_mov_b64_e32 v[6:7], 1.0
	s_mov_b32 s1, 1
	s_mov_b32 s0, 0
.LBB2_1:                                ; =>This Inner Loop Header: Depth=1
	v_cvt_f64_u32_e32 v[8:9], s1
	s_add_co_i32 s3, s1, 1
	s_cmp_eq_u32 s1, 0x7cf
	s_cselect_b32 s1, -1, 0
	s_delay_alu instid0(VALU_DEP_1) | instskip(SKIP_1) | instid1(VALU_DEP_2)
	v_div_scale_f64 v[10:11], null, v[8:9], v[8:9], -v[2:3]
	v_div_scale_f64 v[16:17], vcc_lo, -v[2:3], v[8:9], -v[2:3]
	v_rcp_f64_e32 v[12:13], v[10:11]
	v_nop
	s_delay_alu instid0(TRANS32_DEP_1) | instskip(NEXT) | instid1(VALU_DEP_1)
	v_fma_f64 v[14:15], -v[10:11], v[12:13], 1.0
	v_fmac_f64_e32 v[12:13], v[12:13], v[14:15]
	s_delay_alu instid0(VALU_DEP_1) | instskip(NEXT) | instid1(VALU_DEP_1)
	v_fma_f64 v[14:15], -v[10:11], v[12:13], 1.0
	v_fmac_f64_e32 v[12:13], v[12:13], v[14:15]
	s_delay_alu instid0(VALU_DEP_1) | instskip(NEXT) | instid1(VALU_DEP_1)
	v_mul_f64_e32 v[14:15], v[16:17], v[12:13]
	v_fma_f64 v[10:11], -v[10:11], v[14:15], v[16:17]
	s_delay_alu instid0(VALU_DEP_1) | instskip(NEXT) | instid1(VALU_DEP_1)
	v_div_fmas_f64 v[10:11], v[10:11], v[12:13], v[14:15]
	v_div_fixup_f64 v[10:11], v[10:11], v[8:9], -v[2:3]
	v_add_f64_e32 v[8:9], v[0:1], v[8:9]
	s_delay_alu instid0(VALU_DEP_2) | instskip(NEXT) | instid1(VALU_DEP_1)
	v_mul_f64_e32 v[6:7], v[6:7], v[10:11]
	v_div_scale_f64 v[10:11], null, v[8:9], v[8:9], v[6:7]
	v_div_scale_f64 v[16:17], vcc_lo, v[6:7], v[8:9], v[6:7]
	s_delay_alu instid0(VALU_DEP_2) | instskip(SKIP_1) | instid1(TRANS32_DEP_1)
	v_rcp_f64_e32 v[12:13], v[10:11]
	v_nop
	v_fma_f64 v[14:15], -v[10:11], v[12:13], 1.0
	s_delay_alu instid0(VALU_DEP_1) | instskip(NEXT) | instid1(VALU_DEP_1)
	v_fmac_f64_e32 v[12:13], v[12:13], v[14:15]
	v_fma_f64 v[14:15], -v[10:11], v[12:13], 1.0
	s_delay_alu instid0(VALU_DEP_1) | instskip(NEXT) | instid1(VALU_DEP_1)
	v_fmac_f64_e32 v[12:13], v[12:13], v[14:15]
	v_mul_f64_e32 v[14:15], v[16:17], v[12:13]
	s_delay_alu instid0(VALU_DEP_1) | instskip(NEXT) | instid1(VALU_DEP_1)
	v_fma_f64 v[10:11], -v[10:11], v[14:15], v[16:17]
	v_div_fmas_f64 v[10:11], v[10:11], v[12:13], v[14:15]
	s_delay_alu instid0(VALU_DEP_1) | instskip(NEXT) | instid1(VALU_DEP_1)
	v_div_fixup_f64 v[8:9], v[10:11], v[8:9], v[6:7]
	v_add_f64_e32 v[4:5], v[4:5], v[8:9]
	s_delay_alu instid0(VALU_DEP_1) | instskip(NEXT) | instid1(VALU_DEP_1)
	v_ldexp_f64 v[10:11], |v[4:5]|, 0xffffffcb
	v_cmp_le_f64_e64 s2, |v[8:9]|, v[10:11]
	s_or_b32 s1, s2, s1
	s_delay_alu instid0(SALU_CYCLE_1) | instskip(NEXT) | instid1(SALU_CYCLE_1)
	s_and_b32 s1, exec_lo, s1
	s_or_b32 s0, s1, s0
	s_mov_b32 s1, s3
	s_and_not1_b32 exec_lo, exec_lo, s0
	s_cbranch_execnz .LBB2_1
; %bb.2:
	s_or_b32 exec_lo, exec_lo, s0
	v_add_f64_e32 v[6:7], 1.0, v[0:1]
                                        ; implicit-def: $vgpr10_vgpr11
	s_mov_b32 s0, exec_lo
	s_delay_alu instid0(VALU_DEP_1) | instskip(NEXT) | instid1(VALU_DEP_2)
	v_and_b32_e32 v9, 0x7fffffff, v7
	v_mov_b32_e32 v8, v6
	s_delay_alu instid0(VALU_DEP_2)
	v_cmpx_lt_u32_e32 0x3f6fffff, v9
	s_xor_b32 s3, exec_lo, s0
	s_cbranch_execz .LBB2_28
; %bb.3:
                                        ; implicit-def: $vgpr10_vgpr11
	s_mov_b32 s0, exec_lo
	v_cmpx_lt_u32_e32 0x3fffffff, v9
	s_xor_b32 s1, exec_lo, s0
	s_cbranch_execz .LBB2_13
; %bb.4:
                                        ; implicit-def: $vgpr10_vgpr11
	s_mov_b32 s0, exec_lo
	v_cmpx_lt_u32_e32 0x401fffff, v9
	s_xor_b32 s2, exec_lo, s0
	s_cbranch_execz .LBB2_10
; %bb.5:
                                        ; implicit-def: $vgpr10_vgpr11
	s_mov_b32 s0, exec_lo
	v_cmpx_lt_u32_e32 0x438fffff, v9
	s_xor_b32 s4, exec_lo, s0
	s_cbranch_execz .LBB2_7
; %bb.6:
	v_frexp_mant_f64_e64 v[10:11], |v[6:7]|
	s_mov_b64 s[6:7], 0x3fe5555555555555
	v_cmp_neq_f64_e64 s0, 0, v[6:7]
	s_delay_alu instid0(VALU_DEP_2) | instskip(SKIP_2) | instid1(VALU_DEP_1)
	v_cmp_gt_f64_e32 vcc_lo, s[6:7], v[10:11]
	s_mov_b64 s[6:7], 0x3fc3ab76bf559e2b
	v_cndmask_b32_e64 v8, 0, 1, vcc_lo
	v_ldexp_f64 v[10:11], v[10:11], v8
	v_frexp_exp_i32_f64_e32 v8, v[6:7]
	s_delay_alu instid0(VALU_DEP_2) | instskip(SKIP_1) | instid1(VALU_DEP_3)
	v_add_f64_e32 v[12:13], 1.0, v[10:11]
	v_add_f64_e32 v[18:19], -1.0, v[10:11]
	v_subrev_co_ci_u32_e64 v8, null, 0, v8, vcc_lo
	v_cmp_neq_f64_e64 vcc_lo, 0x7ff00000, |v[6:7]|
	s_delay_alu instid0(VALU_DEP_4) | instskip(SKIP_1) | instid1(VALU_DEP_1)
	v_rcp_f64_e32 v[14:15], v[12:13]
	v_add_f64_e32 v[20:21], -1.0, v[12:13]
	v_add_f64_e64 v[10:11], v[10:11], -v[20:21]
	s_delay_alu instid0(TRANS32_DEP_1) | instskip(NEXT) | instid1(VALU_DEP_1)
	v_fma_f64 v[16:17], -v[12:13], v[14:15], 1.0
	v_fmac_f64_e32 v[14:15], v[16:17], v[14:15]
	s_delay_alu instid0(VALU_DEP_1) | instskip(NEXT) | instid1(VALU_DEP_1)
	v_fma_f64 v[16:17], -v[12:13], v[14:15], 1.0
	v_fmac_f64_e32 v[14:15], v[16:17], v[14:15]
	s_delay_alu instid0(VALU_DEP_1) | instskip(NEXT) | instid1(VALU_DEP_1)
	v_mul_f64_e32 v[16:17], v[18:19], v[14:15]
	v_mul_f64_e32 v[22:23], v[12:13], v[16:17]
	s_delay_alu instid0(VALU_DEP_1) | instskip(NEXT) | instid1(VALU_DEP_1)
	v_fma_f64 v[12:13], v[16:17], v[12:13], -v[22:23]
	v_fmac_f64_e32 v[12:13], v[16:17], v[10:11]
	s_delay_alu instid0(VALU_DEP_1) | instskip(NEXT) | instid1(VALU_DEP_1)
	v_add_f64_e32 v[10:11], v[22:23], v[12:13]
	v_add_f64_e64 v[20:21], v[18:19], -v[10:11]
	v_add_f64_e64 v[22:23], v[10:11], -v[22:23]
	s_delay_alu instid0(VALU_DEP_2) | instskip(NEXT) | instid1(VALU_DEP_2)
	v_add_f64_e64 v[18:19], v[18:19], -v[20:21]
	v_add_f64_e64 v[12:13], v[22:23], -v[12:13]
	s_delay_alu instid0(VALU_DEP_2) | instskip(NEXT) | instid1(VALU_DEP_1)
	v_add_f64_e64 v[10:11], v[18:19], -v[10:11]
	v_add_f64_e32 v[10:11], v[12:13], v[10:11]
	s_delay_alu instid0(VALU_DEP_1) | instskip(NEXT) | instid1(VALU_DEP_1)
	v_add_f64_e32 v[10:11], v[20:21], v[10:11]
	v_mul_f64_e32 v[10:11], v[14:15], v[10:11]
	s_delay_alu instid0(VALU_DEP_1) | instskip(NEXT) | instid1(VALU_DEP_1)
	v_add_f64_e32 v[12:13], v[16:17], v[10:11]
	v_mul_f64_e32 v[14:15], v[12:13], v[12:13]
	s_delay_alu instid0(VALU_DEP_1) | instskip(SKIP_2) | instid1(VALU_DEP_2)
	v_fmaak_f64 v[18:19], s[6:7], v[14:15], 0x3fc385386b47b09a
	v_mul_f64_e32 v[20:21], v[12:13], v[14:15]
	s_mov_b64 s[6:7], 0x3fe62e42fefa39ef
	v_fmaak_f64 v[18:19], v[14:15], v[18:19], 0x3fc7474dd7f4df2e
	s_delay_alu instid0(VALU_DEP_1) | instskip(NEXT) | instid1(VALU_DEP_1)
	v_fmaak_f64 v[18:19], v[14:15], v[18:19], 0x3fcc71c016291751
	v_fmaak_f64 v[18:19], v[14:15], v[18:19], 0x3fd249249b27acf1
	s_delay_alu instid0(VALU_DEP_1) | instskip(NEXT) | instid1(VALU_DEP_1)
	v_fmaak_f64 v[18:19], v[14:15], v[18:19], 0x3fd99999998ef7b6
	v_fmaak_f64 v[14:15], v[14:15], v[18:19], 0x3fe5555555555780
	v_ldexp_f64 v[18:19], v[12:13], 1
	v_add_f64_e64 v[12:13], v[12:13], -v[16:17]
	s_delay_alu instid0(VALU_DEP_3) | instskip(SKIP_1) | instid1(VALU_DEP_3)
	v_mul_f64_e32 v[14:15], v[20:21], v[14:15]
	v_cvt_f64_i32_e32 v[20:21], v8
	v_add_f64_e64 v[10:11], v[10:11], -v[12:13]
	s_delay_alu instid0(VALU_DEP_3) | instskip(NEXT) | instid1(VALU_DEP_2)
	v_add_f64_e32 v[16:17], v[18:19], v[14:15]
	v_ldexp_f64 v[10:11], v[10:11], 1
	s_delay_alu instid0(VALU_DEP_2) | instskip(SKIP_1) | instid1(VALU_DEP_2)
	v_add_f64_e64 v[12:13], v[16:17], -v[18:19]
	v_mul_f64_e32 v[18:19], 0x3fe62e42fefa39ef, v[20:21]
	v_add_f64_e64 v[12:13], v[14:15], -v[12:13]
	s_delay_alu instid0(VALU_DEP_2) | instskip(NEXT) | instid1(VALU_DEP_2)
	v_fma_f64 v[14:15], v[20:21], s[6:7], -v[18:19]
	v_add_f64_e32 v[10:11], v[10:11], v[12:13]
	s_delay_alu instid0(VALU_DEP_2) | instskip(NEXT) | instid1(VALU_DEP_1)
	v_fmamk_f64 v[12:13], v[20:21], 0x3c7abc9e3b39803f, v[14:15]
	v_add_f64_e32 v[14:15], v[18:19], v[12:13]
	s_delay_alu instid0(VALU_DEP_3) | instskip(NEXT) | instid1(VALU_DEP_2)
	v_add_f64_e32 v[20:21], v[16:17], v[10:11]
	v_add_f64_e64 v[18:19], v[14:15], -v[18:19]
	s_delay_alu instid0(VALU_DEP_2) | instskip(SKIP_1) | instid1(VALU_DEP_3)
	v_add_f64_e32 v[22:23], v[14:15], v[20:21]
	v_add_f64_e64 v[16:17], v[20:21], -v[16:17]
	v_add_f64_e64 v[12:13], v[12:13], -v[18:19]
	s_delay_alu instid0(VALU_DEP_3) | instskip(NEXT) | instid1(VALU_DEP_3)
	v_add_f64_e64 v[24:25], v[22:23], -v[14:15]
	v_add_f64_e64 v[10:11], v[10:11], -v[16:17]
	s_delay_alu instid0(VALU_DEP_2) | instskip(SKIP_1) | instid1(VALU_DEP_3)
	v_add_f64_e64 v[26:27], v[22:23], -v[24:25]
	v_add_f64_e64 v[16:17], v[20:21], -v[24:25]
	v_add_f64_e32 v[18:19], v[12:13], v[10:11]
	s_delay_alu instid0(VALU_DEP_3) | instskip(NEXT) | instid1(VALU_DEP_1)
	v_add_f64_e64 v[14:15], v[14:15], -v[26:27]
	v_add_f64_e32 v[14:15], v[16:17], v[14:15]
	s_delay_alu instid0(VALU_DEP_3) | instskip(NEXT) | instid1(VALU_DEP_2)
	v_add_f64_e64 v[16:17], v[18:19], -v[12:13]
	v_add_f64_e32 v[14:15], v[18:19], v[14:15]
	s_delay_alu instid0(VALU_DEP_2) | instskip(SKIP_1) | instid1(VALU_DEP_3)
	v_add_f64_e64 v[18:19], v[18:19], -v[16:17]
	v_add_f64_e64 v[10:11], v[10:11], -v[16:17]
	v_add_f64_e32 v[20:21], v[22:23], v[14:15]
	s_delay_alu instid0(VALU_DEP_3) | instskip(NEXT) | instid1(VALU_DEP_2)
	v_add_f64_e64 v[12:13], v[12:13], -v[18:19]
	v_add_f64_e64 v[16:17], v[20:21], -v[22:23]
	s_delay_alu instid0(VALU_DEP_2) | instskip(NEXT) | instid1(VALU_DEP_2)
	v_add_f64_e32 v[10:11], v[10:11], v[12:13]
	v_add_f64_e64 v[12:13], v[14:15], -v[16:17]
	s_delay_alu instid0(VALU_DEP_1) | instskip(NEXT) | instid1(VALU_DEP_1)
	v_add_f64_e32 v[10:11], v[10:11], v[12:13]
	v_add_f64_e32 v[10:11], v[20:21], v[10:11]
	s_delay_alu instid0(VALU_DEP_1) | instskip(SKIP_1) | instid1(VALU_DEP_2)
	v_cndmask_b32_e32 v8, 0x7ff00000, v11, vcc_lo
	s_and_b32 vcc_lo, s0, vcc_lo
	v_cndmask_b32_e32 v10, 0, v10, vcc_lo
	s_delay_alu instid0(VALU_DEP_2) | instskip(NEXT) | instid1(VALU_DEP_1)
	v_cndmask_b32_e64 v11, 0xfff00000, v8, s0
	v_fma_f64 v[10:11], |v[6:7]|, v[10:11], -|v[6:7]|
.LBB2_7:
	s_and_not1_saveexec_b32 s4, s4
	s_cbranch_execz .LBB2_9
; %bb.8:
	v_frexp_mant_f64_e64 v[10:11], |v[6:7]|
	s_mov_b64 s[6:7], 0x3fe5555555555555
	v_cmp_neq_f64_e64 s0, 0, v[6:7]
	s_delay_alu instid0(VALU_DEP_2) | instskip(SKIP_2) | instid1(VALU_DEP_1)
	v_cmp_gt_f64_e32 vcc_lo, s[6:7], v[10:11]
	s_mov_b64 s[6:7], 0x3fc3ab76bf559e2b
	v_cndmask_b32_e64 v8, 0, 1, vcc_lo
	v_ldexp_f64 v[10:11], v[10:11], v8
	v_frexp_exp_i32_f64_e32 v8, v[6:7]
	s_delay_alu instid0(VALU_DEP_2) | instskip(SKIP_1) | instid1(VALU_DEP_3)
	v_add_f64_e32 v[12:13], 1.0, v[10:11]
	v_add_f64_e32 v[18:19], -1.0, v[10:11]
	v_subrev_co_ci_u32_e64 v8, null, 0, v8, vcc_lo
	s_delay_alu instid0(VALU_DEP_3) | instskip(SKIP_1) | instid1(VALU_DEP_1)
	v_rcp_f64_e32 v[14:15], v[12:13]
	v_add_f64_e32 v[20:21], -1.0, v[12:13]
	v_add_f64_e64 v[10:11], v[10:11], -v[20:21]
	s_delay_alu instid0(TRANS32_DEP_1) | instskip(NEXT) | instid1(VALU_DEP_1)
	v_fma_f64 v[16:17], -v[12:13], v[14:15], 1.0
	v_fmac_f64_e32 v[14:15], v[16:17], v[14:15]
	s_delay_alu instid0(VALU_DEP_1) | instskip(NEXT) | instid1(VALU_DEP_1)
	v_fma_f64 v[16:17], -v[12:13], v[14:15], 1.0
	v_fmac_f64_e32 v[14:15], v[16:17], v[14:15]
	s_delay_alu instid0(VALU_DEP_1) | instskip(NEXT) | instid1(VALU_DEP_1)
	v_mul_f64_e32 v[16:17], v[18:19], v[14:15]
	v_mul_f64_e32 v[22:23], v[12:13], v[16:17]
	s_delay_alu instid0(VALU_DEP_1) | instskip(NEXT) | instid1(VALU_DEP_1)
	v_fma_f64 v[12:13], v[16:17], v[12:13], -v[22:23]
	v_fmac_f64_e32 v[12:13], v[16:17], v[10:11]
	s_delay_alu instid0(VALU_DEP_1) | instskip(NEXT) | instid1(VALU_DEP_1)
	v_add_f64_e32 v[10:11], v[22:23], v[12:13]
	v_add_f64_e64 v[20:21], v[18:19], -v[10:11]
	v_add_f64_e64 v[22:23], v[10:11], -v[22:23]
	s_delay_alu instid0(VALU_DEP_2) | instskip(NEXT) | instid1(VALU_DEP_2)
	v_add_f64_e64 v[18:19], v[18:19], -v[20:21]
	v_add_f64_e64 v[12:13], v[22:23], -v[12:13]
	s_delay_alu instid0(VALU_DEP_2) | instskip(NEXT) | instid1(VALU_DEP_1)
	v_add_f64_e64 v[10:11], v[18:19], -v[10:11]
	v_add_f64_e32 v[10:11], v[12:13], v[10:11]
	s_delay_alu instid0(VALU_DEP_1) | instskip(NEXT) | instid1(VALU_DEP_1)
	v_add_f64_e32 v[10:11], v[20:21], v[10:11]
	v_mul_f64_e32 v[10:11], v[14:15], v[10:11]
	s_delay_alu instid0(VALU_DEP_1) | instskip(NEXT) | instid1(VALU_DEP_1)
	v_add_f64_e32 v[12:13], v[16:17], v[10:11]
	v_mul_f64_e32 v[14:15], v[12:13], v[12:13]
	s_delay_alu instid0(VALU_DEP_1) | instskip(SKIP_2) | instid1(VALU_DEP_2)
	v_fmaak_f64 v[18:19], s[6:7], v[14:15], 0x3fc385386b47b09a
	v_mul_f64_e32 v[20:21], v[12:13], v[14:15]
	s_mov_b64 s[6:7], 0x3fe62e42fefa39ef
	v_fmaak_f64 v[18:19], v[14:15], v[18:19], 0x3fc7474dd7f4df2e
	s_delay_alu instid0(VALU_DEP_1) | instskip(NEXT) | instid1(VALU_DEP_1)
	v_fmaak_f64 v[18:19], v[14:15], v[18:19], 0x3fcc71c016291751
	v_fmaak_f64 v[18:19], v[14:15], v[18:19], 0x3fd249249b27acf1
	s_delay_alu instid0(VALU_DEP_1) | instskip(NEXT) | instid1(VALU_DEP_1)
	v_fmaak_f64 v[18:19], v[14:15], v[18:19], 0x3fd99999998ef7b6
	v_fmaak_f64 v[14:15], v[14:15], v[18:19], 0x3fe5555555555780
	v_ldexp_f64 v[18:19], v[12:13], 1
	v_add_f64_e64 v[12:13], v[12:13], -v[16:17]
	s_delay_alu instid0(VALU_DEP_3) | instskip(SKIP_2) | instid1(VALU_DEP_1)
	v_mul_f64_e32 v[14:15], v[20:21], v[14:15]
	v_cvt_f64_i32_e32 v[20:21], v8
	v_mov_b32_e32 v8, v6
	v_div_scale_f64 v[24:25], null, v[8:9], v[8:9], 1.0
	v_add_f64_e64 v[10:11], v[10:11], -v[12:13]
	v_add_f64_e32 v[16:17], v[18:19], v[14:15]
	s_delay_alu instid0(VALU_DEP_3) | instskip(NEXT) | instid1(VALU_DEP_2)
	v_rcp_f64_e32 v[28:29], v[24:25]
	v_ldexp_f64 v[10:11], v[10:11], 1
	s_delay_alu instid0(VALU_DEP_2) | instskip(SKIP_1) | instid1(TRANS32_DEP_1)
	v_add_f64_e64 v[12:13], v[16:17], -v[18:19]
	v_mul_f64_e32 v[18:19], 0x3fe62e42fefa39ef, v[20:21]
	v_fma_f64 v[32:33], -v[24:25], v[28:29], 1.0
	s_delay_alu instid0(VALU_DEP_3) | instskip(NEXT) | instid1(VALU_DEP_3)
	v_add_f64_e64 v[12:13], v[14:15], -v[12:13]
	v_fma_f64 v[14:15], v[20:21], s[6:7], -v[18:19]
	s_mov_b64 s[6:7], 0xbf5ab89d0b9e43e4
	s_delay_alu instid0(VALU_DEP_3) | instskip(NEXT) | instid1(VALU_DEP_3)
	v_fmac_f64_e32 v[28:29], v[28:29], v[32:33]
	v_add_f64_e32 v[10:11], v[10:11], v[12:13]
	s_delay_alu instid0(VALU_DEP_3) | instskip(NEXT) | instid1(VALU_DEP_1)
	v_fmamk_f64 v[12:13], v[20:21], 0x3c7abc9e3b39803f, v[14:15]
	v_add_f64_e32 v[14:15], v[18:19], v[12:13]
	s_delay_alu instid0(VALU_DEP_3) | instskip(NEXT) | instid1(VALU_DEP_2)
	v_add_f64_e32 v[20:21], v[16:17], v[10:11]
	v_add_f64_e64 v[18:19], v[14:15], -v[18:19]
	s_delay_alu instid0(VALU_DEP_2) | instskip(SKIP_1) | instid1(VALU_DEP_3)
	v_add_f64_e32 v[22:23], v[14:15], v[20:21]
	v_add_f64_e64 v[16:17], v[20:21], -v[16:17]
	v_add_f64_e64 v[12:13], v[12:13], -v[18:19]
	s_delay_alu instid0(VALU_DEP_3) | instskip(NEXT) | instid1(VALU_DEP_3)
	v_add_f64_e64 v[26:27], v[22:23], -v[14:15]
	v_add_f64_e64 v[10:11], v[10:11], -v[16:17]
	s_delay_alu instid0(VALU_DEP_2) | instskip(SKIP_1) | instid1(VALU_DEP_3)
	v_add_f64_e64 v[30:31], v[22:23], -v[26:27]
	v_add_f64_e64 v[16:17], v[20:21], -v[26:27]
	v_add_f64_e32 v[18:19], v[12:13], v[10:11]
	v_div_scale_f64 v[26:27], vcc_lo, 1.0, v[8:9], 1.0
	s_delay_alu instid0(VALU_DEP_4) | instskip(NEXT) | instid1(VALU_DEP_3)
	v_add_f64_e64 v[14:15], v[14:15], -v[30:31]
	v_add_f64_e64 v[20:21], v[18:19], -v[12:13]
	s_delay_alu instid0(VALU_DEP_2) | instskip(SKIP_1) | instid1(VALU_DEP_3)
	v_add_f64_e32 v[14:15], v[16:17], v[14:15]
	v_fma_f64 v[16:17], -v[24:25], v[28:29], 1.0
	v_add_f64_e64 v[10:11], v[10:11], -v[20:21]
	s_delay_alu instid0(VALU_DEP_3) | instskip(NEXT) | instid1(VALU_DEP_3)
	v_add_f64_e32 v[14:15], v[18:19], v[14:15]
	v_fmac_f64_e32 v[28:29], v[28:29], v[16:17]
	v_add_f64_e64 v[16:17], v[18:19], -v[20:21]
	s_delay_alu instid0(VALU_DEP_3) | instskip(NEXT) | instid1(VALU_DEP_3)
	v_add_f64_e32 v[18:19], v[22:23], v[14:15]
	v_mul_f64_e32 v[30:31], v[26:27], v[28:29]
	s_delay_alu instid0(VALU_DEP_3) | instskip(NEXT) | instid1(VALU_DEP_3)
	v_add_f64_e64 v[12:13], v[12:13], -v[16:17]
	v_add_f64_e64 v[16:17], v[18:19], -v[22:23]
	s_delay_alu instid0(VALU_DEP_3) | instskip(NEXT) | instid1(VALU_DEP_3)
	v_fma_f64 v[20:21], -v[24:25], v[30:31], v[26:27]
	v_add_f64_e32 v[10:11], v[10:11], v[12:13]
	s_delay_alu instid0(VALU_DEP_3) | instskip(NEXT) | instid1(VALU_DEP_3)
	v_add_f64_e64 v[12:13], v[14:15], -v[16:17]
	v_div_fmas_f64 v[14:15], v[20:21], v[28:29], v[30:31]
	v_cmp_neq_f64_e64 vcc_lo, 0x7ff00000, |v[6:7]|
	s_delay_alu instid0(VALU_DEP_3) | instskip(NEXT) | instid1(VALU_DEP_3)
	v_add_f64_e32 v[10:11], v[10:11], v[12:13]
	v_div_fixup_f64 v[12:13], v[14:15], |v[6:7]|, 1.0
	s_delay_alu instid0(VALU_DEP_2) | instskip(NEXT) | instid1(VALU_DEP_2)
	v_add_f64_e32 v[10:11], v[18:19], v[10:11]
	v_mul_f64_e32 v[14:15], v[12:13], v[12:13]
	v_add_f64_e64 v[18:19], |v[6:7]|, -0.5
	s_delay_alu instid0(VALU_DEP_3) | instskip(NEXT) | instid1(VALU_DEP_3)
	v_add_f64_e32 v[16:17], -1.0, v[10:11]
	v_fmaak_f64 v[10:11], s[6:7], v[14:15], 0x3f4b67ba4cdad5d1
	s_delay_alu instid0(VALU_DEP_1) | instskip(NEXT) | instid1(VALU_DEP_1)
	v_fmaak_f64 v[10:11], v[14:15], v[10:11], 0xbf4380cb8c0fe741
	v_fmaak_f64 v[10:11], v[14:15], v[10:11], 0x3f4a019f98cf38b6
	s_delay_alu instid0(VALU_DEP_1) | instskip(NEXT) | instid1(VALU_DEP_1)
	v_fmaak_f64 v[10:11], v[14:15], v[10:11], 0xbf66c16c16b02e5c
	v_fmaak_f64 v[10:11], v[14:15], v[10:11], 0x3fb555555555553b
	v_cndmask_b32_e32 v8, 0x7ff00000, v17, vcc_lo
	s_and_b32 vcc_lo, s0, vcc_lo
	s_delay_alu instid0(VALU_DEP_2) | instskip(NEXT) | instid1(VALU_DEP_2)
	v_fmaak_f64 v[10:11], v[12:13], v[10:11], 0x3fdacfe390c97d69
	v_cndmask_b32_e64 v13, 0xfff00000, v8, s0
	v_cndmask_b32_e32 v12, 0, v16, vcc_lo
	s_delay_alu instid0(VALU_DEP_1)
	v_fmac_f64_e32 v[10:11], v[18:19], v[12:13]
.LBB2_9:
	s_or_b32 exec_lo, exec_lo, s4
.LBB2_10:
	s_and_not1_saveexec_b32 s2, s2
	s_cbranch_execz .LBB2_12
; %bb.11:
	v_cvt_i32_f64_e32 v8, v[8:9]
	s_mov_b64 s[4:5], 0x3fe5555555555555
	s_delay_alu instid0(VALU_DEP_1) | instskip(SKIP_2) | instid1(VALU_DEP_3)
	v_cvt_f64_i32_e32 v[10:11], v8
	v_cmp_lt_i32_e32 vcc_lo, 2, v8
	v_cmp_lt_i32_e64 s0, 3, v8
	v_add_f64_e64 v[10:11], |v[6:7]|, -v[10:11]
	s_delay_alu instid0(VALU_DEP_1) | instskip(SKIP_2) | instid1(VALU_DEP_2)
	v_add_f64_e32 v[16:17], 4.0, v[10:11]
	v_add_f64_e32 v[12:13], 2.0, v[10:11]
	v_add_f64_e32 v[14:15], 0x40080000, v[10:11]
	v_cndmask_b32_e32 v13, 0x3ff00000, v13, vcc_lo
	s_delay_alu instid0(VALU_DEP_3) | instskip(SKIP_1) | instid1(VALU_DEP_4)
	v_cndmask_b32_e32 v12, 0, v12, vcc_lo
	v_cmp_lt_i32_e32 vcc_lo, 4, v8
	v_cndmask_b32_e64 v15, 0x3ff00000, v15, s0
	v_cndmask_b32_e32 v17, 0x3ff00000, v17, vcc_lo
	v_dual_cndmask_b32 v16, 0, v16, vcc_lo :: v_dual_cndmask_b32 v14, 0, v14, s0
	v_cmp_lt_i32_e32 vcc_lo, 5, v8
	s_delay_alu instid0(VALU_DEP_2) | instskip(SKIP_1) | instid1(VALU_DEP_2)
	v_mul_f64_e32 v[12:13], v[12:13], v[14:15]
	v_add_f64_e32 v[14:15], 0x40140000, v[10:11]
	v_mul_f64_e32 v[12:13], v[16:17], v[12:13]
	v_add_f64_e32 v[16:17], 0x40180000, v[10:11]
	s_delay_alu instid0(VALU_DEP_3) | instskip(NEXT) | instid1(VALU_DEP_4)
	v_cndmask_b32_e32 v15, 0x3ff00000, v15, vcc_lo
	v_cndmask_b32_e32 v14, 0, v14, vcc_lo
	v_cmp_lt_i32_e32 vcc_lo, 6, v8
	s_delay_alu instid0(VALU_DEP_2) | instskip(SKIP_2) | instid1(VALU_DEP_1)
	v_mul_f64_e32 v[12:13], v[14:15], v[12:13]
	v_cndmask_b32_e32 v15, 0x3ff00000, v17, vcc_lo
	v_cndmask_b32_e32 v14, 0, v16, vcc_lo
	v_mul_f64_e32 v[12:13], v[14:15], v[12:13]
	s_delay_alu instid0(VALU_DEP_1) | instskip(NEXT) | instid1(VALU_DEP_1)
	v_frexp_mant_f64_e32 v[14:15], v[12:13]
	v_cmp_gt_f64_e32 vcc_lo, s[4:5], v[14:15]
	s_mov_b64 s[4:5], 0x3fc3ab76bf559e2b
	v_cndmask_b32_e64 v8, 0, 1, vcc_lo
	s_delay_alu instid0(VALU_DEP_1) | instskip(SKIP_1) | instid1(VALU_DEP_2)
	v_ldexp_f64 v[14:15], v[14:15], v8
	v_frexp_exp_i32_f64_e32 v8, v[12:13]
	v_add_f64_e32 v[16:17], 1.0, v[14:15]
	v_add_f64_e32 v[22:23], -1.0, v[14:15]
	s_delay_alu instid0(VALU_DEP_3) | instskip(NEXT) | instid1(VALU_DEP_3)
	v_subrev_co_ci_u32_e64 v8, null, 0, v8, vcc_lo
	v_rcp_f64_e32 v[18:19], v[16:17]
	v_add_f64_e32 v[24:25], -1.0, v[16:17]
	s_delay_alu instid0(VALU_DEP_1) | instskip(NEXT) | instid1(TRANS32_DEP_1)
	v_add_f64_e64 v[14:15], v[14:15], -v[24:25]
	v_fma_f64 v[20:21], -v[16:17], v[18:19], 1.0
	s_delay_alu instid0(VALU_DEP_1) | instskip(NEXT) | instid1(VALU_DEP_1)
	v_fmac_f64_e32 v[18:19], v[20:21], v[18:19]
	v_fma_f64 v[20:21], -v[16:17], v[18:19], 1.0
	s_delay_alu instid0(VALU_DEP_1) | instskip(NEXT) | instid1(VALU_DEP_1)
	v_fmac_f64_e32 v[18:19], v[20:21], v[18:19]
	v_mul_f64_e32 v[20:21], v[22:23], v[18:19]
	s_delay_alu instid0(VALU_DEP_1) | instskip(NEXT) | instid1(VALU_DEP_1)
	v_mul_f64_e32 v[26:27], v[16:17], v[20:21]
	v_fma_f64 v[16:17], v[20:21], v[16:17], -v[26:27]
	s_delay_alu instid0(VALU_DEP_1) | instskip(NEXT) | instid1(VALU_DEP_1)
	v_fmac_f64_e32 v[16:17], v[20:21], v[14:15]
	v_add_f64_e32 v[14:15], v[26:27], v[16:17]
	s_delay_alu instid0(VALU_DEP_1) | instskip(SKIP_1) | instid1(VALU_DEP_2)
	v_add_f64_e64 v[24:25], v[22:23], -v[14:15]
	v_add_f64_e64 v[26:27], v[14:15], -v[26:27]
	;; [unrolled: 1-line block ×3, first 2 shown]
	s_delay_alu instid0(VALU_DEP_2) | instskip(NEXT) | instid1(VALU_DEP_2)
	v_add_f64_e64 v[16:17], v[26:27], -v[16:17]
	v_add_f64_e64 v[14:15], v[22:23], -v[14:15]
	s_delay_alu instid0(VALU_DEP_1) | instskip(NEXT) | instid1(VALU_DEP_1)
	v_add_f64_e32 v[14:15], v[16:17], v[14:15]
	v_add_f64_e32 v[14:15], v[24:25], v[14:15]
	s_delay_alu instid0(VALU_DEP_1) | instskip(NEXT) | instid1(VALU_DEP_1)
	v_mul_f64_e32 v[14:15], v[18:19], v[14:15]
	v_add_f64_e32 v[16:17], v[20:21], v[14:15]
	s_delay_alu instid0(VALU_DEP_1) | instskip(NEXT) | instid1(VALU_DEP_1)
	v_mul_f64_e32 v[18:19], v[16:17], v[16:17]
	v_fmaak_f64 v[22:23], s[4:5], v[18:19], 0x3fc385386b47b09a
	v_mul_f64_e32 v[24:25], v[16:17], v[18:19]
	s_mov_b64 s[4:5], 0x3fe62e42fefa39ef
	s_delay_alu instid0(VALU_DEP_2) | instskip(NEXT) | instid1(VALU_DEP_1)
	v_fmaak_f64 v[22:23], v[18:19], v[22:23], 0x3fc7474dd7f4df2e
	v_fmaak_f64 v[22:23], v[18:19], v[22:23], 0x3fcc71c016291751
	s_delay_alu instid0(VALU_DEP_1) | instskip(NEXT) | instid1(VALU_DEP_1)
	v_fmaak_f64 v[22:23], v[18:19], v[22:23], 0x3fd249249b27acf1
	v_fmaak_f64 v[22:23], v[18:19], v[22:23], 0x3fd99999998ef7b6
	s_delay_alu instid0(VALU_DEP_1) | instskip(SKIP_2) | instid1(VALU_DEP_3)
	v_fmaak_f64 v[18:19], v[18:19], v[22:23], 0x3fe5555555555780
	v_ldexp_f64 v[22:23], v[16:17], 1
	v_add_f64_e64 v[16:17], v[16:17], -v[20:21]
	v_mul_f64_e32 v[18:19], v[24:25], v[18:19]
	v_cvt_f64_i32_e32 v[24:25], v8
	s_delay_alu instid0(VALU_DEP_3) | instskip(NEXT) | instid1(VALU_DEP_3)
	v_add_f64_e64 v[14:15], v[14:15], -v[16:17]
	v_add_f64_e32 v[20:21], v[22:23], v[18:19]
	s_delay_alu instid0(VALU_DEP_2) | instskip(NEXT) | instid1(VALU_DEP_2)
	v_ldexp_f64 v[14:15], v[14:15], 1
	v_add_f64_e64 v[16:17], v[20:21], -v[22:23]
	v_mul_f64_e32 v[22:23], 0x3fe62e42fefa39ef, v[24:25]
	s_delay_alu instid0(VALU_DEP_2) | instskip(NEXT) | instid1(VALU_DEP_2)
	v_add_f64_e64 v[16:17], v[18:19], -v[16:17]
	v_fma_f64 v[18:19], v[24:25], s[4:5], -v[22:23]
	s_mov_b64 s[4:5], 0x3f00bfecdd17e945
	s_delay_alu instid0(SALU_CYCLE_1) | instskip(SKIP_1) | instid1(VALU_DEP_1)
	v_fmaak_f64 v[26:27], s[4:5], v[10:11], 0x3f5e26b67368f239
	s_mov_b64 s[4:5], 0x3edebaf7a5b38140
	v_fmaak_f64 v[26:27], v[10:11], v[26:27], 0x3f9b481c7e939961
	s_delay_alu instid0(VALU_DEP_1) | instskip(NEXT) | instid1(VALU_DEP_1)
	v_fmaak_f64 v[26:27], v[10:11], v[26:27], 0x3fc2bb9cbee5f2f7
	v_fmaak_f64 v[26:27], v[10:11], v[26:27], 0x3fd4d98f4f139f59
	v_add_f64_e32 v[14:15], v[14:15], v[16:17]
	v_fmaak_f64 v[16:17], s[4:5], v[10:11], 0x3f497ddaca41a95b
	v_fmamk_f64 v[18:19], v[24:25], 0x3c7abc9e3b39803f, v[18:19]
	s_delay_alu instid0(VALU_DEP_4) | instskip(NEXT) | instid1(VALU_DEP_3)
	v_fmaak_f64 v[24:25], v[10:11], v[26:27], 0x3fcb848b36e20878
	v_fmaak_f64 v[16:17], v[10:11], v[16:17], 0x3f9317ea742ed475
	s_delay_alu instid0(VALU_DEP_3) | instskip(NEXT) | instid1(VALU_DEP_3)
	v_add_f64_e32 v[26:27], v[22:23], v[18:19]
	v_fmaak_f64 v[24:25], v[10:11], v[24:25], 0xbfb3c467e37db0c8
	s_delay_alu instid0(VALU_DEP_3) | instskip(NEXT) | instid1(VALU_DEP_2)
	v_fmaak_f64 v[16:17], v[10:11], v[16:17], 0x3fc601edccfbdf27
	v_mul_f64_e32 v[24:25], v[10:11], v[24:25]
	s_delay_alu instid0(VALU_DEP_2) | instskip(NEXT) | instid1(VALU_DEP_1)
	v_fmaak_f64 v[16:17], v[10:11], v[16:17], 0x3fe71a1893d3dcdc
	v_fmaak_f64 v[16:17], v[10:11], v[16:17], 0x3ff645a762c4ab74
	v_add_f64_e32 v[28:29], v[20:21], v[14:15]
	s_delay_alu instid0(VALU_DEP_2) | instskip(SKIP_1) | instid1(VALU_DEP_3)
	v_fma_f64 v[16:17], v[10:11], v[16:17], 1.0
	v_add_f64_e64 v[22:23], v[26:27], -v[22:23]
	v_add_f64_e32 v[30:31], v[26:27], v[28:29]
	v_add_f64_e64 v[20:21], v[28:29], -v[20:21]
	s_delay_alu instid0(VALU_DEP_4) | instskip(NEXT) | instid1(VALU_DEP_4)
	v_div_scale_f64 v[32:33], null, v[16:17], v[16:17], v[24:25]
	v_add_f64_e64 v[18:19], v[18:19], -v[22:23]
	s_delay_alu instid0(VALU_DEP_4) | instskip(NEXT) | instid1(VALU_DEP_4)
	v_add_f64_e64 v[34:35], v[30:31], -v[26:27]
	v_add_f64_e64 v[14:15], v[14:15], -v[20:21]
	s_delay_alu instid0(VALU_DEP_4) | instskip(NEXT) | instid1(VALU_DEP_2)
	v_rcp_f64_e32 v[36:37], v[32:33]
	v_add_f64_e64 v[38:39], v[30:31], -v[34:35]
	v_add_f64_e64 v[20:21], v[28:29], -v[34:35]
	v_div_scale_f64 v[34:35], vcc_lo, v[24:25], v[16:17], v[24:25]
	s_delay_alu instid0(TRANS32_DEP_1) | instskip(NEXT) | instid1(VALU_DEP_4)
	v_fma_f64 v[48:49], -v[32:33], v[36:37], 1.0
	v_add_f64_e64 v[22:23], v[26:27], -v[38:39]
	v_add_f64_e32 v[26:27], v[18:19], v[14:15]
	s_delay_alu instid0(VALU_DEP_3) | instskip(NEXT) | instid1(VALU_DEP_3)
	v_fmac_f64_e32 v[36:37], v[36:37], v[48:49]
	v_add_f64_e32 v[20:21], v[20:21], v[22:23]
	s_delay_alu instid0(VALU_DEP_3) | instskip(NEXT) | instid1(VALU_DEP_3)
	v_add_f64_e64 v[28:29], v[26:27], -v[18:19]
	v_fma_f64 v[22:23], -v[32:33], v[36:37], 1.0
	s_delay_alu instid0(VALU_DEP_3) | instskip(NEXT) | instid1(VALU_DEP_3)
	v_add_f64_e32 v[20:21], v[26:27], v[20:21]
	v_add_f64_e64 v[14:15], v[14:15], -v[28:29]
	s_delay_alu instid0(VALU_DEP_3) | instskip(SKIP_1) | instid1(VALU_DEP_4)
	v_fmac_f64_e32 v[36:37], v[36:37], v[22:23]
	v_add_f64_e64 v[22:23], v[26:27], -v[28:29]
	v_add_f64_e32 v[26:27], v[30:31], v[20:21]
	s_delay_alu instid0(VALU_DEP_3) | instskip(NEXT) | instid1(VALU_DEP_3)
	v_mul_f64_e32 v[38:39], v[34:35], v[36:37]
	v_add_f64_e64 v[18:19], v[18:19], -v[22:23]
	s_delay_alu instid0(VALU_DEP_3) | instskip(NEXT) | instid1(VALU_DEP_3)
	v_add_f64_e64 v[22:23], v[26:27], -v[30:31]
	v_fma_f64 v[28:29], -v[32:33], v[38:39], v[34:35]
	s_delay_alu instid0(VALU_DEP_3) | instskip(NEXT) | instid1(VALU_DEP_3)
	v_add_f64_e32 v[14:15], v[14:15], v[18:19]
	v_add_f64_e64 v[18:19], v[20:21], -v[22:23]
	s_delay_alu instid0(VALU_DEP_3) | instskip(SKIP_1) | instid1(VALU_DEP_3)
	v_div_fmas_f64 v[20:21], v[28:29], v[36:37], v[38:39]
	v_cmp_class_f64_e64 vcc_lo, v[12:13], 0x204
	v_add_f64_e32 v[14:15], v[14:15], v[18:19]
	s_delay_alu instid0(VALU_DEP_3) | instskip(NEXT) | instid1(VALU_DEP_2)
	v_div_fixup_f64 v[16:17], v[20:21], v[16:17], v[24:25]
	v_add_f64_e32 v[14:15], v[26:27], v[14:15]
	s_delay_alu instid0(VALU_DEP_2) | instskip(NEXT) | instid1(VALU_DEP_2)
	v_fmac_f64_e32 v[16:17], 0.5, v[10:11]
	v_dual_cndmask_b32 v8, v14, v12, vcc_lo :: v_dual_cndmask_b32 v10, v15, v13, vcc_lo
	v_cmp_ngt_f64_e32 vcc_lo, 0, v[12:13]
	s_delay_alu instid0(VALU_DEP_2) | instskip(SKIP_1) | instid1(VALU_DEP_4)
	v_cndmask_b32_e32 v11, 0x7ff80000, v10, vcc_lo
	v_cmp_nge_f64_e32 vcc_lo, 0, v[12:13]
	v_cndmask_b32_e32 v10, 0, v8, vcc_lo
	v_cmp_neq_f64_e32 vcc_lo, 0, v[12:13]
	s_delay_alu instid0(VALU_DEP_4) | instskip(NEXT) | instid1(VALU_DEP_1)
	v_cndmask_b32_e32 v11, 0xfff00000, v11, vcc_lo
	v_add_f64_e32 v[10:11], v[16:17], v[10:11]
.LBB2_12:
	s_or_b32 exec_lo, exec_lo, s2
.LBB2_13:
	s_and_not1_saveexec_b32 s4, s1
	s_cbranch_execz .LBB2_27
; %bb.14:
                                        ; implicit-def: $vgpr8
                                        ; implicit-def: $vgpr12_vgpr13
	s_mov_b32 s0, exec_lo
	v_cmpx_lt_u32_e32 0x3feccccc, v9
	s_xor_b32 s1, exec_lo, s0
	s_cbranch_execz .LBB2_16
; %bb.15:
	s_mov_b64 s[6:7], 0xbff762d86356be3f
	v_add_f64_e64 v[10:11], -|v[6:7]|, 2.0
	v_add_f64_e64 v[12:13], |v[6:7]|, s[6:7]
	v_add_f64_e64 v[14:15], |v[6:7]|, -1.0
	v_cmp_gt_u32_e32 vcc_lo, 0x3ffbb4c3, v9
	v_cmp_gt_u32_e64 s0, 0x3ff3b4c4, v9
	s_delay_alu instid0(VALU_DEP_4) | instskip(SKIP_1) | instid1(VALU_DEP_2)
	v_dual_cndmask_b32 v8, v10, v12, vcc_lo :: v_dual_cndmask_b32 v10, v11, v13, vcc_lo
	v_cndmask_b32_e64 v11, 0, 1, vcc_lo
	v_dual_cndmask_b32 v12, v8, v14, s0 :: v_dual_cndmask_b32 v13, v10, v15, s0
	s_delay_alu instid0(VALU_DEP_2)
	v_cndmask_b32_e64 v8, v11, 2, s0
.LBB2_16:
	s_or_saveexec_b32 s5, s1
	v_mov_b64_e32 v[10:11], 0
	s_xor_b32 exec_lo, exec_lo, s5
	s_cbranch_execz .LBB2_18
; %bb.17:
	v_frexp_mant_f64_e64 v[10:11], |v[6:7]|
	s_mov_b64 s[0:1], 0x3fe5555555555555
	v_cmp_gt_u32_e64 s2, 0x3fcda661, v9
	s_delay_alu instid0(VALU_DEP_2) | instskip(SKIP_2) | instid1(VALU_DEP_1)
	v_cmp_gt_f64_e32 vcc_lo, s[0:1], v[10:11]
	s_mov_b64 s[0:1], 0x3fc3ab76bf559e2b
	v_cndmask_b32_e64 v8, 0, 1, vcc_lo
	v_ldexp_f64 v[10:11], v[10:11], v8
	v_frexp_exp_i32_f64_e32 v8, v[6:7]
	s_delay_alu instid0(VALU_DEP_2) | instskip(SKIP_1) | instid1(VALU_DEP_3)
	v_add_f64_e32 v[12:13], 1.0, v[10:11]
	v_add_f64_e32 v[18:19], -1.0, v[10:11]
	v_subrev_co_ci_u32_e64 v8, null, 0, v8, vcc_lo
	v_cmp_neq_f64_e64 vcc_lo, 0x7ff00000, |v[6:7]|
	s_delay_alu instid0(VALU_DEP_4) | instskip(SKIP_1) | instid1(VALU_DEP_1)
	v_rcp_f64_e32 v[14:15], v[12:13]
	v_add_f64_e32 v[20:21], -1.0, v[12:13]
	v_add_f64_e64 v[10:11], v[10:11], -v[20:21]
	s_delay_alu instid0(TRANS32_DEP_1) | instskip(NEXT) | instid1(VALU_DEP_1)
	v_fma_f64 v[16:17], -v[12:13], v[14:15], 1.0
	v_fmac_f64_e32 v[14:15], v[16:17], v[14:15]
	s_delay_alu instid0(VALU_DEP_1) | instskip(NEXT) | instid1(VALU_DEP_1)
	v_fma_f64 v[16:17], -v[12:13], v[14:15], 1.0
	v_fmac_f64_e32 v[14:15], v[16:17], v[14:15]
	s_delay_alu instid0(VALU_DEP_1) | instskip(NEXT) | instid1(VALU_DEP_1)
	v_mul_f64_e32 v[16:17], v[18:19], v[14:15]
	v_mul_f64_e32 v[22:23], v[12:13], v[16:17]
	s_delay_alu instid0(VALU_DEP_1) | instskip(NEXT) | instid1(VALU_DEP_1)
	v_fma_f64 v[12:13], v[16:17], v[12:13], -v[22:23]
	v_fmac_f64_e32 v[12:13], v[16:17], v[10:11]
	s_delay_alu instid0(VALU_DEP_1) | instskip(NEXT) | instid1(VALU_DEP_1)
	v_add_f64_e32 v[10:11], v[22:23], v[12:13]
	v_add_f64_e64 v[20:21], v[18:19], -v[10:11]
	v_add_f64_e64 v[22:23], v[10:11], -v[22:23]
	s_delay_alu instid0(VALU_DEP_2) | instskip(NEXT) | instid1(VALU_DEP_2)
	v_add_f64_e64 v[18:19], v[18:19], -v[20:21]
	v_add_f64_e64 v[12:13], v[22:23], -v[12:13]
	s_delay_alu instid0(VALU_DEP_2) | instskip(NEXT) | instid1(VALU_DEP_1)
	v_add_f64_e64 v[10:11], v[18:19], -v[10:11]
	v_add_f64_e32 v[10:11], v[12:13], v[10:11]
	s_delay_alu instid0(VALU_DEP_1) | instskip(NEXT) | instid1(VALU_DEP_1)
	v_add_f64_e32 v[10:11], v[20:21], v[10:11]
	v_mul_f64_e32 v[10:11], v[14:15], v[10:11]
	s_delay_alu instid0(VALU_DEP_1) | instskip(NEXT) | instid1(VALU_DEP_1)
	v_add_f64_e32 v[12:13], v[16:17], v[10:11]
	v_mul_f64_e32 v[14:15], v[12:13], v[12:13]
	s_delay_alu instid0(VALU_DEP_1) | instskip(SKIP_2) | instid1(VALU_DEP_2)
	v_fmaak_f64 v[18:19], s[0:1], v[14:15], 0x3fc385386b47b09a
	v_mul_f64_e32 v[20:21], v[12:13], v[14:15]
	s_mov_b64 s[0:1], 0x3fe62e42fefa39ef
	v_fmaak_f64 v[18:19], v[14:15], v[18:19], 0x3fc7474dd7f4df2e
	s_delay_alu instid0(VALU_DEP_1) | instskip(NEXT) | instid1(VALU_DEP_1)
	v_fmaak_f64 v[18:19], v[14:15], v[18:19], 0x3fcc71c016291751
	v_fmaak_f64 v[18:19], v[14:15], v[18:19], 0x3fd249249b27acf1
	s_delay_alu instid0(VALU_DEP_1) | instskip(NEXT) | instid1(VALU_DEP_1)
	v_fmaak_f64 v[18:19], v[14:15], v[18:19], 0x3fd99999998ef7b6
	v_fmaak_f64 v[14:15], v[14:15], v[18:19], 0x3fe5555555555780
	v_ldexp_f64 v[18:19], v[12:13], 1
	v_add_f64_e64 v[12:13], v[12:13], -v[16:17]
	s_delay_alu instid0(VALU_DEP_3) | instskip(SKIP_1) | instid1(VALU_DEP_3)
	v_mul_f64_e32 v[14:15], v[20:21], v[14:15]
	v_cvt_f64_i32_e32 v[20:21], v8
	v_add_f64_e64 v[10:11], v[10:11], -v[12:13]
	s_delay_alu instid0(VALU_DEP_3) | instskip(NEXT) | instid1(VALU_DEP_2)
	v_add_f64_e32 v[16:17], v[18:19], v[14:15]
	v_ldexp_f64 v[10:11], v[10:11], 1
	s_delay_alu instid0(VALU_DEP_2) | instskip(SKIP_1) | instid1(VALU_DEP_2)
	v_add_f64_e64 v[12:13], v[16:17], -v[18:19]
	v_mul_f64_e32 v[18:19], 0x3fe62e42fefa39ef, v[20:21]
	v_add_f64_e64 v[12:13], v[14:15], -v[12:13]
	s_delay_alu instid0(VALU_DEP_2) | instskip(SKIP_1) | instid1(VALU_DEP_2)
	v_fma_f64 v[14:15], v[20:21], s[0:1], -v[18:19]
	s_mov_b64 s[0:1], 0xbfdd8b618d5af8fc
	v_add_f64_e32 v[10:11], v[10:11], v[12:13]
	s_delay_alu instid0(VALU_DEP_2) | instskip(NEXT) | instid1(VALU_DEP_1)
	v_fmamk_f64 v[12:13], v[20:21], 0x3c7abc9e3b39803f, v[14:15]
	v_add_f64_e32 v[14:15], v[18:19], v[12:13]
	s_delay_alu instid0(VALU_DEP_3) | instskip(NEXT) | instid1(VALU_DEP_2)
	v_add_f64_e32 v[20:21], v[16:17], v[10:11]
	v_add_f64_e64 v[18:19], v[14:15], -v[18:19]
	s_delay_alu instid0(VALU_DEP_2) | instskip(SKIP_1) | instid1(VALU_DEP_3)
	v_add_f64_e32 v[22:23], v[14:15], v[20:21]
	v_add_f64_e64 v[16:17], v[20:21], -v[16:17]
	v_add_f64_e64 v[12:13], v[12:13], -v[18:19]
	s_delay_alu instid0(VALU_DEP_3) | instskip(NEXT) | instid1(VALU_DEP_3)
	v_add_f64_e64 v[24:25], v[22:23], -v[14:15]
	v_add_f64_e64 v[10:11], v[10:11], -v[16:17]
	s_delay_alu instid0(VALU_DEP_2) | instskip(SKIP_1) | instid1(VALU_DEP_3)
	v_add_f64_e64 v[26:27], v[22:23], -v[24:25]
	v_add_f64_e64 v[16:17], v[20:21], -v[24:25]
	v_add_f64_e32 v[18:19], v[12:13], v[10:11]
	s_delay_alu instid0(VALU_DEP_3) | instskip(NEXT) | instid1(VALU_DEP_1)
	v_add_f64_e64 v[14:15], v[14:15], -v[26:27]
	v_add_f64_e32 v[14:15], v[16:17], v[14:15]
	s_delay_alu instid0(VALU_DEP_3) | instskip(NEXT) | instid1(VALU_DEP_2)
	v_add_f64_e64 v[16:17], v[18:19], -v[12:13]
	v_add_f64_e32 v[14:15], v[18:19], v[14:15]
	s_delay_alu instid0(VALU_DEP_2) | instskip(SKIP_1) | instid1(VALU_DEP_3)
	v_add_f64_e64 v[18:19], v[18:19], -v[16:17]
	v_add_f64_e64 v[10:11], v[10:11], -v[16:17]
	v_add_f64_e32 v[20:21], v[22:23], v[14:15]
	s_delay_alu instid0(VALU_DEP_3) | instskip(NEXT) | instid1(VALU_DEP_2)
	v_add_f64_e64 v[12:13], v[12:13], -v[18:19]
	v_add_f64_e64 v[16:17], v[20:21], -v[22:23]
	s_delay_alu instid0(VALU_DEP_2) | instskip(NEXT) | instid1(VALU_DEP_2)
	v_add_f64_e32 v[10:11], v[10:11], v[12:13]
	v_add_f64_e64 v[12:13], v[14:15], -v[16:17]
	v_add_f64_e64 v[14:15], |v[6:7]|, s[0:1]
	v_cmp_neq_f64_e64 s0, 0, v[6:7]
	v_cmp_gt_u32_e64 s1, 0x3fe76944, v9
	s_delay_alu instid0(VALU_DEP_4) | instskip(SKIP_1) | instid1(VALU_DEP_2)
	v_add_f64_e32 v[10:11], v[10:11], v[12:13]
	v_add_f64_e64 v[12:13], -|v[6:7]|, 1.0
	v_add_f64_e32 v[10:11], v[20:21], v[10:11]
	s_delay_alu instid0(VALU_DEP_1) | instskip(NEXT) | instid1(VALU_DEP_3)
	v_xor_b32_e32 v8, 0x80000000, v11
	v_dual_cndmask_b32 v11, v12, v14, s1 :: v_dual_cndmask_b32 v12, v13, v15, s1
	v_cndmask_b32_e64 v14, 0, 1, s1
	s_delay_alu instid0(VALU_DEP_3) | instskip(SKIP_1) | instid1(VALU_DEP_3)
	v_cndmask_b32_e32 v8, 0xfff00000, v8, vcc_lo
	s_and_b32 vcc_lo, s0, vcc_lo
	v_dual_cndmask_b32 v13, v12, v9, s2 :: v_dual_cndmask_b32 v12, v11, v6, s2
	v_cndmask_b32_e32 v10, 0, v10, vcc_lo
	s_delay_alu instid0(VALU_DEP_3)
	v_cndmask_b32_e64 v11, 0x7ff00000, v8, s0
	v_cndmask_b32_e64 v8, v14, 2, s2
.LBB2_18:
	s_or_b32 exec_lo, exec_lo, s5
	s_delay_alu instid0(SALU_CYCLE_1) | instskip(NEXT) | instid1(VALU_DEP_1)
	s_mov_b32 s0, exec_lo
                                        ; implicit-def: $vgpr16_vgpr17
	v_cmpx_lt_i32_e32 1, v8
	s_xor_b32 s0, exec_lo, s0
	s_cbranch_execz .LBB2_20
; %bb.19:
	s_mov_b64 s[6:7], 0x3f8b678bbf2bab09
                                        ; implicit-def: $vgpr8
	s_delay_alu instid0(SALU_CYCLE_1) | instskip(SKIP_1) | instid1(SALU_CYCLE_1)
	v_fmaak_f64 v[14:15], s[6:7], v[12:13], 0x3fcd4eaef6010924
	s_mov_b64 s[6:7], 0x3f6a5abb57d0cf61
	v_fmaak_f64 v[16:17], s[6:7], v[12:13], 0x3fbaae55d6537c88
	s_delay_alu instid0(VALU_DEP_2) | instskip(NEXT) | instid1(VALU_DEP_2)
	v_fmaak_f64 v[14:15], v[12:13], v[14:15], 0x3fef497644ea8450
	v_fmaak_f64 v[16:17], v[12:13], v[16:17], 0x3fe89dfbe45050af
	s_delay_alu instid0(VALU_DEP_2) | instskip(NEXT) | instid1(VALU_DEP_2)
	v_fmaak_f64 v[14:15], v[12:13], v[14:15], 0x3ff7475cd119bd6f
	;; [unrolled: 3-line block ×4, first 2 shown]
	v_fma_f64 v[16:17], v[12:13], v[16:17], 1.0
	s_delay_alu instid0(VALU_DEP_2) | instskip(NEXT) | instid1(VALU_DEP_1)
	v_mul_f64_e32 v[14:15], v[12:13], v[14:15]
	v_div_scale_f64 v[18:19], null, v[16:17], v[16:17], v[14:15]
	s_delay_alu instid0(VALU_DEP_1) | instskip(SKIP_1) | instid1(TRANS32_DEP_1)
	v_rcp_f64_e32 v[20:21], v[18:19]
	v_nop
	v_fma_f64 v[22:23], -v[18:19], v[20:21], 1.0
	s_delay_alu instid0(VALU_DEP_1) | instskip(NEXT) | instid1(VALU_DEP_1)
	v_fmac_f64_e32 v[20:21], v[20:21], v[22:23]
	v_fma_f64 v[22:23], -v[18:19], v[20:21], 1.0
	s_delay_alu instid0(VALU_DEP_1) | instskip(SKIP_1) | instid1(VALU_DEP_1)
	v_fmac_f64_e32 v[20:21], v[20:21], v[22:23]
	v_div_scale_f64 v[22:23], vcc_lo, v[14:15], v[16:17], v[14:15]
	v_mul_f64_e32 v[24:25], v[22:23], v[20:21]
	s_delay_alu instid0(VALU_DEP_1) | instskip(NEXT) | instid1(VALU_DEP_1)
	v_fma_f64 v[18:19], -v[18:19], v[24:25], v[22:23]
	v_div_fmas_f64 v[18:19], v[18:19], v[20:21], v[24:25]
	s_delay_alu instid0(VALU_DEP_1) | instskip(NEXT) | instid1(VALU_DEP_1)
	v_div_fixup_f64 v[16:17], v[18:19], v[16:17], v[14:15]
	v_fmac_f64_e32 v[16:17], -0.5, v[12:13]
                                        ; implicit-def: $vgpr12_vgpr13
.LBB2_20:
	s_and_not1_saveexec_b32 s0, s0
	s_cbranch_execz .LBB2_26
; %bb.21:
	v_mul_f64_e32 v[14:15], v[12:13], v[12:13]
	s_mov_b32 s1, exec_lo
                                        ; implicit-def: $vgpr16_vgpr17
	v_cmpx_ne_u32_e32 1, v8
	s_xor_b32 s1, exec_lo, s1
	s_cbranch_execz .LBB2_23
; %bb.22:
	s_mov_b64 s[6:7], 0x3f07858e90a45837
	s_delay_alu instid0(VALU_DEP_2) | instid1(SALU_CYCLE_1)
	v_fmaak_f64 v[16:17], s[6:7], v[14:15], 0x3f1c5088987dfb07
	s_mov_b64 s[6:7], 0x3efa7074428cfa52
	s_delay_alu instid0(SALU_CYCLE_1) | instskip(NEXT) | instid1(VALU_DEP_2)
	v_fmaak_f64 v[18:19], s[6:7], v[14:15], 0x3f2cf2eced10e54d
	v_fmaak_f64 v[16:17], v[14:15], v[16:17], 0x3f40b6c689b99c00
	s_delay_alu instid0(VALU_DEP_2) | instskip(NEXT) | instid1(VALU_DEP_2)
	v_fmaak_f64 v[18:19], v[14:15], v[18:19], 0x3f538a94116f3f5d
	v_fmaak_f64 v[16:17], v[14:15], v[16:17], 0x3f67add8ccb7926b
	s_delay_alu instid0(VALU_DEP_2) | instskip(NEXT) | instid1(VALU_DEP_2)
	;; [unrolled: 3-line block ×3, first 2 shown]
	v_fmaak_f64 v[18:19], v[14:15], v[18:19], 0x3fb13e001a5562a7
	v_fmaak_f64 v[16:17], v[14:15], v[16:17], 0x3fd4a34cc4a60fad
	s_delay_alu instid0(VALU_DEP_1) | instskip(NEXT) | instid1(VALU_DEP_3)
	v_mul_f64_e32 v[16:17], v[14:15], v[16:17]
	v_fmaak_f64 v[14:15], v[14:15], v[18:19], 0x3fb3c467e37db0c8
	s_delay_alu instid0(VALU_DEP_1) | instskip(NEXT) | instid1(VALU_DEP_1)
	v_fmac_f64_e32 v[16:17], v[12:13], v[14:15]
                                        ; implicit-def: $vgpr14_vgpr15
	v_fmac_f64_e32 v[16:17], -0.5, v[12:13]
                                        ; implicit-def: $vgpr12_vgpr13
.LBB2_23:
	s_and_not1_saveexec_b32 s1, s1
	s_cbranch_execz .LBB2_25
; %bb.24:
	s_delay_alu instid0(VALU_DEP_2) | instskip(SKIP_2) | instid1(VALU_DEP_1)
	v_mul_f64_e32 v[16:17], v[12:13], v[14:15]
	s_mov_b64 s[6:7], 0xbf347f24ecc38c38
	s_mov_b64 s[8:9], 0x3f35fd3ee8c2d3f4
	v_fmaak_f64 v[18:19], s[6:7], v[16:17], 0x3f4cdf0cef61a8e9
	v_fmaak_f64 v[20:21], s[8:9], v[16:17], 0xbf41a6109c73e0ec
	s_mov_b64 s[6:7], 0xbc50c7caa48a971f
	s_delay_alu instid0(VALU_DEP_2) | instskip(NEXT) | instid1(VALU_DEP_2)
	v_fmaak_f64 v[18:19], v[16:17], v[18:19], 0xbf6e2effb3e914d7
	v_fmaak_f64 v[20:21], v[16:17], v[20:21], 0x3f6282d32e15c915
	s_delay_alu instid0(VALU_DEP_2) | instskip(NEXT) | instid1(VALU_DEP_2)
	v_fmaak_f64 v[18:19], v[16:17], v[18:19], 0x3f9266e7970af9ec
	v_fmaak_f64 v[20:21], v[16:17], v[20:21], 0xbf851f9fba91ec6a
	;; [unrolled: 3-line block ×3, first 2 shown]
	s_delay_alu instid0(VALU_DEP_1) | instskip(NEXT) | instid1(VALU_DEP_1)
	v_fmac_f64_e32 v[18:19], v[12:13], v[20:21]
	v_fma_f64 v[12:13], v[16:17], -v[18:19], s[6:7]
	s_mov_b64 s[6:7], 0x3f34af6d6c0ebbf7
	s_delay_alu instid0(SALU_CYCLE_1) | instskip(NEXT) | instid1(VALU_DEP_1)
	v_fmaak_f64 v[18:19], s[6:7], v[16:17], 0xbf56fe8ebf2d1af1
	v_fmaak_f64 v[18:19], v[16:17], v[18:19], 0x3f78fce0e370e344
	s_delay_alu instid0(VALU_DEP_1) | instskip(NEXT) | instid1(VALU_DEP_1)
	v_fmaak_f64 v[18:19], v[16:17], v[18:19], 0xbfa0c9a8df35b713
	v_fmaak_f64 v[16:17], v[16:17], v[18:19], 0x3fdef72bc8ee38a2
	s_delay_alu instid0(VALU_DEP_1) | instskip(NEXT) | instid1(VALU_DEP_1)
	v_fma_f64 v[12:13], v[14:15], v[16:17], -v[12:13]
	v_add_f64_e32 v[16:17], 0xbfbf19b9bcc38a42, v[12:13]
.LBB2_25:
	s_or_b32 exec_lo, exec_lo, s1
.LBB2_26:
	s_delay_alu instid0(SALU_CYCLE_1) | instskip(NEXT) | instid1(VALU_DEP_1)
	s_or_b32 exec_lo, exec_lo, s0
	v_add_f64_e32 v[10:11], v[10:11], v[16:17]
.LBB2_27:
	s_or_b32 exec_lo, exec_lo, s4
.LBB2_28:
	s_and_not1_saveexec_b32 s1, s3
	s_cbranch_execz .LBB2_30
; %bb.29:
	v_frexp_mant_f64_e64 v[10:11], |v[6:7]|
	s_mov_b64 s[2:3], 0x3fe5555555555555
	s_mov_b64 s[4:5], 0xbfca8b9c17aa6149
	v_cmp_neq_f64_e64 s0, 0, v[6:7]
	s_delay_alu instid0(VALU_DEP_2) | instskip(SKIP_2) | instid1(VALU_DEP_1)
	v_cmp_gt_f64_e32 vcc_lo, s[2:3], v[10:11]
	s_mov_b64 s[2:3], 0x3fc3ab76bf559e2b
	v_cndmask_b32_e64 v8, 0, 1, vcc_lo
	v_ldexp_f64 v[10:11], v[10:11], v8
	v_frexp_exp_i32_f64_e32 v8, v[6:7]
	s_delay_alu instid0(VALU_DEP_2) | instskip(SKIP_1) | instid1(VALU_DEP_3)
	v_add_f64_e32 v[12:13], 1.0, v[10:11]
	v_add_f64_e32 v[18:19], -1.0, v[10:11]
	v_subrev_co_ci_u32_e64 v8, null, 0, v8, vcc_lo
	v_cmp_neq_f64_e64 vcc_lo, 0x7ff00000, |v[6:7]|
	s_delay_alu instid0(VALU_DEP_4) | instskip(SKIP_1) | instid1(VALU_DEP_1)
	v_rcp_f64_e32 v[14:15], v[12:13]
	v_add_f64_e32 v[20:21], -1.0, v[12:13]
	v_add_f64_e64 v[10:11], v[10:11], -v[20:21]
	s_delay_alu instid0(TRANS32_DEP_1) | instskip(NEXT) | instid1(VALU_DEP_1)
	v_fma_f64 v[16:17], -v[12:13], v[14:15], 1.0
	v_fmac_f64_e32 v[14:15], v[16:17], v[14:15]
	s_delay_alu instid0(VALU_DEP_1) | instskip(NEXT) | instid1(VALU_DEP_1)
	v_fma_f64 v[16:17], -v[12:13], v[14:15], 1.0
	v_fmac_f64_e32 v[14:15], v[16:17], v[14:15]
	s_delay_alu instid0(VALU_DEP_1) | instskip(NEXT) | instid1(VALU_DEP_1)
	v_mul_f64_e32 v[16:17], v[18:19], v[14:15]
	v_mul_f64_e32 v[22:23], v[12:13], v[16:17]
	s_delay_alu instid0(VALU_DEP_1) | instskip(NEXT) | instid1(VALU_DEP_1)
	v_fma_f64 v[12:13], v[16:17], v[12:13], -v[22:23]
	v_fmac_f64_e32 v[12:13], v[16:17], v[10:11]
	s_delay_alu instid0(VALU_DEP_1) | instskip(NEXT) | instid1(VALU_DEP_1)
	v_add_f64_e32 v[10:11], v[22:23], v[12:13]
	v_add_f64_e64 v[20:21], v[18:19], -v[10:11]
	v_add_f64_e64 v[22:23], v[10:11], -v[22:23]
	s_delay_alu instid0(VALU_DEP_2) | instskip(NEXT) | instid1(VALU_DEP_2)
	v_add_f64_e64 v[18:19], v[18:19], -v[20:21]
	v_add_f64_e64 v[12:13], v[22:23], -v[12:13]
	s_delay_alu instid0(VALU_DEP_2) | instskip(NEXT) | instid1(VALU_DEP_1)
	v_add_f64_e64 v[10:11], v[18:19], -v[10:11]
	v_add_f64_e32 v[10:11], v[12:13], v[10:11]
	s_delay_alu instid0(VALU_DEP_1) | instskip(NEXT) | instid1(VALU_DEP_1)
	v_add_f64_e32 v[10:11], v[20:21], v[10:11]
	v_mul_f64_e32 v[10:11], v[14:15], v[10:11]
	s_delay_alu instid0(VALU_DEP_1) | instskip(NEXT) | instid1(VALU_DEP_1)
	v_add_f64_e32 v[12:13], v[16:17], v[10:11]
	v_mul_f64_e32 v[14:15], v[12:13], v[12:13]
	s_delay_alu instid0(VALU_DEP_1) | instskip(SKIP_2) | instid1(VALU_DEP_2)
	v_fmaak_f64 v[18:19], s[2:3], v[14:15], 0x3fc385386b47b09a
	v_mul_f64_e32 v[20:21], v[12:13], v[14:15]
	s_mov_b64 s[2:3], 0x3fe62e42fefa39ef
	v_fmaak_f64 v[18:19], v[14:15], v[18:19], 0x3fc7474dd7f4df2e
	s_delay_alu instid0(VALU_DEP_1) | instskip(NEXT) | instid1(VALU_DEP_1)
	v_fmaak_f64 v[18:19], v[14:15], v[18:19], 0x3fcc71c016291751
	v_fmaak_f64 v[18:19], v[14:15], v[18:19], 0x3fd249249b27acf1
	s_delay_alu instid0(VALU_DEP_1) | instskip(NEXT) | instid1(VALU_DEP_1)
	v_fmaak_f64 v[18:19], v[14:15], v[18:19], 0x3fd99999998ef7b6
	v_fmaak_f64 v[14:15], v[14:15], v[18:19], 0x3fe5555555555780
	v_ldexp_f64 v[18:19], v[12:13], 1
	v_add_f64_e64 v[12:13], v[12:13], -v[16:17]
	s_delay_alu instid0(VALU_DEP_3) | instskip(SKIP_1) | instid1(VALU_DEP_3)
	v_mul_f64_e32 v[14:15], v[20:21], v[14:15]
	v_cvt_f64_i32_e32 v[20:21], v8
	v_add_f64_e64 v[10:11], v[10:11], -v[12:13]
	s_delay_alu instid0(VALU_DEP_3) | instskip(NEXT) | instid1(VALU_DEP_2)
	v_add_f64_e32 v[16:17], v[18:19], v[14:15]
	v_ldexp_f64 v[10:11], v[10:11], 1
	s_delay_alu instid0(VALU_DEP_2) | instskip(SKIP_1) | instid1(VALU_DEP_2)
	v_add_f64_e64 v[12:13], v[16:17], -v[18:19]
	v_mul_f64_e32 v[18:19], 0x3fe62e42fefa39ef, v[20:21]
	v_add_f64_e64 v[12:13], v[14:15], -v[12:13]
	s_delay_alu instid0(VALU_DEP_2) | instskip(SKIP_1) | instid1(VALU_DEP_2)
	v_fma_f64 v[14:15], v[20:21], s[2:3], -v[18:19]
	s_mov_b64 s[2:3], 0x3fd151322ac7d848
	v_add_f64_e32 v[10:11], v[10:11], v[12:13]
	s_delay_alu instid0(VALU_DEP_2) | instskip(NEXT) | instid1(VALU_DEP_1)
	v_fmamk_f64 v[12:13], v[20:21], 0x3c7abc9e3b39803f, v[14:15]
	v_add_f64_e32 v[14:15], v[18:19], v[12:13]
	s_delay_alu instid0(VALU_DEP_3) | instskip(NEXT) | instid1(VALU_DEP_2)
	v_add_f64_e32 v[20:21], v[16:17], v[10:11]
	v_add_f64_e64 v[18:19], v[14:15], -v[18:19]
	s_delay_alu instid0(VALU_DEP_2) | instskip(SKIP_1) | instid1(VALU_DEP_3)
	v_add_f64_e32 v[22:23], v[14:15], v[20:21]
	v_add_f64_e64 v[16:17], v[20:21], -v[16:17]
	v_add_f64_e64 v[12:13], v[12:13], -v[18:19]
	s_delay_alu instid0(VALU_DEP_3) | instskip(NEXT) | instid1(VALU_DEP_3)
	v_add_f64_e64 v[24:25], v[22:23], -v[14:15]
	v_add_f64_e64 v[10:11], v[10:11], -v[16:17]
	s_delay_alu instid0(VALU_DEP_2) | instskip(SKIP_1) | instid1(VALU_DEP_3)
	v_add_f64_e64 v[26:27], v[22:23], -v[24:25]
	v_add_f64_e64 v[16:17], v[20:21], -v[24:25]
	v_add_f64_e32 v[18:19], v[12:13], v[10:11]
	s_delay_alu instid0(VALU_DEP_3) | instskip(NEXT) | instid1(VALU_DEP_1)
	v_add_f64_e64 v[14:15], v[14:15], -v[26:27]
	v_add_f64_e32 v[14:15], v[16:17], v[14:15]
	s_delay_alu instid0(VALU_DEP_3) | instskip(NEXT) | instid1(VALU_DEP_2)
	v_add_f64_e64 v[16:17], v[18:19], -v[12:13]
	v_add_f64_e32 v[14:15], v[18:19], v[14:15]
	s_delay_alu instid0(VALU_DEP_2) | instskip(SKIP_1) | instid1(VALU_DEP_3)
	v_add_f64_e64 v[18:19], v[18:19], -v[16:17]
	v_add_f64_e64 v[10:11], v[10:11], -v[16:17]
	v_add_f64_e32 v[20:21], v[22:23], v[14:15]
	s_delay_alu instid0(VALU_DEP_3) | instskip(NEXT) | instid1(VALU_DEP_2)
	v_add_f64_e64 v[12:13], v[12:13], -v[18:19]
	v_add_f64_e64 v[16:17], v[20:21], -v[22:23]
	s_delay_alu instid0(VALU_DEP_2) | instskip(NEXT) | instid1(VALU_DEP_2)
	v_add_f64_e32 v[10:11], v[10:11], v[12:13]
	v_add_f64_e64 v[12:13], v[14:15], -v[16:17]
	v_fma_f64 v[14:15], |v[6:7]|, s[4:5], s[2:3]
	s_mov_b64 s[2:3], 0xbfd9a4d55beab2d7
	s_delay_alu instid0(VALU_DEP_2) | instskip(NEXT) | instid1(VALU_DEP_2)
	v_add_f64_e32 v[10:11], v[10:11], v[12:13]
	v_fma_f64 v[12:13], |v[6:7]|, v[14:15], s[2:3]
	s_mov_b64 s[2:3], 0x3fea51a6625307d3
	s_delay_alu instid0(VALU_DEP_2) | instskip(NEXT) | instid1(VALU_DEP_2)
	v_add_f64_e32 v[10:11], v[20:21], v[10:11]
	v_fma_f64 v[12:13], |v[6:7]|, v[12:13], s[2:3]
	s_mov_b64 s[2:3], 0xbfe2788cfc6fb619
	s_delay_alu instid0(VALU_DEP_2) | instskip(NEXT) | instid1(VALU_DEP_2)
	v_xor_b32_e32 v8, 0x80000000, v11
	v_fma_f64 v[12:13], |v[6:7]|, v[12:13], s[2:3]
	s_delay_alu instid0(VALU_DEP_2) | instskip(SKIP_2) | instid1(VALU_DEP_2)
	v_cndmask_b32_e32 v8, 0xfff00000, v8, vcc_lo
	s_and_b32 vcc_lo, s0, vcc_lo
	v_cndmask_b32_e32 v10, 0, v10, vcc_lo
	v_cndmask_b32_e64 v11, 0x7ff00000, v8, s0
	s_delay_alu instid0(VALU_DEP_1)
	v_fma_f64 v[10:11], |v[6:7]|, v[12:13], v[10:11]
.LBB2_30:
	s_or_b32 exec_lo, exec_lo, s1
	s_delay_alu instid0(SALU_CYCLE_1)
	s_mov_b32 s0, exec_lo
	v_cmpx_le_f64_e32 0, v[6:7]
	s_xor_b32 s1, exec_lo, s0
	s_cbranch_execz .LBB2_32
; %bb.31:
	v_cmp_eq_f64_e32 vcc_lo, 1.0, v[6:7]
	v_cmp_eq_f64_e64 s0, 2.0, v[6:7]
	s_or_b32 s0, vcc_lo, s0
	s_delay_alu instid0(SALU_CYCLE_1)
	v_cndmask_b32_e64 v11, v11, 0, s0
	v_cndmask_b32_e64 v10, v10, 0, s0
.LBB2_32:
	s_and_not1_saveexec_b32 s1, s1
	s_cbranch_execz .LBB2_36
; %bb.33:
	v_add_nc_u32_e32 v8, 0xc32fffff, v9
	s_mov_b32 s2, exec_lo
	s_delay_alu instid0(VALU_DEP_1)
	v_cmpx_gt_u32_e32 0x65fffff, v8
	s_cbranch_execz .LBB2_35
; %bb.34:
	v_mul_f64_e64 v[12:13], |v[6:7]|, 0.5
	s_mov_b64 s[4:5], 0x3f3e357ef99eb0bb
	v_cmp_class_f64_e64 s0, v[6:7], 0x1f8
	s_delay_alu instid0(VALU_DEP_2) | instskip(SKIP_1) | instid1(VALU_DEP_2)
	v_fract_f64_e32 v[14:15], v[12:13]
	v_cmp_neq_f64_e64 vcc_lo, 0x7ff00000, |v[12:13]|
	v_add_f64_e32 v[14:15], v[14:15], v[14:15]
	s_delay_alu instid0(VALU_DEP_1) | instskip(SKIP_1) | instid1(VALU_DEP_2)
	v_dual_cndmask_b32 v8, 0, v14, vcc_lo :: v_dual_cndmask_b32 v12, 0, v15, vcc_lo
	v_cmp_gt_f64_e64 vcc_lo, |v[6:7]|, 1.0
	v_cndmask_b32_e32 v13, v9, v12, vcc_lo
	s_delay_alu instid0(VALU_DEP_3) | instskip(NEXT) | instid1(VALU_DEP_1)
	v_cndmask_b32_e32 v12, v6, v8, vcc_lo
	v_add_f64_e32 v[14:15], v[12:13], v[12:13]
	s_delay_alu instid0(VALU_DEP_1) | instskip(NEXT) | instid1(VALU_DEP_1)
	v_rndne_f64_e32 v[14:15], v[14:15]
	v_fmac_f64_e32 v[12:13], -0.5, v[14:15]
	v_cvt_i32_f64_e32 v8, v[14:15]
	s_delay_alu instid0(VALU_DEP_2) | instskip(NEXT) | instid1(VALU_DEP_1)
	v_mul_f64_e32 v[16:17], v[12:13], v[12:13]
	v_fmaak_f64 v[18:19], s[4:5], v[16:17], 0xbf7e2fe76fdffd2b
	v_mul_f64_e32 v[20:21], v[12:13], v[16:17]
	s_mov_b64 s[4:5], 0xbf1b167302e21c33
	s_delay_alu instid0(SALU_CYCLE_1) | instskip(SKIP_1) | instid1(VALU_DEP_3)
	v_fmaak_f64 v[22:23], s[4:5], v[16:17], 0x3f5f9c89ca1d4f33
	s_mov_b64 s[4:5], 0x400921fb54442d18
	v_fmaak_f64 v[18:19], v[16:17], v[18:19], 0x3fb50782d5f14825
	s_delay_alu instid0(VALU_DEP_2) | instskip(NEXT) | instid1(VALU_DEP_2)
	v_fmaak_f64 v[22:23], v[16:17], v[22:23], 0xbf9a6d1e7294bff9
	v_fmaak_f64 v[18:19], v[16:17], v[18:19], 0xbfe32d2ccdfe9424
	s_delay_alu instid0(VALU_DEP_1) | instskip(NEXT) | instid1(VALU_DEP_1)
	v_fmaak_f64 v[18:19], v[16:17], v[18:19], 0x400466bc67754fff
	v_fmaak_f64 v[18:19], v[16:17], v[18:19], 0xc014abbce625be09
	s_delay_alu instid0(VALU_DEP_1) | instskip(SKIP_1) | instid1(VALU_DEP_1)
	v_mul_f64_e32 v[18:19], v[20:21], v[18:19]
	v_fmaak_f64 v[20:21], v[16:17], v[22:23], 0x3fce1f5067b90b37
	v_fmaak_f64 v[20:21], v[16:17], v[20:21], 0xbff55d3c7e3c325b
	s_delay_alu instid0(VALU_DEP_1) | instskip(NEXT) | instid1(VALU_DEP_1)
	v_fmaak_f64 v[20:21], v[16:17], v[20:21], 0x40103c1f081b5a67
	v_fmaak_f64 v[20:21], v[16:17], v[20:21], 0xc013bd3cc9be45de
	s_delay_alu instid0(VALU_DEP_1) | instskip(SKIP_2) | instid1(VALU_DEP_1)
	v_fma_f64 v[14:15], v[16:17], v[20:21], 1.0
	v_fmac_f64_e32 v[18:19], 0x400921fb54442d18, v[12:13]
	v_dual_lshlrev_b32 v8, 30, v8 :: v_dual_bitop2_b32 v12, 1, v8 bitop3:0x40
	v_cmp_eq_u32_e32 vcc_lo, 0, v12
	s_delay_alu instid0(VALU_DEP_2) | instskip(NEXT) | instid1(VALU_DEP_1)
	v_dual_cndmask_b32 v12, v14, v18, vcc_lo :: v_dual_bitop2_b32 v8, v8, v7 bitop3:0x14
	v_dual_cndmask_b32 v13, v15, v19, vcc_lo :: v_dual_cndmask_b32 v12, 0, v12, s0
	s_delay_alu instid0(VALU_DEP_1) | instskip(NEXT) | instid1(VALU_DEP_1)
	v_bitop3_b32 v8, v13, v8, 0x80000000 bitop3:0x78
	v_cndmask_b32_e64 v13, 0x7ff80000, v8, s0
	v_cmp_class_f64_e64 s0, v[6:7], 0x204
	s_delay_alu instid0(VALU_DEP_2) | instskip(NEXT) | instid1(VALU_DEP_1)
	v_mul_f64_e32 v[12:13], v[6:7], v[12:13]
	v_and_b32_e32 v15, 0x7fffffff, v13
	s_delay_alu instid0(VALU_DEP_2) | instskip(NEXT) | instid1(VALU_DEP_1)
	v_mov_b32_e32 v14, v12
	v_div_scale_f64 v[16:17], null, v[14:15], v[14:15], s[4:5]
	v_div_scale_f64 v[14:15], vcc_lo, s[4:5], v[14:15], s[4:5]
	s_delay_alu instid0(VALU_DEP_2) | instskip(SKIP_1) | instid1(TRANS32_DEP_1)
	v_rcp_f64_e32 v[18:19], v[16:17]
	v_nop
	v_fma_f64 v[20:21], -v[16:17], v[18:19], 1.0
	s_delay_alu instid0(VALU_DEP_1) | instskip(NEXT) | instid1(VALU_DEP_1)
	v_fmac_f64_e32 v[18:19], v[18:19], v[20:21]
	v_fma_f64 v[20:21], -v[16:17], v[18:19], 1.0
	s_delay_alu instid0(VALU_DEP_1) | instskip(NEXT) | instid1(VALU_DEP_1)
	v_fmac_f64_e32 v[18:19], v[18:19], v[20:21]
	v_mul_f64_e32 v[20:21], v[14:15], v[18:19]
	s_delay_alu instid0(VALU_DEP_1) | instskip(NEXT) | instid1(VALU_DEP_1)
	v_fma_f64 v[14:15], -v[16:17], v[20:21], v[14:15]
	v_div_fmas_f64 v[14:15], v[14:15], v[18:19], v[20:21]
	s_delay_alu instid0(VALU_DEP_1) | instskip(SKIP_1) | instid1(VALU_DEP_1)
	v_div_fixup_f64 v[12:13], v[14:15], |v[12:13]|, s[4:5]
	s_mov_b64 s[4:5], 0x3fe5555555555555
	v_frexp_mant_f64_e32 v[14:15], v[12:13]
	s_delay_alu instid0(VALU_DEP_1) | instskip(SKIP_2) | instid1(VALU_DEP_1)
	v_cmp_gt_f64_e32 vcc_lo, s[4:5], v[14:15]
	s_mov_b64 s[4:5], 0x3fc3ab76bf559e2b
	v_cndmask_b32_e64 v8, 0, 1, vcc_lo
	v_ldexp_f64 v[14:15], v[14:15], v8
	v_frexp_exp_i32_f64_e32 v8, v[12:13]
	s_delay_alu instid0(VALU_DEP_1) | instskip(SKIP_1) | instid1(VALU_DEP_4)
	v_subrev_co_ci_u32_e64 v8, null, 0, v8, vcc_lo
	v_cmp_class_f64_e64 vcc_lo, v[12:13], 0x204
	v_add_f64_e32 v[16:17], 1.0, v[14:15]
	v_add_f64_e32 v[22:23], -1.0, v[14:15]
	s_delay_alu instid0(VALU_DEP_2) | instskip(SKIP_1) | instid1(VALU_DEP_1)
	v_rcp_f64_e32 v[18:19], v[16:17]
	v_add_f64_e32 v[24:25], -1.0, v[16:17]
	v_add_f64_e64 v[14:15], v[14:15], -v[24:25]
	s_delay_alu instid0(TRANS32_DEP_1) | instskip(NEXT) | instid1(VALU_DEP_1)
	v_fma_f64 v[20:21], -v[16:17], v[18:19], 1.0
	v_fmac_f64_e32 v[18:19], v[20:21], v[18:19]
	s_delay_alu instid0(VALU_DEP_1) | instskip(NEXT) | instid1(VALU_DEP_1)
	v_fma_f64 v[20:21], -v[16:17], v[18:19], 1.0
	v_fmac_f64_e32 v[18:19], v[20:21], v[18:19]
	s_delay_alu instid0(VALU_DEP_1) | instskip(NEXT) | instid1(VALU_DEP_1)
	v_mul_f64_e32 v[20:21], v[22:23], v[18:19]
	v_mul_f64_e32 v[26:27], v[16:17], v[20:21]
	s_delay_alu instid0(VALU_DEP_1) | instskip(NEXT) | instid1(VALU_DEP_1)
	v_fma_f64 v[16:17], v[20:21], v[16:17], -v[26:27]
	v_fmac_f64_e32 v[16:17], v[20:21], v[14:15]
	s_delay_alu instid0(VALU_DEP_1) | instskip(NEXT) | instid1(VALU_DEP_1)
	v_add_f64_e32 v[14:15], v[26:27], v[16:17]
	v_add_f64_e64 v[24:25], v[22:23], -v[14:15]
	v_add_f64_e64 v[26:27], v[14:15], -v[26:27]
	s_delay_alu instid0(VALU_DEP_2) | instskip(NEXT) | instid1(VALU_DEP_2)
	v_add_f64_e64 v[22:23], v[22:23], -v[24:25]
	v_add_f64_e64 v[16:17], v[26:27], -v[16:17]
	s_delay_alu instid0(VALU_DEP_2) | instskip(NEXT) | instid1(VALU_DEP_1)
	v_add_f64_e64 v[14:15], v[22:23], -v[14:15]
	v_add_f64_e32 v[14:15], v[16:17], v[14:15]
	s_delay_alu instid0(VALU_DEP_1) | instskip(NEXT) | instid1(VALU_DEP_1)
	v_add_f64_e32 v[14:15], v[24:25], v[14:15]
	v_mul_f64_e32 v[14:15], v[18:19], v[14:15]
	s_delay_alu instid0(VALU_DEP_1) | instskip(NEXT) | instid1(VALU_DEP_1)
	v_add_f64_e32 v[16:17], v[20:21], v[14:15]
	v_mul_f64_e32 v[18:19], v[16:17], v[16:17]
	s_delay_alu instid0(VALU_DEP_1) | instskip(SKIP_2) | instid1(VALU_DEP_2)
	v_fmaak_f64 v[22:23], s[4:5], v[18:19], 0x3fc385386b47b09a
	v_mul_f64_e32 v[24:25], v[16:17], v[18:19]
	s_mov_b64 s[4:5], 0x3fe62e42fefa39ef
	v_fmaak_f64 v[22:23], v[18:19], v[22:23], 0x3fc7474dd7f4df2e
	s_delay_alu instid0(VALU_DEP_1) | instskip(NEXT) | instid1(VALU_DEP_1)
	v_fmaak_f64 v[22:23], v[18:19], v[22:23], 0x3fcc71c016291751
	v_fmaak_f64 v[22:23], v[18:19], v[22:23], 0x3fd249249b27acf1
	s_delay_alu instid0(VALU_DEP_1) | instskip(NEXT) | instid1(VALU_DEP_1)
	v_fmaak_f64 v[22:23], v[18:19], v[22:23], 0x3fd99999998ef7b6
	v_fmaak_f64 v[18:19], v[18:19], v[22:23], 0x3fe5555555555780
	v_ldexp_f64 v[22:23], v[16:17], 1
	v_add_f64_e64 v[16:17], v[16:17], -v[20:21]
	s_delay_alu instid0(VALU_DEP_3) | instskip(SKIP_1) | instid1(VALU_DEP_3)
	v_mul_f64_e32 v[18:19], v[24:25], v[18:19]
	v_cvt_f64_i32_e32 v[24:25], v8
	v_add_f64_e64 v[14:15], v[14:15], -v[16:17]
	s_delay_alu instid0(VALU_DEP_3) | instskip(NEXT) | instid1(VALU_DEP_2)
	v_add_f64_e32 v[20:21], v[22:23], v[18:19]
	v_ldexp_f64 v[14:15], v[14:15], 1
	s_delay_alu instid0(VALU_DEP_2) | instskip(SKIP_1) | instid1(VALU_DEP_2)
	v_add_f64_e64 v[16:17], v[20:21], -v[22:23]
	v_mul_f64_e32 v[22:23], 0x3fe62e42fefa39ef, v[24:25]
	v_add_f64_e64 v[16:17], v[18:19], -v[16:17]
	s_delay_alu instid0(VALU_DEP_2) | instskip(NEXT) | instid1(VALU_DEP_2)
	v_fma_f64 v[18:19], v[24:25], s[4:5], -v[22:23]
	v_add_f64_e32 v[14:15], v[14:15], v[16:17]
	s_delay_alu instid0(VALU_DEP_2) | instskip(NEXT) | instid1(VALU_DEP_1)
	v_fmamk_f64 v[16:17], v[24:25], 0x3c7abc9e3b39803f, v[18:19]
	v_add_f64_e32 v[18:19], v[22:23], v[16:17]
	s_delay_alu instid0(VALU_DEP_3) | instskip(NEXT) | instid1(VALU_DEP_2)
	v_add_f64_e32 v[24:25], v[20:21], v[14:15]
	v_add_f64_e64 v[22:23], v[18:19], -v[22:23]
	s_delay_alu instid0(VALU_DEP_2) | instskip(SKIP_1) | instid1(VALU_DEP_3)
	v_add_f64_e32 v[26:27], v[18:19], v[24:25]
	v_add_f64_e64 v[20:21], v[24:25], -v[20:21]
	v_add_f64_e64 v[16:17], v[16:17], -v[22:23]
	s_delay_alu instid0(VALU_DEP_3) | instskip(NEXT) | instid1(VALU_DEP_3)
	v_add_f64_e64 v[28:29], v[26:27], -v[18:19]
	v_add_f64_e64 v[14:15], v[14:15], -v[20:21]
	s_delay_alu instid0(VALU_DEP_2) | instskip(SKIP_1) | instid1(VALU_DEP_3)
	v_add_f64_e64 v[30:31], v[26:27], -v[28:29]
	v_add_f64_e64 v[20:21], v[24:25], -v[28:29]
	v_add_f64_e32 v[22:23], v[16:17], v[14:15]
	s_delay_alu instid0(VALU_DEP_3) | instskip(NEXT) | instid1(VALU_DEP_1)
	v_add_f64_e64 v[18:19], v[18:19], -v[30:31]
	v_add_f64_e32 v[18:19], v[20:21], v[18:19]
	s_delay_alu instid0(VALU_DEP_3) | instskip(NEXT) | instid1(VALU_DEP_2)
	v_add_f64_e64 v[20:21], v[22:23], -v[16:17]
	v_add_f64_e32 v[18:19], v[22:23], v[18:19]
	s_delay_alu instid0(VALU_DEP_2) | instskip(SKIP_1) | instid1(VALU_DEP_3)
	v_add_f64_e64 v[22:23], v[22:23], -v[20:21]
	v_add_f64_e64 v[14:15], v[14:15], -v[20:21]
	v_add_f64_e32 v[24:25], v[26:27], v[18:19]
	s_delay_alu instid0(VALU_DEP_3) | instskip(NEXT) | instid1(VALU_DEP_2)
	v_add_f64_e64 v[16:17], v[16:17], -v[22:23]
	v_add_f64_e64 v[20:21], v[24:25], -v[26:27]
	s_delay_alu instid0(VALU_DEP_2) | instskip(NEXT) | instid1(VALU_DEP_2)
	v_add_f64_e32 v[14:15], v[14:15], v[16:17]
	v_add_f64_e64 v[16:17], v[18:19], -v[20:21]
	s_delay_alu instid0(VALU_DEP_1) | instskip(NEXT) | instid1(VALU_DEP_1)
	v_add_f64_e32 v[14:15], v[14:15], v[16:17]
	v_add_f64_e32 v[14:15], v[24:25], v[14:15]
	s_delay_alu instid0(VALU_DEP_1) | instskip(SKIP_2) | instid1(VALU_DEP_3)
	v_dual_cndmask_b32 v8, v14, v12, vcc_lo :: v_dual_cndmask_b32 v14, v15, v13, vcc_lo
	v_cmp_neq_f64_e32 vcc_lo, 0, v[12:13]
	v_fract_f64_e32 v[12:13], v[6:7]
	v_cndmask_b32_e32 v15, 0xfff00000, v14, vcc_lo
	s_delay_alu instid0(VALU_DEP_4) | instskip(NEXT) | instid1(VALU_DEP_3)
	v_cndmask_b32_e32 v14, 0, v8, vcc_lo
	v_cmp_eq_f64_e32 vcc_lo, 0, v[12:13]
	s_delay_alu instid0(VALU_DEP_2)
	v_add_f64_e64 v[10:11], v[14:15], -v[10:11]
	s_or_b32 s0, s0, vcc_lo
	s_delay_alu instid0(VALU_DEP_1) | instid1(SALU_CYCLE_1)
	v_cndmask_b32_e64 v11, v11, 0x7ff00000, s0
	s_delay_alu instid0(VALU_DEP_2)
	v_cndmask_b32_e64 v10, v10, 0, s0
.LBB2_35:
	s_or_b32 exec_lo, exec_lo, s2
.LBB2_36:
	s_delay_alu instid0(SALU_CYCLE_1) | instskip(SKIP_3) | instid1(VALU_DEP_2)
	s_or_b32 exec_lo, exec_lo, s1
	v_and_b32_e32 v13, 0x7fffffff, v1
	v_mov_b32_e32 v12, v0
                                        ; implicit-def: $vgpr14_vgpr15
	s_mov_b32 s0, exec_lo
	v_cmpx_lt_u32_e32 0x3f6fffff, v13
	s_xor_b32 s3, exec_lo, s0
	s_cbranch_execz .LBB2_62
; %bb.37:
                                        ; implicit-def: $vgpr14_vgpr15
	s_mov_b32 s0, exec_lo
	v_cmpx_lt_u32_e32 0x3fffffff, v13
	s_xor_b32 s1, exec_lo, s0
	s_cbranch_execz .LBB2_47
; %bb.38:
	;; [unrolled: 6-line block ×4, first 2 shown]
	v_frexp_mant_f64_e64 v[14:15], |v[0:1]|
	s_mov_b64 s[6:7], 0x3fe5555555555555
	v_cmp_neq_f64_e64 s0, 0, v[0:1]
	s_delay_alu instid0(VALU_DEP_2) | instskip(SKIP_2) | instid1(VALU_DEP_1)
	v_cmp_gt_f64_e32 vcc_lo, s[6:7], v[14:15]
	s_mov_b64 s[6:7], 0x3fc3ab76bf559e2b
	v_cndmask_b32_e64 v8, 0, 1, vcc_lo
	v_ldexp_f64 v[14:15], v[14:15], v8
	v_frexp_exp_i32_f64_e32 v8, v[0:1]
	s_delay_alu instid0(VALU_DEP_2) | instskip(SKIP_1) | instid1(VALU_DEP_3)
	v_add_f64_e32 v[16:17], 1.0, v[14:15]
	v_add_f64_e32 v[22:23], -1.0, v[14:15]
	v_subrev_co_ci_u32_e64 v8, null, 0, v8, vcc_lo
	v_cmp_neq_f64_e64 vcc_lo, 0x7ff00000, |v[0:1]|
	s_delay_alu instid0(VALU_DEP_4) | instskip(SKIP_1) | instid1(VALU_DEP_1)
	v_rcp_f64_e32 v[18:19], v[16:17]
	v_add_f64_e32 v[24:25], -1.0, v[16:17]
	v_add_f64_e64 v[14:15], v[14:15], -v[24:25]
	s_delay_alu instid0(TRANS32_DEP_1) | instskip(NEXT) | instid1(VALU_DEP_1)
	v_fma_f64 v[20:21], -v[16:17], v[18:19], 1.0
	v_fmac_f64_e32 v[18:19], v[20:21], v[18:19]
	s_delay_alu instid0(VALU_DEP_1) | instskip(NEXT) | instid1(VALU_DEP_1)
	v_fma_f64 v[20:21], -v[16:17], v[18:19], 1.0
	v_fmac_f64_e32 v[18:19], v[20:21], v[18:19]
	s_delay_alu instid0(VALU_DEP_1) | instskip(NEXT) | instid1(VALU_DEP_1)
	v_mul_f64_e32 v[20:21], v[22:23], v[18:19]
	v_mul_f64_e32 v[26:27], v[16:17], v[20:21]
	s_delay_alu instid0(VALU_DEP_1) | instskip(NEXT) | instid1(VALU_DEP_1)
	v_fma_f64 v[16:17], v[20:21], v[16:17], -v[26:27]
	v_fmac_f64_e32 v[16:17], v[20:21], v[14:15]
	s_delay_alu instid0(VALU_DEP_1) | instskip(NEXT) | instid1(VALU_DEP_1)
	v_add_f64_e32 v[14:15], v[26:27], v[16:17]
	v_add_f64_e64 v[24:25], v[22:23], -v[14:15]
	v_add_f64_e64 v[26:27], v[14:15], -v[26:27]
	s_delay_alu instid0(VALU_DEP_2) | instskip(NEXT) | instid1(VALU_DEP_2)
	v_add_f64_e64 v[22:23], v[22:23], -v[24:25]
	v_add_f64_e64 v[16:17], v[26:27], -v[16:17]
	s_delay_alu instid0(VALU_DEP_2) | instskip(NEXT) | instid1(VALU_DEP_1)
	v_add_f64_e64 v[14:15], v[22:23], -v[14:15]
	v_add_f64_e32 v[14:15], v[16:17], v[14:15]
	s_delay_alu instid0(VALU_DEP_1) | instskip(NEXT) | instid1(VALU_DEP_1)
	v_add_f64_e32 v[14:15], v[24:25], v[14:15]
	v_mul_f64_e32 v[14:15], v[18:19], v[14:15]
	s_delay_alu instid0(VALU_DEP_1) | instskip(NEXT) | instid1(VALU_DEP_1)
	v_add_f64_e32 v[16:17], v[20:21], v[14:15]
	v_mul_f64_e32 v[18:19], v[16:17], v[16:17]
	s_delay_alu instid0(VALU_DEP_1) | instskip(SKIP_2) | instid1(VALU_DEP_2)
	v_fmaak_f64 v[22:23], s[6:7], v[18:19], 0x3fc385386b47b09a
	v_mul_f64_e32 v[24:25], v[16:17], v[18:19]
	s_mov_b64 s[6:7], 0x3fe62e42fefa39ef
	v_fmaak_f64 v[22:23], v[18:19], v[22:23], 0x3fc7474dd7f4df2e
	s_delay_alu instid0(VALU_DEP_1) | instskip(NEXT) | instid1(VALU_DEP_1)
	v_fmaak_f64 v[22:23], v[18:19], v[22:23], 0x3fcc71c016291751
	v_fmaak_f64 v[22:23], v[18:19], v[22:23], 0x3fd249249b27acf1
	s_delay_alu instid0(VALU_DEP_1) | instskip(NEXT) | instid1(VALU_DEP_1)
	v_fmaak_f64 v[22:23], v[18:19], v[22:23], 0x3fd99999998ef7b6
	v_fmaak_f64 v[18:19], v[18:19], v[22:23], 0x3fe5555555555780
	v_ldexp_f64 v[22:23], v[16:17], 1
	v_add_f64_e64 v[16:17], v[16:17], -v[20:21]
	s_delay_alu instid0(VALU_DEP_3) | instskip(SKIP_1) | instid1(VALU_DEP_3)
	v_mul_f64_e32 v[18:19], v[24:25], v[18:19]
	v_cvt_f64_i32_e32 v[24:25], v8
	v_add_f64_e64 v[14:15], v[14:15], -v[16:17]
	s_delay_alu instid0(VALU_DEP_3) | instskip(NEXT) | instid1(VALU_DEP_2)
	v_add_f64_e32 v[20:21], v[22:23], v[18:19]
	v_ldexp_f64 v[14:15], v[14:15], 1
	s_delay_alu instid0(VALU_DEP_2) | instskip(SKIP_1) | instid1(VALU_DEP_2)
	v_add_f64_e64 v[16:17], v[20:21], -v[22:23]
	v_mul_f64_e32 v[22:23], 0x3fe62e42fefa39ef, v[24:25]
	v_add_f64_e64 v[16:17], v[18:19], -v[16:17]
	s_delay_alu instid0(VALU_DEP_2) | instskip(NEXT) | instid1(VALU_DEP_2)
	v_fma_f64 v[18:19], v[24:25], s[6:7], -v[22:23]
	v_add_f64_e32 v[14:15], v[14:15], v[16:17]
	s_delay_alu instid0(VALU_DEP_2) | instskip(NEXT) | instid1(VALU_DEP_1)
	v_fmamk_f64 v[16:17], v[24:25], 0x3c7abc9e3b39803f, v[18:19]
	v_add_f64_e32 v[18:19], v[22:23], v[16:17]
	s_delay_alu instid0(VALU_DEP_3) | instskip(NEXT) | instid1(VALU_DEP_2)
	v_add_f64_e32 v[24:25], v[20:21], v[14:15]
	v_add_f64_e64 v[22:23], v[18:19], -v[22:23]
	s_delay_alu instid0(VALU_DEP_2) | instskip(SKIP_1) | instid1(VALU_DEP_3)
	v_add_f64_e32 v[26:27], v[18:19], v[24:25]
	v_add_f64_e64 v[20:21], v[24:25], -v[20:21]
	v_add_f64_e64 v[16:17], v[16:17], -v[22:23]
	s_delay_alu instid0(VALU_DEP_3) | instskip(NEXT) | instid1(VALU_DEP_3)
	v_add_f64_e64 v[28:29], v[26:27], -v[18:19]
	v_add_f64_e64 v[14:15], v[14:15], -v[20:21]
	s_delay_alu instid0(VALU_DEP_2) | instskip(SKIP_1) | instid1(VALU_DEP_3)
	v_add_f64_e64 v[30:31], v[26:27], -v[28:29]
	v_add_f64_e64 v[20:21], v[24:25], -v[28:29]
	v_add_f64_e32 v[22:23], v[16:17], v[14:15]
	s_delay_alu instid0(VALU_DEP_3) | instskip(NEXT) | instid1(VALU_DEP_1)
	v_add_f64_e64 v[18:19], v[18:19], -v[30:31]
	v_add_f64_e32 v[18:19], v[20:21], v[18:19]
	s_delay_alu instid0(VALU_DEP_3) | instskip(NEXT) | instid1(VALU_DEP_2)
	v_add_f64_e64 v[20:21], v[22:23], -v[16:17]
	v_add_f64_e32 v[18:19], v[22:23], v[18:19]
	s_delay_alu instid0(VALU_DEP_2) | instskip(SKIP_1) | instid1(VALU_DEP_3)
	v_add_f64_e64 v[22:23], v[22:23], -v[20:21]
	v_add_f64_e64 v[14:15], v[14:15], -v[20:21]
	v_add_f64_e32 v[24:25], v[26:27], v[18:19]
	s_delay_alu instid0(VALU_DEP_3) | instskip(NEXT) | instid1(VALU_DEP_2)
	v_add_f64_e64 v[16:17], v[16:17], -v[22:23]
	v_add_f64_e64 v[20:21], v[24:25], -v[26:27]
	s_delay_alu instid0(VALU_DEP_2) | instskip(NEXT) | instid1(VALU_DEP_2)
	v_add_f64_e32 v[14:15], v[14:15], v[16:17]
	v_add_f64_e64 v[16:17], v[18:19], -v[20:21]
	s_delay_alu instid0(VALU_DEP_1) | instskip(NEXT) | instid1(VALU_DEP_1)
	v_add_f64_e32 v[14:15], v[14:15], v[16:17]
	v_add_f64_e32 v[14:15], v[24:25], v[14:15]
	s_delay_alu instid0(VALU_DEP_1) | instskip(SKIP_1) | instid1(VALU_DEP_2)
	v_cndmask_b32_e32 v8, 0x7ff00000, v15, vcc_lo
	s_and_b32 vcc_lo, s0, vcc_lo
	v_cndmask_b32_e32 v14, 0, v14, vcc_lo
	s_delay_alu instid0(VALU_DEP_2) | instskip(NEXT) | instid1(VALU_DEP_1)
	v_cndmask_b32_e64 v15, 0xfff00000, v8, s0
	v_fma_f64 v[14:15], |v[0:1]|, v[14:15], -|v[0:1]|
.LBB2_41:
	s_and_not1_saveexec_b32 s4, s4
	s_cbranch_execz .LBB2_43
; %bb.42:
	v_frexp_mant_f64_e64 v[14:15], |v[0:1]|
	s_mov_b64 s[6:7], 0x3fe5555555555555
	v_cmp_neq_f64_e64 s0, 0, v[0:1]
	v_mov_b32_e32 v12, v0
	s_delay_alu instid0(VALU_DEP_1) | instskip(NEXT) | instid1(VALU_DEP_4)
	v_div_scale_f64 v[28:29], null, v[12:13], v[12:13], 1.0
	v_cmp_gt_f64_e32 vcc_lo, s[6:7], v[14:15]
	s_mov_b64 s[6:7], 0x3fc3ab76bf559e2b
	s_delay_alu instid0(VALU_DEP_2) | instskip(SKIP_1) | instid1(VALU_DEP_1)
	v_rcp_f64_e32 v[32:33], v[28:29]
	v_cndmask_b32_e64 v8, 0, 1, vcc_lo
	v_ldexp_f64 v[14:15], v[14:15], v8
	v_frexp_exp_i32_f64_e32 v8, v[0:1]
	s_delay_alu instid0(TRANS32_DEP_1) | instskip(NEXT) | instid1(VALU_DEP_3)
	v_fma_f64 v[36:37], -v[28:29], v[32:33], 1.0
	v_add_f64_e32 v[16:17], 1.0, v[14:15]
	v_add_f64_e32 v[22:23], -1.0, v[14:15]
	s_delay_alu instid0(VALU_DEP_4) | instskip(NEXT) | instid1(VALU_DEP_4)
	v_subrev_co_ci_u32_e64 v8, null, 0, v8, vcc_lo
	v_fmac_f64_e32 v[32:33], v[32:33], v[36:37]
	s_delay_alu instid0(VALU_DEP_4) | instskip(SKIP_1) | instid1(VALU_DEP_1)
	v_rcp_f64_e32 v[18:19], v[16:17]
	v_add_f64_e32 v[24:25], -1.0, v[16:17]
	v_add_f64_e64 v[14:15], v[14:15], -v[24:25]
	s_delay_alu instid0(TRANS32_DEP_1) | instskip(NEXT) | instid1(VALU_DEP_1)
	v_fma_f64 v[20:21], -v[16:17], v[18:19], 1.0
	v_fmac_f64_e32 v[18:19], v[20:21], v[18:19]
	s_delay_alu instid0(VALU_DEP_1) | instskip(NEXT) | instid1(VALU_DEP_1)
	v_fma_f64 v[20:21], -v[16:17], v[18:19], 1.0
	v_fmac_f64_e32 v[18:19], v[20:21], v[18:19]
	s_delay_alu instid0(VALU_DEP_1) | instskip(NEXT) | instid1(VALU_DEP_1)
	v_mul_f64_e32 v[20:21], v[22:23], v[18:19]
	v_mul_f64_e32 v[26:27], v[16:17], v[20:21]
	s_delay_alu instid0(VALU_DEP_1) | instskip(NEXT) | instid1(VALU_DEP_1)
	v_fma_f64 v[16:17], v[20:21], v[16:17], -v[26:27]
	v_fmac_f64_e32 v[16:17], v[20:21], v[14:15]
	s_delay_alu instid0(VALU_DEP_1) | instskip(NEXT) | instid1(VALU_DEP_1)
	v_add_f64_e32 v[14:15], v[26:27], v[16:17]
	v_add_f64_e64 v[24:25], v[22:23], -v[14:15]
	v_add_f64_e64 v[26:27], v[14:15], -v[26:27]
	s_delay_alu instid0(VALU_DEP_2) | instskip(NEXT) | instid1(VALU_DEP_2)
	v_add_f64_e64 v[22:23], v[22:23], -v[24:25]
	v_add_f64_e64 v[16:17], v[26:27], -v[16:17]
	s_delay_alu instid0(VALU_DEP_2) | instskip(NEXT) | instid1(VALU_DEP_1)
	v_add_f64_e64 v[14:15], v[22:23], -v[14:15]
	v_add_f64_e32 v[14:15], v[16:17], v[14:15]
	s_delay_alu instid0(VALU_DEP_1) | instskip(NEXT) | instid1(VALU_DEP_1)
	v_add_f64_e32 v[14:15], v[24:25], v[14:15]
	v_mul_f64_e32 v[14:15], v[18:19], v[14:15]
	s_delay_alu instid0(VALU_DEP_1) | instskip(NEXT) | instid1(VALU_DEP_1)
	v_add_f64_e32 v[16:17], v[20:21], v[14:15]
	v_mul_f64_e32 v[18:19], v[16:17], v[16:17]
	s_delay_alu instid0(VALU_DEP_1) | instskip(SKIP_2) | instid1(VALU_DEP_2)
	v_fmaak_f64 v[22:23], s[6:7], v[18:19], 0x3fc385386b47b09a
	v_mul_f64_e32 v[24:25], v[16:17], v[18:19]
	s_mov_b64 s[6:7], 0x3fe62e42fefa39ef
	v_fmaak_f64 v[22:23], v[18:19], v[22:23], 0x3fc7474dd7f4df2e
	s_delay_alu instid0(VALU_DEP_1) | instskip(NEXT) | instid1(VALU_DEP_1)
	v_fmaak_f64 v[22:23], v[18:19], v[22:23], 0x3fcc71c016291751
	v_fmaak_f64 v[22:23], v[18:19], v[22:23], 0x3fd249249b27acf1
	s_delay_alu instid0(VALU_DEP_1) | instskip(NEXT) | instid1(VALU_DEP_1)
	v_fmaak_f64 v[22:23], v[18:19], v[22:23], 0x3fd99999998ef7b6
	v_fmaak_f64 v[18:19], v[18:19], v[22:23], 0x3fe5555555555780
	v_ldexp_f64 v[22:23], v[16:17], 1
	v_add_f64_e64 v[16:17], v[16:17], -v[20:21]
	s_delay_alu instid0(VALU_DEP_3) | instskip(SKIP_1) | instid1(VALU_DEP_3)
	v_mul_f64_e32 v[18:19], v[24:25], v[18:19]
	v_cvt_f64_i32_e32 v[24:25], v8
	v_add_f64_e64 v[14:15], v[14:15], -v[16:17]
	s_delay_alu instid0(VALU_DEP_3) | instskip(NEXT) | instid1(VALU_DEP_2)
	v_add_f64_e32 v[20:21], v[22:23], v[18:19]
	v_ldexp_f64 v[14:15], v[14:15], 1
	s_delay_alu instid0(VALU_DEP_2) | instskip(SKIP_1) | instid1(VALU_DEP_2)
	v_add_f64_e64 v[16:17], v[20:21], -v[22:23]
	v_mul_f64_e32 v[22:23], 0x3fe62e42fefa39ef, v[24:25]
	v_add_f64_e64 v[16:17], v[18:19], -v[16:17]
	s_delay_alu instid0(VALU_DEP_2) | instskip(SKIP_1) | instid1(VALU_DEP_2)
	v_fma_f64 v[18:19], v[24:25], s[6:7], -v[22:23]
	s_mov_b64 s[6:7], 0xbf5ab89d0b9e43e4
	v_add_f64_e32 v[14:15], v[14:15], v[16:17]
	s_delay_alu instid0(VALU_DEP_2) | instskip(NEXT) | instid1(VALU_DEP_1)
	v_fmamk_f64 v[16:17], v[24:25], 0x3c7abc9e3b39803f, v[18:19]
	v_add_f64_e32 v[18:19], v[22:23], v[16:17]
	s_delay_alu instid0(VALU_DEP_3) | instskip(NEXT) | instid1(VALU_DEP_2)
	v_add_f64_e32 v[24:25], v[20:21], v[14:15]
	v_add_f64_e64 v[22:23], v[18:19], -v[22:23]
	s_delay_alu instid0(VALU_DEP_2) | instskip(SKIP_1) | instid1(VALU_DEP_3)
	v_add_f64_e32 v[26:27], v[18:19], v[24:25]
	v_add_f64_e64 v[20:21], v[24:25], -v[20:21]
	v_add_f64_e64 v[16:17], v[16:17], -v[22:23]
	s_delay_alu instid0(VALU_DEP_3) | instskip(NEXT) | instid1(VALU_DEP_3)
	v_add_f64_e64 v[30:31], v[26:27], -v[18:19]
	v_add_f64_e64 v[14:15], v[14:15], -v[20:21]
	s_delay_alu instid0(VALU_DEP_2) | instskip(SKIP_1) | instid1(VALU_DEP_3)
	v_add_f64_e64 v[34:35], v[26:27], -v[30:31]
	v_add_f64_e64 v[20:21], v[24:25], -v[30:31]
	v_add_f64_e32 v[22:23], v[16:17], v[14:15]
	v_div_scale_f64 v[30:31], vcc_lo, 1.0, v[12:13], 1.0
	s_delay_alu instid0(VALU_DEP_4) | instskip(NEXT) | instid1(VALU_DEP_3)
	v_add_f64_e64 v[18:19], v[18:19], -v[34:35]
	v_add_f64_e64 v[24:25], v[22:23], -v[16:17]
	s_delay_alu instid0(VALU_DEP_2) | instskip(SKIP_1) | instid1(VALU_DEP_3)
	v_add_f64_e32 v[18:19], v[20:21], v[18:19]
	v_fma_f64 v[20:21], -v[28:29], v[32:33], 1.0
	v_add_f64_e64 v[14:15], v[14:15], -v[24:25]
	s_delay_alu instid0(VALU_DEP_3) | instskip(NEXT) | instid1(VALU_DEP_3)
	v_add_f64_e32 v[18:19], v[22:23], v[18:19]
	v_fmac_f64_e32 v[32:33], v[32:33], v[20:21]
	v_add_f64_e64 v[20:21], v[22:23], -v[24:25]
	s_delay_alu instid0(VALU_DEP_3) | instskip(NEXT) | instid1(VALU_DEP_3)
	v_add_f64_e32 v[22:23], v[26:27], v[18:19]
	v_mul_f64_e32 v[34:35], v[30:31], v[32:33]
	s_delay_alu instid0(VALU_DEP_3) | instskip(NEXT) | instid1(VALU_DEP_3)
	v_add_f64_e64 v[16:17], v[16:17], -v[20:21]
	v_add_f64_e64 v[20:21], v[22:23], -v[26:27]
	s_delay_alu instid0(VALU_DEP_3) | instskip(NEXT) | instid1(VALU_DEP_3)
	v_fma_f64 v[24:25], -v[28:29], v[34:35], v[30:31]
	v_add_f64_e32 v[14:15], v[14:15], v[16:17]
	s_delay_alu instid0(VALU_DEP_3) | instskip(NEXT) | instid1(VALU_DEP_3)
	v_add_f64_e64 v[16:17], v[18:19], -v[20:21]
	v_div_fmas_f64 v[18:19], v[24:25], v[32:33], v[34:35]
	v_cmp_neq_f64_e64 vcc_lo, 0x7ff00000, |v[0:1]|
	s_delay_alu instid0(VALU_DEP_3) | instskip(NEXT) | instid1(VALU_DEP_3)
	v_add_f64_e32 v[14:15], v[14:15], v[16:17]
	v_div_fixup_f64 v[16:17], v[18:19], |v[0:1]|, 1.0
	s_delay_alu instid0(VALU_DEP_2) | instskip(NEXT) | instid1(VALU_DEP_2)
	v_add_f64_e32 v[14:15], v[22:23], v[14:15]
	v_mul_f64_e32 v[18:19], v[16:17], v[16:17]
	v_add_f64_e64 v[22:23], |v[0:1]|, -0.5
	s_delay_alu instid0(VALU_DEP_3) | instskip(NEXT) | instid1(VALU_DEP_3)
	v_add_f64_e32 v[20:21], -1.0, v[14:15]
	v_fmaak_f64 v[14:15], s[6:7], v[18:19], 0x3f4b67ba4cdad5d1
	s_delay_alu instid0(VALU_DEP_1) | instskip(NEXT) | instid1(VALU_DEP_1)
	v_fmaak_f64 v[14:15], v[18:19], v[14:15], 0xbf4380cb8c0fe741
	v_fmaak_f64 v[14:15], v[18:19], v[14:15], 0x3f4a019f98cf38b6
	s_delay_alu instid0(VALU_DEP_1) | instskip(NEXT) | instid1(VALU_DEP_1)
	v_fmaak_f64 v[14:15], v[18:19], v[14:15], 0xbf66c16c16b02e5c
	v_fmaak_f64 v[14:15], v[18:19], v[14:15], 0x3fb555555555553b
	v_cndmask_b32_e32 v8, 0x7ff00000, v21, vcc_lo
	s_and_b32 vcc_lo, s0, vcc_lo
	s_delay_alu instid0(VALU_DEP_2) | instskip(NEXT) | instid1(VALU_DEP_2)
	v_fmaak_f64 v[14:15], v[16:17], v[14:15], 0x3fdacfe390c97d69
	v_cndmask_b32_e64 v17, 0xfff00000, v8, s0
	v_cndmask_b32_e32 v16, 0, v20, vcc_lo
	s_delay_alu instid0(VALU_DEP_1)
	v_fmac_f64_e32 v[14:15], v[22:23], v[16:17]
.LBB2_43:
	s_or_b32 exec_lo, exec_lo, s4
.LBB2_44:
	s_and_not1_saveexec_b32 s2, s2
	s_cbranch_execz .LBB2_46
; %bb.45:
	v_cvt_i32_f64_e32 v8, v[12:13]
	s_mov_b64 s[4:5], 0x3fe5555555555555
	s_delay_alu instid0(VALU_DEP_1) | instskip(SKIP_2) | instid1(VALU_DEP_3)
	v_cvt_f64_i32_e32 v[14:15], v8
	v_cmp_lt_i32_e32 vcc_lo, 2, v8
	v_cmp_lt_i32_e64 s0, 3, v8
	v_add_f64_e64 v[14:15], |v[0:1]|, -v[14:15]
	s_delay_alu instid0(VALU_DEP_1) | instskip(SKIP_2) | instid1(VALU_DEP_2)
	v_add_f64_e32 v[20:21], 4.0, v[14:15]
	v_add_f64_e32 v[16:17], 2.0, v[14:15]
	v_add_f64_e32 v[18:19], 0x40080000, v[14:15]
	v_cndmask_b32_e32 v17, 0x3ff00000, v17, vcc_lo
	s_delay_alu instid0(VALU_DEP_3) | instskip(SKIP_1) | instid1(VALU_DEP_4)
	v_cndmask_b32_e32 v16, 0, v16, vcc_lo
	v_cmp_lt_i32_e32 vcc_lo, 4, v8
	v_cndmask_b32_e64 v19, 0x3ff00000, v19, s0
	v_cndmask_b32_e32 v21, 0x3ff00000, v21, vcc_lo
	v_dual_cndmask_b32 v20, 0, v20, vcc_lo :: v_dual_cndmask_b32 v18, 0, v18, s0
	v_cmp_lt_i32_e32 vcc_lo, 5, v8
	s_delay_alu instid0(VALU_DEP_2) | instskip(SKIP_1) | instid1(VALU_DEP_2)
	v_mul_f64_e32 v[16:17], v[16:17], v[18:19]
	v_add_f64_e32 v[18:19], 0x40140000, v[14:15]
	v_mul_f64_e32 v[16:17], v[20:21], v[16:17]
	v_add_f64_e32 v[20:21], 0x40180000, v[14:15]
	s_delay_alu instid0(VALU_DEP_3) | instskip(NEXT) | instid1(VALU_DEP_4)
	v_cndmask_b32_e32 v19, 0x3ff00000, v19, vcc_lo
	v_cndmask_b32_e32 v18, 0, v18, vcc_lo
	v_cmp_lt_i32_e32 vcc_lo, 6, v8
	s_delay_alu instid0(VALU_DEP_2) | instskip(SKIP_2) | instid1(VALU_DEP_1)
	v_mul_f64_e32 v[16:17], v[18:19], v[16:17]
	v_cndmask_b32_e32 v19, 0x3ff00000, v21, vcc_lo
	v_cndmask_b32_e32 v18, 0, v20, vcc_lo
	v_mul_f64_e32 v[16:17], v[18:19], v[16:17]
	s_delay_alu instid0(VALU_DEP_1) | instskip(NEXT) | instid1(VALU_DEP_1)
	v_frexp_mant_f64_e32 v[18:19], v[16:17]
	v_cmp_gt_f64_e32 vcc_lo, s[4:5], v[18:19]
	s_mov_b64 s[4:5], 0x3fc3ab76bf559e2b
	v_cndmask_b32_e64 v8, 0, 1, vcc_lo
	s_delay_alu instid0(VALU_DEP_1) | instskip(SKIP_1) | instid1(VALU_DEP_2)
	v_ldexp_f64 v[18:19], v[18:19], v8
	v_frexp_exp_i32_f64_e32 v8, v[16:17]
	v_add_f64_e32 v[20:21], 1.0, v[18:19]
	v_add_f64_e32 v[26:27], -1.0, v[18:19]
	s_delay_alu instid0(VALU_DEP_3) | instskip(NEXT) | instid1(VALU_DEP_3)
	v_subrev_co_ci_u32_e64 v8, null, 0, v8, vcc_lo
	v_rcp_f64_e32 v[22:23], v[20:21]
	v_add_f64_e32 v[28:29], -1.0, v[20:21]
	s_delay_alu instid0(VALU_DEP_1) | instskip(NEXT) | instid1(TRANS32_DEP_1)
	v_add_f64_e64 v[18:19], v[18:19], -v[28:29]
	v_fma_f64 v[24:25], -v[20:21], v[22:23], 1.0
	s_delay_alu instid0(VALU_DEP_1) | instskip(NEXT) | instid1(VALU_DEP_1)
	v_fmac_f64_e32 v[22:23], v[24:25], v[22:23]
	v_fma_f64 v[24:25], -v[20:21], v[22:23], 1.0
	s_delay_alu instid0(VALU_DEP_1) | instskip(NEXT) | instid1(VALU_DEP_1)
	v_fmac_f64_e32 v[22:23], v[24:25], v[22:23]
	v_mul_f64_e32 v[24:25], v[26:27], v[22:23]
	s_delay_alu instid0(VALU_DEP_1) | instskip(NEXT) | instid1(VALU_DEP_1)
	v_mul_f64_e32 v[30:31], v[20:21], v[24:25]
	v_fma_f64 v[20:21], v[24:25], v[20:21], -v[30:31]
	s_delay_alu instid0(VALU_DEP_1) | instskip(NEXT) | instid1(VALU_DEP_1)
	v_fmac_f64_e32 v[20:21], v[24:25], v[18:19]
	v_add_f64_e32 v[18:19], v[30:31], v[20:21]
	s_delay_alu instid0(VALU_DEP_1) | instskip(SKIP_1) | instid1(VALU_DEP_2)
	v_add_f64_e64 v[28:29], v[26:27], -v[18:19]
	v_add_f64_e64 v[30:31], v[18:19], -v[30:31]
	;; [unrolled: 1-line block ×3, first 2 shown]
	s_delay_alu instid0(VALU_DEP_2) | instskip(NEXT) | instid1(VALU_DEP_2)
	v_add_f64_e64 v[20:21], v[30:31], -v[20:21]
	v_add_f64_e64 v[18:19], v[26:27], -v[18:19]
	s_delay_alu instid0(VALU_DEP_1) | instskip(NEXT) | instid1(VALU_DEP_1)
	v_add_f64_e32 v[18:19], v[20:21], v[18:19]
	v_add_f64_e32 v[18:19], v[28:29], v[18:19]
	s_delay_alu instid0(VALU_DEP_1) | instskip(NEXT) | instid1(VALU_DEP_1)
	v_mul_f64_e32 v[18:19], v[22:23], v[18:19]
	v_add_f64_e32 v[20:21], v[24:25], v[18:19]
	s_delay_alu instid0(VALU_DEP_1) | instskip(NEXT) | instid1(VALU_DEP_1)
	v_mul_f64_e32 v[22:23], v[20:21], v[20:21]
	v_fmaak_f64 v[26:27], s[4:5], v[22:23], 0x3fc385386b47b09a
	v_mul_f64_e32 v[28:29], v[20:21], v[22:23]
	s_mov_b64 s[4:5], 0x3fe62e42fefa39ef
	s_delay_alu instid0(VALU_DEP_2) | instskip(NEXT) | instid1(VALU_DEP_1)
	v_fmaak_f64 v[26:27], v[22:23], v[26:27], 0x3fc7474dd7f4df2e
	v_fmaak_f64 v[26:27], v[22:23], v[26:27], 0x3fcc71c016291751
	s_delay_alu instid0(VALU_DEP_1) | instskip(NEXT) | instid1(VALU_DEP_1)
	v_fmaak_f64 v[26:27], v[22:23], v[26:27], 0x3fd249249b27acf1
	v_fmaak_f64 v[26:27], v[22:23], v[26:27], 0x3fd99999998ef7b6
	s_delay_alu instid0(VALU_DEP_1) | instskip(SKIP_2) | instid1(VALU_DEP_3)
	v_fmaak_f64 v[22:23], v[22:23], v[26:27], 0x3fe5555555555780
	v_ldexp_f64 v[26:27], v[20:21], 1
	v_add_f64_e64 v[20:21], v[20:21], -v[24:25]
	v_mul_f64_e32 v[22:23], v[28:29], v[22:23]
	v_cvt_f64_i32_e32 v[28:29], v8
	s_delay_alu instid0(VALU_DEP_3) | instskip(NEXT) | instid1(VALU_DEP_3)
	v_add_f64_e64 v[18:19], v[18:19], -v[20:21]
	v_add_f64_e32 v[24:25], v[26:27], v[22:23]
	s_delay_alu instid0(VALU_DEP_2) | instskip(NEXT) | instid1(VALU_DEP_2)
	v_ldexp_f64 v[18:19], v[18:19], 1
	v_add_f64_e64 v[20:21], v[24:25], -v[26:27]
	v_mul_f64_e32 v[26:27], 0x3fe62e42fefa39ef, v[28:29]
	s_delay_alu instid0(VALU_DEP_2) | instskip(NEXT) | instid1(VALU_DEP_2)
	v_add_f64_e64 v[20:21], v[22:23], -v[20:21]
	v_fma_f64 v[22:23], v[28:29], s[4:5], -v[26:27]
	s_mov_b64 s[4:5], 0x3f00bfecdd17e945
	s_delay_alu instid0(SALU_CYCLE_1) | instskip(SKIP_1) | instid1(VALU_DEP_1)
	v_fmaak_f64 v[30:31], s[4:5], v[14:15], 0x3f5e26b67368f239
	s_mov_b64 s[4:5], 0x3edebaf7a5b38140
	v_fmaak_f64 v[30:31], v[14:15], v[30:31], 0x3f9b481c7e939961
	s_delay_alu instid0(VALU_DEP_1) | instskip(NEXT) | instid1(VALU_DEP_1)
	v_fmaak_f64 v[30:31], v[14:15], v[30:31], 0x3fc2bb9cbee5f2f7
	v_fmaak_f64 v[30:31], v[14:15], v[30:31], 0x3fd4d98f4f139f59
	v_add_f64_e32 v[18:19], v[18:19], v[20:21]
	v_fmaak_f64 v[20:21], s[4:5], v[14:15], 0x3f497ddaca41a95b
	v_fmamk_f64 v[22:23], v[28:29], 0x3c7abc9e3b39803f, v[22:23]
	s_delay_alu instid0(VALU_DEP_4) | instskip(NEXT) | instid1(VALU_DEP_3)
	v_fmaak_f64 v[28:29], v[14:15], v[30:31], 0x3fcb848b36e20878
	v_fmaak_f64 v[20:21], v[14:15], v[20:21], 0x3f9317ea742ed475
	s_delay_alu instid0(VALU_DEP_3) | instskip(NEXT) | instid1(VALU_DEP_3)
	v_add_f64_e32 v[30:31], v[26:27], v[22:23]
	v_fmaak_f64 v[28:29], v[14:15], v[28:29], 0xbfb3c467e37db0c8
	s_delay_alu instid0(VALU_DEP_3) | instskip(NEXT) | instid1(VALU_DEP_2)
	v_fmaak_f64 v[20:21], v[14:15], v[20:21], 0x3fc601edccfbdf27
	v_mul_f64_e32 v[28:29], v[14:15], v[28:29]
	s_delay_alu instid0(VALU_DEP_2) | instskip(NEXT) | instid1(VALU_DEP_1)
	v_fmaak_f64 v[20:21], v[14:15], v[20:21], 0x3fe71a1893d3dcdc
	v_fmaak_f64 v[20:21], v[14:15], v[20:21], 0x3ff645a762c4ab74
	v_add_f64_e32 v[32:33], v[24:25], v[18:19]
	s_delay_alu instid0(VALU_DEP_2) | instskip(SKIP_1) | instid1(VALU_DEP_3)
	v_fma_f64 v[20:21], v[14:15], v[20:21], 1.0
	v_add_f64_e64 v[26:27], v[30:31], -v[26:27]
	v_add_f64_e32 v[34:35], v[30:31], v[32:33]
	v_add_f64_e64 v[24:25], v[32:33], -v[24:25]
	s_delay_alu instid0(VALU_DEP_4) | instskip(NEXT) | instid1(VALU_DEP_4)
	v_div_scale_f64 v[36:37], null, v[20:21], v[20:21], v[28:29]
	v_add_f64_e64 v[22:23], v[22:23], -v[26:27]
	s_delay_alu instid0(VALU_DEP_4) | instskip(NEXT) | instid1(VALU_DEP_4)
	v_add_f64_e64 v[38:39], v[34:35], -v[30:31]
	v_add_f64_e64 v[18:19], v[18:19], -v[24:25]
	s_delay_alu instid0(VALU_DEP_4) | instskip(NEXT) | instid1(VALU_DEP_2)
	v_rcp_f64_e32 v[48:49], v[36:37]
	v_add_f64_e64 v[50:51], v[34:35], -v[38:39]
	v_add_f64_e64 v[24:25], v[32:33], -v[38:39]
	v_div_scale_f64 v[38:39], vcc_lo, v[28:29], v[20:21], v[28:29]
	s_delay_alu instid0(TRANS32_DEP_1) | instskip(NEXT) | instid1(VALU_DEP_4)
	v_fma_f64 v[52:53], -v[36:37], v[48:49], 1.0
	v_add_f64_e64 v[26:27], v[30:31], -v[50:51]
	v_add_f64_e32 v[30:31], v[22:23], v[18:19]
	s_delay_alu instid0(VALU_DEP_3) | instskip(NEXT) | instid1(VALU_DEP_3)
	v_fmac_f64_e32 v[48:49], v[48:49], v[52:53]
	v_add_f64_e32 v[24:25], v[24:25], v[26:27]
	s_delay_alu instid0(VALU_DEP_3) | instskip(NEXT) | instid1(VALU_DEP_3)
	v_add_f64_e64 v[32:33], v[30:31], -v[22:23]
	v_fma_f64 v[26:27], -v[36:37], v[48:49], 1.0
	s_delay_alu instid0(VALU_DEP_3) | instskip(NEXT) | instid1(VALU_DEP_3)
	v_add_f64_e32 v[24:25], v[30:31], v[24:25]
	v_add_f64_e64 v[18:19], v[18:19], -v[32:33]
	s_delay_alu instid0(VALU_DEP_3) | instskip(SKIP_1) | instid1(VALU_DEP_4)
	v_fmac_f64_e32 v[48:49], v[48:49], v[26:27]
	v_add_f64_e64 v[26:27], v[30:31], -v[32:33]
	v_add_f64_e32 v[30:31], v[34:35], v[24:25]
	s_delay_alu instid0(VALU_DEP_3) | instskip(NEXT) | instid1(VALU_DEP_3)
	v_mul_f64_e32 v[50:51], v[38:39], v[48:49]
	v_add_f64_e64 v[22:23], v[22:23], -v[26:27]
	s_delay_alu instid0(VALU_DEP_3) | instskip(NEXT) | instid1(VALU_DEP_3)
	v_add_f64_e64 v[26:27], v[30:31], -v[34:35]
	v_fma_f64 v[32:33], -v[36:37], v[50:51], v[38:39]
	s_delay_alu instid0(VALU_DEP_3) | instskip(NEXT) | instid1(VALU_DEP_3)
	v_add_f64_e32 v[18:19], v[18:19], v[22:23]
	v_add_f64_e64 v[22:23], v[24:25], -v[26:27]
	s_delay_alu instid0(VALU_DEP_3) | instskip(SKIP_1) | instid1(VALU_DEP_3)
	v_div_fmas_f64 v[24:25], v[32:33], v[48:49], v[50:51]
	v_cmp_class_f64_e64 vcc_lo, v[16:17], 0x204
	v_add_f64_e32 v[18:19], v[18:19], v[22:23]
	s_delay_alu instid0(VALU_DEP_3) | instskip(NEXT) | instid1(VALU_DEP_2)
	v_div_fixup_f64 v[20:21], v[24:25], v[20:21], v[28:29]
	v_add_f64_e32 v[18:19], v[30:31], v[18:19]
	s_delay_alu instid0(VALU_DEP_2) | instskip(NEXT) | instid1(VALU_DEP_2)
	v_fmac_f64_e32 v[20:21], 0.5, v[14:15]
	v_dual_cndmask_b32 v8, v18, v16, vcc_lo :: v_dual_cndmask_b32 v12, v19, v17, vcc_lo
	v_cmp_ngt_f64_e32 vcc_lo, 0, v[16:17]
	s_delay_alu instid0(VALU_DEP_2) | instskip(SKIP_1) | instid1(VALU_DEP_4)
	v_cndmask_b32_e32 v12, 0x7ff80000, v12, vcc_lo
	v_cmp_nge_f64_e32 vcc_lo, 0, v[16:17]
	v_cndmask_b32_e32 v14, 0, v8, vcc_lo
	v_cmp_neq_f64_e32 vcc_lo, 0, v[16:17]
	s_delay_alu instid0(VALU_DEP_4) | instskip(NEXT) | instid1(VALU_DEP_1)
	v_cndmask_b32_e32 v15, 0xfff00000, v12, vcc_lo
	v_add_f64_e32 v[14:15], v[20:21], v[14:15]
.LBB2_46:
	s_or_b32 exec_lo, exec_lo, s2
.LBB2_47:
	s_and_not1_saveexec_b32 s4, s1
	s_cbranch_execz .LBB2_61
; %bb.48:
                                        ; implicit-def: $vgpr8
                                        ; implicit-def: $vgpr16_vgpr17
	s_mov_b32 s0, exec_lo
	v_cmpx_lt_u32_e32 0x3feccccc, v13
	s_xor_b32 s1, exec_lo, s0
	s_cbranch_execz .LBB2_50
; %bb.49:
	s_mov_b64 s[6:7], 0xbff762d86356be3f
	v_add_f64_e64 v[14:15], -|v[0:1]|, 2.0
	v_add_f64_e64 v[16:17], |v[0:1]|, s[6:7]
	v_add_f64_e64 v[18:19], |v[0:1]|, -1.0
	v_cmp_gt_u32_e32 vcc_lo, 0x3ffbb4c3, v13
	v_cmp_gt_u32_e64 s0, 0x3ff3b4c4, v13
	s_delay_alu instid0(VALU_DEP_4) | instskip(SKIP_1) | instid1(VALU_DEP_2)
	v_dual_cndmask_b32 v8, v14, v16, vcc_lo :: v_dual_cndmask_b32 v12, v15, v17, vcc_lo
	v_cndmask_b32_e64 v14, 0, 1, vcc_lo
	v_cndmask_b32_e64 v16, v8, v18, s0
	s_delay_alu instid0(VALU_DEP_3) | instskip(NEXT) | instid1(VALU_DEP_3)
	v_cndmask_b32_e64 v17, v12, v19, s0
	v_cndmask_b32_e64 v8, v14, 2, s0
.LBB2_50:
	s_or_saveexec_b32 s5, s1
	v_mov_b64_e32 v[14:15], 0
	s_xor_b32 exec_lo, exec_lo, s5
	s_cbranch_execz .LBB2_52
; %bb.51:
	v_frexp_mant_f64_e64 v[14:15], |v[0:1]|
	s_mov_b64 s[0:1], 0x3fe5555555555555
	v_cmp_gt_u32_e64 s2, 0x3fcda661, v13
	s_delay_alu instid0(VALU_DEP_2) | instskip(SKIP_2) | instid1(VALU_DEP_1)
	v_cmp_gt_f64_e32 vcc_lo, s[0:1], v[14:15]
	s_mov_b64 s[0:1], 0x3fc3ab76bf559e2b
	v_cndmask_b32_e64 v8, 0, 1, vcc_lo
	v_ldexp_f64 v[14:15], v[14:15], v8
	v_frexp_exp_i32_f64_e32 v8, v[0:1]
	s_delay_alu instid0(VALU_DEP_2) | instskip(SKIP_1) | instid1(VALU_DEP_3)
	v_add_f64_e32 v[16:17], 1.0, v[14:15]
	v_add_f64_e32 v[22:23], -1.0, v[14:15]
	v_subrev_co_ci_u32_e64 v8, null, 0, v8, vcc_lo
	v_cmp_neq_f64_e64 vcc_lo, 0x7ff00000, |v[0:1]|
	s_delay_alu instid0(VALU_DEP_4) | instskip(SKIP_1) | instid1(VALU_DEP_1)
	v_rcp_f64_e32 v[18:19], v[16:17]
	v_add_f64_e32 v[24:25], -1.0, v[16:17]
	v_add_f64_e64 v[14:15], v[14:15], -v[24:25]
	s_delay_alu instid0(TRANS32_DEP_1) | instskip(NEXT) | instid1(VALU_DEP_1)
	v_fma_f64 v[20:21], -v[16:17], v[18:19], 1.0
	v_fmac_f64_e32 v[18:19], v[20:21], v[18:19]
	s_delay_alu instid0(VALU_DEP_1) | instskip(NEXT) | instid1(VALU_DEP_1)
	v_fma_f64 v[20:21], -v[16:17], v[18:19], 1.0
	v_fmac_f64_e32 v[18:19], v[20:21], v[18:19]
	s_delay_alu instid0(VALU_DEP_1) | instskip(NEXT) | instid1(VALU_DEP_1)
	v_mul_f64_e32 v[20:21], v[22:23], v[18:19]
	v_mul_f64_e32 v[26:27], v[16:17], v[20:21]
	s_delay_alu instid0(VALU_DEP_1) | instskip(NEXT) | instid1(VALU_DEP_1)
	v_fma_f64 v[16:17], v[20:21], v[16:17], -v[26:27]
	v_fmac_f64_e32 v[16:17], v[20:21], v[14:15]
	s_delay_alu instid0(VALU_DEP_1) | instskip(NEXT) | instid1(VALU_DEP_1)
	v_add_f64_e32 v[14:15], v[26:27], v[16:17]
	v_add_f64_e64 v[24:25], v[22:23], -v[14:15]
	v_add_f64_e64 v[26:27], v[14:15], -v[26:27]
	s_delay_alu instid0(VALU_DEP_2) | instskip(NEXT) | instid1(VALU_DEP_2)
	v_add_f64_e64 v[22:23], v[22:23], -v[24:25]
	v_add_f64_e64 v[16:17], v[26:27], -v[16:17]
	s_delay_alu instid0(VALU_DEP_2) | instskip(NEXT) | instid1(VALU_DEP_1)
	v_add_f64_e64 v[14:15], v[22:23], -v[14:15]
	v_add_f64_e32 v[14:15], v[16:17], v[14:15]
	s_delay_alu instid0(VALU_DEP_1) | instskip(NEXT) | instid1(VALU_DEP_1)
	v_add_f64_e32 v[14:15], v[24:25], v[14:15]
	v_mul_f64_e32 v[14:15], v[18:19], v[14:15]
	s_delay_alu instid0(VALU_DEP_1) | instskip(NEXT) | instid1(VALU_DEP_1)
	v_add_f64_e32 v[16:17], v[20:21], v[14:15]
	v_mul_f64_e32 v[18:19], v[16:17], v[16:17]
	s_delay_alu instid0(VALU_DEP_1) | instskip(SKIP_2) | instid1(VALU_DEP_2)
	v_fmaak_f64 v[22:23], s[0:1], v[18:19], 0x3fc385386b47b09a
	v_mul_f64_e32 v[24:25], v[16:17], v[18:19]
	s_mov_b64 s[0:1], 0x3fe62e42fefa39ef
	v_fmaak_f64 v[22:23], v[18:19], v[22:23], 0x3fc7474dd7f4df2e
	s_delay_alu instid0(VALU_DEP_1) | instskip(NEXT) | instid1(VALU_DEP_1)
	v_fmaak_f64 v[22:23], v[18:19], v[22:23], 0x3fcc71c016291751
	v_fmaak_f64 v[22:23], v[18:19], v[22:23], 0x3fd249249b27acf1
	s_delay_alu instid0(VALU_DEP_1) | instskip(NEXT) | instid1(VALU_DEP_1)
	v_fmaak_f64 v[22:23], v[18:19], v[22:23], 0x3fd99999998ef7b6
	v_fmaak_f64 v[18:19], v[18:19], v[22:23], 0x3fe5555555555780
	v_ldexp_f64 v[22:23], v[16:17], 1
	v_add_f64_e64 v[16:17], v[16:17], -v[20:21]
	s_delay_alu instid0(VALU_DEP_3) | instskip(SKIP_1) | instid1(VALU_DEP_3)
	v_mul_f64_e32 v[18:19], v[24:25], v[18:19]
	v_cvt_f64_i32_e32 v[24:25], v8
	v_add_f64_e64 v[14:15], v[14:15], -v[16:17]
	s_delay_alu instid0(VALU_DEP_3) | instskip(NEXT) | instid1(VALU_DEP_2)
	v_add_f64_e32 v[20:21], v[22:23], v[18:19]
	v_ldexp_f64 v[14:15], v[14:15], 1
	s_delay_alu instid0(VALU_DEP_2) | instskip(SKIP_1) | instid1(VALU_DEP_2)
	v_add_f64_e64 v[16:17], v[20:21], -v[22:23]
	v_mul_f64_e32 v[22:23], 0x3fe62e42fefa39ef, v[24:25]
	v_add_f64_e64 v[16:17], v[18:19], -v[16:17]
	s_delay_alu instid0(VALU_DEP_2) | instskip(SKIP_1) | instid1(VALU_DEP_2)
	v_fma_f64 v[18:19], v[24:25], s[0:1], -v[22:23]
	s_mov_b64 s[0:1], 0xbfdd8b618d5af8fc
	v_add_f64_e32 v[14:15], v[14:15], v[16:17]
	s_delay_alu instid0(VALU_DEP_2) | instskip(NEXT) | instid1(VALU_DEP_1)
	v_fmamk_f64 v[16:17], v[24:25], 0x3c7abc9e3b39803f, v[18:19]
	v_add_f64_e32 v[18:19], v[22:23], v[16:17]
	s_delay_alu instid0(VALU_DEP_3) | instskip(NEXT) | instid1(VALU_DEP_2)
	v_add_f64_e32 v[24:25], v[20:21], v[14:15]
	v_add_f64_e64 v[22:23], v[18:19], -v[22:23]
	s_delay_alu instid0(VALU_DEP_2) | instskip(SKIP_1) | instid1(VALU_DEP_3)
	v_add_f64_e32 v[26:27], v[18:19], v[24:25]
	v_add_f64_e64 v[20:21], v[24:25], -v[20:21]
	v_add_f64_e64 v[16:17], v[16:17], -v[22:23]
	s_delay_alu instid0(VALU_DEP_3) | instskip(NEXT) | instid1(VALU_DEP_3)
	v_add_f64_e64 v[28:29], v[26:27], -v[18:19]
	v_add_f64_e64 v[14:15], v[14:15], -v[20:21]
	s_delay_alu instid0(VALU_DEP_2) | instskip(SKIP_1) | instid1(VALU_DEP_3)
	v_add_f64_e64 v[30:31], v[26:27], -v[28:29]
	v_add_f64_e64 v[20:21], v[24:25], -v[28:29]
	v_add_f64_e32 v[22:23], v[16:17], v[14:15]
	s_delay_alu instid0(VALU_DEP_3) | instskip(NEXT) | instid1(VALU_DEP_1)
	v_add_f64_e64 v[18:19], v[18:19], -v[30:31]
	v_add_f64_e32 v[18:19], v[20:21], v[18:19]
	s_delay_alu instid0(VALU_DEP_3) | instskip(NEXT) | instid1(VALU_DEP_2)
	v_add_f64_e64 v[20:21], v[22:23], -v[16:17]
	v_add_f64_e32 v[18:19], v[22:23], v[18:19]
	s_delay_alu instid0(VALU_DEP_2) | instskip(SKIP_1) | instid1(VALU_DEP_3)
	v_add_f64_e64 v[22:23], v[22:23], -v[20:21]
	v_add_f64_e64 v[14:15], v[14:15], -v[20:21]
	v_add_f64_e32 v[24:25], v[26:27], v[18:19]
	s_delay_alu instid0(VALU_DEP_3) | instskip(NEXT) | instid1(VALU_DEP_2)
	v_add_f64_e64 v[16:17], v[16:17], -v[22:23]
	v_add_f64_e64 v[20:21], v[24:25], -v[26:27]
	s_delay_alu instid0(VALU_DEP_2) | instskip(NEXT) | instid1(VALU_DEP_2)
	v_add_f64_e32 v[14:15], v[14:15], v[16:17]
	v_add_f64_e64 v[16:17], v[18:19], -v[20:21]
	v_add_f64_e64 v[18:19], |v[0:1]|, s[0:1]
	v_cmp_neq_f64_e64 s0, 0, v[0:1]
	v_cmp_gt_u32_e64 s1, 0x3fe76944, v13
	s_delay_alu instid0(VALU_DEP_4) | instskip(SKIP_1) | instid1(VALU_DEP_2)
	v_add_f64_e32 v[14:15], v[14:15], v[16:17]
	v_add_f64_e64 v[16:17], -|v[0:1]|, 1.0
	v_add_f64_e32 v[14:15], v[24:25], v[14:15]
	s_delay_alu instid0(VALU_DEP_2) | instskip(SKIP_1) | instid1(VALU_DEP_2)
	v_cndmask_b32_e64 v12, v16, v18, s1
	v_cndmask_b32_e64 v18, 0, 1, s1
	;; [unrolled: 1-line block ×3, first 2 shown]
	s_delay_alu instid0(VALU_DEP_4) | instskip(SKIP_1) | instid1(VALU_DEP_2)
	v_xor_b32_e32 v8, 0x80000000, v15
	v_cndmask_b32_e64 v15, v17, v19, s1
	v_cndmask_b32_e32 v8, 0xfff00000, v8, vcc_lo
	s_and_b32 vcc_lo, s0, vcc_lo
	s_delay_alu instid0(VALU_DEP_2) | instid1(SALU_CYCLE_1)
	v_dual_cndmask_b32 v17, v15, v13, s2 :: v_dual_cndmask_b32 v14, 0, v14, vcc_lo
	s_delay_alu instid0(VALU_DEP_2)
	v_cndmask_b32_e64 v15, 0x7ff00000, v8, s0
	v_cndmask_b32_e64 v8, v18, 2, s2
.LBB2_52:
	s_or_b32 exec_lo, exec_lo, s5
	s_delay_alu instid0(SALU_CYCLE_1) | instskip(NEXT) | instid1(VALU_DEP_1)
	s_mov_b32 s0, exec_lo
                                        ; implicit-def: $vgpr20_vgpr21
	v_cmpx_lt_i32_e32 1, v8
	s_xor_b32 s0, exec_lo, s0
	s_cbranch_execz .LBB2_54
; %bb.53:
	s_mov_b64 s[6:7], 0x3f8b678bbf2bab09
                                        ; implicit-def: $vgpr8
	s_delay_alu instid0(SALU_CYCLE_1) | instskip(SKIP_1) | instid1(SALU_CYCLE_1)
	v_fmaak_f64 v[18:19], s[6:7], v[16:17], 0x3fcd4eaef6010924
	s_mov_b64 s[6:7], 0x3f6a5abb57d0cf61
	v_fmaak_f64 v[20:21], s[6:7], v[16:17], 0x3fbaae55d6537c88
	s_delay_alu instid0(VALU_DEP_2) | instskip(NEXT) | instid1(VALU_DEP_2)
	v_fmaak_f64 v[18:19], v[16:17], v[18:19], 0x3fef497644ea8450
	v_fmaak_f64 v[20:21], v[16:17], v[20:21], 0x3fe89dfbe45050af
	s_delay_alu instid0(VALU_DEP_2) | instskip(NEXT) | instid1(VALU_DEP_2)
	v_fmaak_f64 v[18:19], v[16:17], v[18:19], 0x3ff7475cd119bd6f
	;; [unrolled: 3-line block ×4, first 2 shown]
	v_fma_f64 v[20:21], v[16:17], v[20:21], 1.0
	s_delay_alu instid0(VALU_DEP_2) | instskip(NEXT) | instid1(VALU_DEP_1)
	v_mul_f64_e32 v[18:19], v[16:17], v[18:19]
	v_div_scale_f64 v[22:23], null, v[20:21], v[20:21], v[18:19]
	s_delay_alu instid0(VALU_DEP_1) | instskip(SKIP_1) | instid1(TRANS32_DEP_1)
	v_rcp_f64_e32 v[24:25], v[22:23]
	v_nop
	v_fma_f64 v[26:27], -v[22:23], v[24:25], 1.0
	s_delay_alu instid0(VALU_DEP_1) | instskip(NEXT) | instid1(VALU_DEP_1)
	v_fmac_f64_e32 v[24:25], v[24:25], v[26:27]
	v_fma_f64 v[26:27], -v[22:23], v[24:25], 1.0
	s_delay_alu instid0(VALU_DEP_1) | instskip(SKIP_1) | instid1(VALU_DEP_1)
	v_fmac_f64_e32 v[24:25], v[24:25], v[26:27]
	v_div_scale_f64 v[26:27], vcc_lo, v[18:19], v[20:21], v[18:19]
	v_mul_f64_e32 v[28:29], v[26:27], v[24:25]
	s_delay_alu instid0(VALU_DEP_1) | instskip(NEXT) | instid1(VALU_DEP_1)
	v_fma_f64 v[22:23], -v[22:23], v[28:29], v[26:27]
	v_div_fmas_f64 v[22:23], v[22:23], v[24:25], v[28:29]
	s_delay_alu instid0(VALU_DEP_1) | instskip(NEXT) | instid1(VALU_DEP_1)
	v_div_fixup_f64 v[20:21], v[22:23], v[20:21], v[18:19]
	v_fmac_f64_e32 v[20:21], -0.5, v[16:17]
                                        ; implicit-def: $vgpr16_vgpr17
.LBB2_54:
	s_and_not1_saveexec_b32 s0, s0
	s_cbranch_execz .LBB2_60
; %bb.55:
	v_mul_f64_e32 v[18:19], v[16:17], v[16:17]
	s_mov_b32 s1, exec_lo
                                        ; implicit-def: $vgpr20_vgpr21
	v_cmpx_ne_u32_e32 1, v8
	s_xor_b32 s1, exec_lo, s1
	s_cbranch_execz .LBB2_57
; %bb.56:
	s_mov_b64 s[6:7], 0x3f07858e90a45837
	s_delay_alu instid0(VALU_DEP_2) | instid1(SALU_CYCLE_1)
	v_fmaak_f64 v[20:21], s[6:7], v[18:19], 0x3f1c5088987dfb07
	s_mov_b64 s[6:7], 0x3efa7074428cfa52
	s_delay_alu instid0(SALU_CYCLE_1) | instskip(NEXT) | instid1(VALU_DEP_2)
	v_fmaak_f64 v[22:23], s[6:7], v[18:19], 0x3f2cf2eced10e54d
	v_fmaak_f64 v[20:21], v[18:19], v[20:21], 0x3f40b6c689b99c00
	s_delay_alu instid0(VALU_DEP_2) | instskip(NEXT) | instid1(VALU_DEP_2)
	v_fmaak_f64 v[22:23], v[18:19], v[22:23], 0x3f538a94116f3f5d
	v_fmaak_f64 v[20:21], v[18:19], v[20:21], 0x3f67add8ccb7926b
	s_delay_alu instid0(VALU_DEP_2) | instskip(NEXT) | instid1(VALU_DEP_2)
	v_fmaak_f64 v[22:23], v[18:19], v[22:23], 0x3f7e404fb68fefe8
	v_fmaak_f64 v[20:21], v[18:19], v[20:21], 0x3f951322ac92547b
	s_delay_alu instid0(VALU_DEP_2) | instskip(NEXT) | instid1(VALU_DEP_2)
	v_fmaak_f64 v[22:23], v[18:19], v[22:23], 0x3fb13e001a5562a7
	v_fmaak_f64 v[20:21], v[18:19], v[20:21], 0x3fd4a34cc4a60fad
	s_delay_alu instid0(VALU_DEP_1) | instskip(NEXT) | instid1(VALU_DEP_3)
	v_mul_f64_e32 v[20:21], v[18:19], v[20:21]
	v_fmaak_f64 v[18:19], v[18:19], v[22:23], 0x3fb3c467e37db0c8
	s_delay_alu instid0(VALU_DEP_1) | instskip(NEXT) | instid1(VALU_DEP_1)
	v_fmac_f64_e32 v[20:21], v[16:17], v[18:19]
                                        ; implicit-def: $vgpr18_vgpr19
	v_fmac_f64_e32 v[20:21], -0.5, v[16:17]
                                        ; implicit-def: $vgpr16_vgpr17
.LBB2_57:
	s_and_not1_saveexec_b32 s1, s1
	s_cbranch_execz .LBB2_59
; %bb.58:
	s_delay_alu instid0(VALU_DEP_2) | instskip(SKIP_2) | instid1(VALU_DEP_1)
	v_mul_f64_e32 v[20:21], v[16:17], v[18:19]
	s_mov_b64 s[6:7], 0xbf347f24ecc38c38
	s_mov_b64 s[8:9], 0x3f35fd3ee8c2d3f4
	v_fmaak_f64 v[22:23], s[6:7], v[20:21], 0x3f4cdf0cef61a8e9
	v_fmaak_f64 v[24:25], s[8:9], v[20:21], 0xbf41a6109c73e0ec
	s_mov_b64 s[6:7], 0xbc50c7caa48a971f
	s_delay_alu instid0(VALU_DEP_2) | instskip(NEXT) | instid1(VALU_DEP_2)
	v_fmaak_f64 v[22:23], v[20:21], v[22:23], 0xbf6e2effb3e914d7
	v_fmaak_f64 v[24:25], v[20:21], v[24:25], 0x3f6282d32e15c915
	s_delay_alu instid0(VALU_DEP_2) | instskip(NEXT) | instid1(VALU_DEP_2)
	v_fmaak_f64 v[22:23], v[20:21], v[22:23], 0x3f9266e7970af9ec
	v_fmaak_f64 v[24:25], v[20:21], v[24:25], 0xbf851f9fba91ec6a
	;; [unrolled: 3-line block ×3, first 2 shown]
	s_delay_alu instid0(VALU_DEP_1) | instskip(NEXT) | instid1(VALU_DEP_1)
	v_fmac_f64_e32 v[22:23], v[16:17], v[24:25]
	v_fma_f64 v[16:17], v[20:21], -v[22:23], s[6:7]
	s_mov_b64 s[6:7], 0x3f34af6d6c0ebbf7
	s_delay_alu instid0(SALU_CYCLE_1) | instskip(NEXT) | instid1(VALU_DEP_1)
	v_fmaak_f64 v[22:23], s[6:7], v[20:21], 0xbf56fe8ebf2d1af1
	v_fmaak_f64 v[22:23], v[20:21], v[22:23], 0x3f78fce0e370e344
	s_delay_alu instid0(VALU_DEP_1) | instskip(NEXT) | instid1(VALU_DEP_1)
	v_fmaak_f64 v[22:23], v[20:21], v[22:23], 0xbfa0c9a8df35b713
	v_fmaak_f64 v[20:21], v[20:21], v[22:23], 0x3fdef72bc8ee38a2
	s_delay_alu instid0(VALU_DEP_1) | instskip(NEXT) | instid1(VALU_DEP_1)
	v_fma_f64 v[16:17], v[18:19], v[20:21], -v[16:17]
	v_add_f64_e32 v[20:21], 0xbfbf19b9bcc38a42, v[16:17]
.LBB2_59:
	s_or_b32 exec_lo, exec_lo, s1
.LBB2_60:
	s_delay_alu instid0(SALU_CYCLE_1) | instskip(NEXT) | instid1(VALU_DEP_1)
	s_or_b32 exec_lo, exec_lo, s0
	v_add_f64_e32 v[14:15], v[14:15], v[20:21]
.LBB2_61:
	s_or_b32 exec_lo, exec_lo, s4
.LBB2_62:
	s_and_not1_saveexec_b32 s1, s3
	s_cbranch_execz .LBB2_64
; %bb.63:
	v_frexp_mant_f64_e64 v[14:15], |v[0:1]|
	s_mov_b64 s[2:3], 0x3fe5555555555555
	s_mov_b64 s[4:5], 0xbfca8b9c17aa6149
	v_cmp_neq_f64_e64 s0, 0, v[0:1]
	s_delay_alu instid0(VALU_DEP_2) | instskip(SKIP_2) | instid1(VALU_DEP_1)
	v_cmp_gt_f64_e32 vcc_lo, s[2:3], v[14:15]
	s_mov_b64 s[2:3], 0x3fc3ab76bf559e2b
	v_cndmask_b32_e64 v8, 0, 1, vcc_lo
	v_ldexp_f64 v[14:15], v[14:15], v8
	v_frexp_exp_i32_f64_e32 v8, v[0:1]
	s_delay_alu instid0(VALU_DEP_2) | instskip(SKIP_1) | instid1(VALU_DEP_3)
	v_add_f64_e32 v[16:17], 1.0, v[14:15]
	v_add_f64_e32 v[22:23], -1.0, v[14:15]
	v_subrev_co_ci_u32_e64 v8, null, 0, v8, vcc_lo
	v_cmp_neq_f64_e64 vcc_lo, 0x7ff00000, |v[0:1]|
	s_delay_alu instid0(VALU_DEP_4) | instskip(SKIP_1) | instid1(VALU_DEP_1)
	v_rcp_f64_e32 v[18:19], v[16:17]
	v_add_f64_e32 v[24:25], -1.0, v[16:17]
	v_add_f64_e64 v[14:15], v[14:15], -v[24:25]
	s_delay_alu instid0(TRANS32_DEP_1) | instskip(NEXT) | instid1(VALU_DEP_1)
	v_fma_f64 v[20:21], -v[16:17], v[18:19], 1.0
	v_fmac_f64_e32 v[18:19], v[20:21], v[18:19]
	s_delay_alu instid0(VALU_DEP_1) | instskip(NEXT) | instid1(VALU_DEP_1)
	v_fma_f64 v[20:21], -v[16:17], v[18:19], 1.0
	v_fmac_f64_e32 v[18:19], v[20:21], v[18:19]
	s_delay_alu instid0(VALU_DEP_1) | instskip(NEXT) | instid1(VALU_DEP_1)
	v_mul_f64_e32 v[20:21], v[22:23], v[18:19]
	v_mul_f64_e32 v[26:27], v[16:17], v[20:21]
	s_delay_alu instid0(VALU_DEP_1) | instskip(NEXT) | instid1(VALU_DEP_1)
	v_fma_f64 v[16:17], v[20:21], v[16:17], -v[26:27]
	v_fmac_f64_e32 v[16:17], v[20:21], v[14:15]
	s_delay_alu instid0(VALU_DEP_1) | instskip(NEXT) | instid1(VALU_DEP_1)
	v_add_f64_e32 v[14:15], v[26:27], v[16:17]
	v_add_f64_e64 v[24:25], v[22:23], -v[14:15]
	v_add_f64_e64 v[26:27], v[14:15], -v[26:27]
	s_delay_alu instid0(VALU_DEP_2) | instskip(NEXT) | instid1(VALU_DEP_2)
	v_add_f64_e64 v[22:23], v[22:23], -v[24:25]
	v_add_f64_e64 v[16:17], v[26:27], -v[16:17]
	s_delay_alu instid0(VALU_DEP_2) | instskip(NEXT) | instid1(VALU_DEP_1)
	v_add_f64_e64 v[14:15], v[22:23], -v[14:15]
	v_add_f64_e32 v[14:15], v[16:17], v[14:15]
	s_delay_alu instid0(VALU_DEP_1) | instskip(NEXT) | instid1(VALU_DEP_1)
	v_add_f64_e32 v[14:15], v[24:25], v[14:15]
	v_mul_f64_e32 v[14:15], v[18:19], v[14:15]
	s_delay_alu instid0(VALU_DEP_1) | instskip(NEXT) | instid1(VALU_DEP_1)
	v_add_f64_e32 v[16:17], v[20:21], v[14:15]
	v_mul_f64_e32 v[18:19], v[16:17], v[16:17]
	s_delay_alu instid0(VALU_DEP_1) | instskip(SKIP_2) | instid1(VALU_DEP_2)
	v_fmaak_f64 v[22:23], s[2:3], v[18:19], 0x3fc385386b47b09a
	v_mul_f64_e32 v[24:25], v[16:17], v[18:19]
	s_mov_b64 s[2:3], 0x3fe62e42fefa39ef
	v_fmaak_f64 v[22:23], v[18:19], v[22:23], 0x3fc7474dd7f4df2e
	s_delay_alu instid0(VALU_DEP_1) | instskip(NEXT) | instid1(VALU_DEP_1)
	v_fmaak_f64 v[22:23], v[18:19], v[22:23], 0x3fcc71c016291751
	v_fmaak_f64 v[22:23], v[18:19], v[22:23], 0x3fd249249b27acf1
	s_delay_alu instid0(VALU_DEP_1) | instskip(NEXT) | instid1(VALU_DEP_1)
	v_fmaak_f64 v[22:23], v[18:19], v[22:23], 0x3fd99999998ef7b6
	v_fmaak_f64 v[18:19], v[18:19], v[22:23], 0x3fe5555555555780
	v_ldexp_f64 v[22:23], v[16:17], 1
	v_add_f64_e64 v[16:17], v[16:17], -v[20:21]
	s_delay_alu instid0(VALU_DEP_3) | instskip(SKIP_1) | instid1(VALU_DEP_3)
	v_mul_f64_e32 v[18:19], v[24:25], v[18:19]
	v_cvt_f64_i32_e32 v[24:25], v8
	v_add_f64_e64 v[14:15], v[14:15], -v[16:17]
	s_delay_alu instid0(VALU_DEP_3) | instskip(NEXT) | instid1(VALU_DEP_2)
	v_add_f64_e32 v[20:21], v[22:23], v[18:19]
	v_ldexp_f64 v[14:15], v[14:15], 1
	s_delay_alu instid0(VALU_DEP_2) | instskip(SKIP_1) | instid1(VALU_DEP_2)
	v_add_f64_e64 v[16:17], v[20:21], -v[22:23]
	v_mul_f64_e32 v[22:23], 0x3fe62e42fefa39ef, v[24:25]
	v_add_f64_e64 v[16:17], v[18:19], -v[16:17]
	s_delay_alu instid0(VALU_DEP_2) | instskip(SKIP_1) | instid1(VALU_DEP_2)
	v_fma_f64 v[18:19], v[24:25], s[2:3], -v[22:23]
	s_mov_b64 s[2:3], 0x3fd151322ac7d848
	v_add_f64_e32 v[14:15], v[14:15], v[16:17]
	s_delay_alu instid0(VALU_DEP_2) | instskip(NEXT) | instid1(VALU_DEP_1)
	v_fmamk_f64 v[16:17], v[24:25], 0x3c7abc9e3b39803f, v[18:19]
	v_add_f64_e32 v[18:19], v[22:23], v[16:17]
	s_delay_alu instid0(VALU_DEP_3) | instskip(NEXT) | instid1(VALU_DEP_2)
	v_add_f64_e32 v[24:25], v[20:21], v[14:15]
	v_add_f64_e64 v[22:23], v[18:19], -v[22:23]
	s_delay_alu instid0(VALU_DEP_2) | instskip(SKIP_1) | instid1(VALU_DEP_3)
	v_add_f64_e32 v[26:27], v[18:19], v[24:25]
	v_add_f64_e64 v[20:21], v[24:25], -v[20:21]
	v_add_f64_e64 v[16:17], v[16:17], -v[22:23]
	s_delay_alu instid0(VALU_DEP_3) | instskip(NEXT) | instid1(VALU_DEP_3)
	v_add_f64_e64 v[28:29], v[26:27], -v[18:19]
	v_add_f64_e64 v[14:15], v[14:15], -v[20:21]
	s_delay_alu instid0(VALU_DEP_2) | instskip(SKIP_1) | instid1(VALU_DEP_3)
	v_add_f64_e64 v[30:31], v[26:27], -v[28:29]
	v_add_f64_e64 v[20:21], v[24:25], -v[28:29]
	v_add_f64_e32 v[22:23], v[16:17], v[14:15]
	s_delay_alu instid0(VALU_DEP_3) | instskip(NEXT) | instid1(VALU_DEP_1)
	v_add_f64_e64 v[18:19], v[18:19], -v[30:31]
	v_add_f64_e32 v[18:19], v[20:21], v[18:19]
	s_delay_alu instid0(VALU_DEP_3) | instskip(NEXT) | instid1(VALU_DEP_2)
	v_add_f64_e64 v[20:21], v[22:23], -v[16:17]
	v_add_f64_e32 v[18:19], v[22:23], v[18:19]
	s_delay_alu instid0(VALU_DEP_2) | instskip(SKIP_1) | instid1(VALU_DEP_3)
	v_add_f64_e64 v[22:23], v[22:23], -v[20:21]
	v_add_f64_e64 v[14:15], v[14:15], -v[20:21]
	v_add_f64_e32 v[24:25], v[26:27], v[18:19]
	s_delay_alu instid0(VALU_DEP_3) | instskip(NEXT) | instid1(VALU_DEP_2)
	v_add_f64_e64 v[16:17], v[16:17], -v[22:23]
	v_add_f64_e64 v[20:21], v[24:25], -v[26:27]
	s_delay_alu instid0(VALU_DEP_2) | instskip(NEXT) | instid1(VALU_DEP_2)
	v_add_f64_e32 v[14:15], v[14:15], v[16:17]
	v_add_f64_e64 v[16:17], v[18:19], -v[20:21]
	v_fma_f64 v[18:19], |v[0:1]|, s[4:5], s[2:3]
	s_mov_b64 s[2:3], 0xbfd9a4d55beab2d7
	s_delay_alu instid0(VALU_DEP_2) | instskip(NEXT) | instid1(VALU_DEP_2)
	v_add_f64_e32 v[14:15], v[14:15], v[16:17]
	v_fma_f64 v[16:17], |v[0:1]|, v[18:19], s[2:3]
	s_mov_b64 s[2:3], 0x3fea51a6625307d3
	s_delay_alu instid0(VALU_DEP_2) | instskip(NEXT) | instid1(VALU_DEP_2)
	v_add_f64_e32 v[14:15], v[24:25], v[14:15]
	v_fma_f64 v[16:17], |v[0:1]|, v[16:17], s[2:3]
	s_mov_b64 s[2:3], 0xbfe2788cfc6fb619
	s_delay_alu instid0(VALU_DEP_2) | instskip(NEXT) | instid1(VALU_DEP_2)
	v_xor_b32_e32 v8, 0x80000000, v15
	v_fma_f64 v[16:17], |v[0:1]|, v[16:17], s[2:3]
	s_delay_alu instid0(VALU_DEP_2) | instskip(SKIP_2) | instid1(VALU_DEP_2)
	v_cndmask_b32_e32 v8, 0xfff00000, v8, vcc_lo
	s_and_b32 vcc_lo, s0, vcc_lo
	v_cndmask_b32_e32 v14, 0, v14, vcc_lo
	v_cndmask_b32_e64 v15, 0x7ff00000, v8, s0
	s_delay_alu instid0(VALU_DEP_1)
	v_fma_f64 v[14:15], |v[0:1]|, v[16:17], v[14:15]
.LBB2_64:
	s_or_b32 exec_lo, exec_lo, s1
	s_delay_alu instid0(SALU_CYCLE_1)
	s_mov_b32 s0, exec_lo
	v_cmpx_le_f64_e32 0, v[0:1]
	s_xor_b32 s1, exec_lo, s0
	s_cbranch_execz .LBB2_66
; %bb.65:
	v_cmp_eq_f64_e32 vcc_lo, 1.0, v[0:1]
	v_cmp_eq_f64_e64 s0, 2.0, v[0:1]
	s_or_b32 s0, vcc_lo, s0
	s_delay_alu instid0(SALU_CYCLE_1)
	v_cndmask_b32_e64 v15, v15, 0, s0
	v_cndmask_b32_e64 v14, v14, 0, s0
.LBB2_66:
	s_and_not1_saveexec_b32 s1, s1
	s_cbranch_execz .LBB2_70
; %bb.67:
	v_add_nc_u32_e32 v8, 0xc32fffff, v13
	s_mov_b32 s2, exec_lo
	s_delay_alu instid0(VALU_DEP_1)
	v_cmpx_gt_u32_e32 0x65fffff, v8
	s_cbranch_execz .LBB2_69
; %bb.68:
	v_mul_f64_e64 v[16:17], |v[0:1]|, 0.5
	s_mov_b64 s[4:5], 0x3f3e357ef99eb0bb
	v_cmp_class_f64_e64 s0, v[0:1], 0x1f8
	s_delay_alu instid0(VALU_DEP_2) | instskip(SKIP_1) | instid1(VALU_DEP_2)
	v_fract_f64_e32 v[18:19], v[16:17]
	v_cmp_neq_f64_e64 vcc_lo, 0x7ff00000, |v[16:17]|
	v_add_f64_e32 v[18:19], v[18:19], v[18:19]
	s_delay_alu instid0(VALU_DEP_1) | instskip(SKIP_1) | instid1(VALU_DEP_2)
	v_dual_cndmask_b32 v8, 0, v18, vcc_lo :: v_dual_cndmask_b32 v12, 0, v19, vcc_lo
	v_cmp_gt_f64_e64 vcc_lo, |v[0:1]|, 1.0
	v_cndmask_b32_e32 v17, v13, v12, vcc_lo
	s_delay_alu instid0(VALU_DEP_3) | instskip(NEXT) | instid1(VALU_DEP_1)
	v_cndmask_b32_e32 v16, v0, v8, vcc_lo
	v_add_f64_e32 v[18:19], v[16:17], v[16:17]
	s_delay_alu instid0(VALU_DEP_1) | instskip(NEXT) | instid1(VALU_DEP_1)
	v_rndne_f64_e32 v[18:19], v[18:19]
	v_cvt_i32_f64_e32 v8, v[18:19]
	s_delay_alu instid0(VALU_DEP_1) | instskip(SKIP_2) | instid1(VALU_DEP_3)
	v_and_b32_e32 v12, 1, v8
	v_fmac_f64_e32 v[16:17], -0.5, v[18:19]
	v_lshlrev_b32_e32 v8, 30, v8
	v_cmp_eq_u32_e32 vcc_lo, 0, v12
	s_delay_alu instid0(VALU_DEP_3) | instskip(NEXT) | instid1(VALU_DEP_1)
	v_mul_f64_e32 v[20:21], v[16:17], v[16:17]
	v_fmaak_f64 v[22:23], s[4:5], v[20:21], 0xbf7e2fe76fdffd2b
	v_mul_f64_e32 v[24:25], v[16:17], v[20:21]
	s_mov_b64 s[4:5], 0xbf1b167302e21c33
	s_delay_alu instid0(SALU_CYCLE_1) | instskip(SKIP_1) | instid1(VALU_DEP_3)
	v_fmaak_f64 v[26:27], s[4:5], v[20:21], 0x3f5f9c89ca1d4f33
	s_mov_b64 s[4:5], 0x400921fb54442d18
	v_fmaak_f64 v[22:23], v[20:21], v[22:23], 0x3fb50782d5f14825
	s_delay_alu instid0(VALU_DEP_2) | instskip(NEXT) | instid1(VALU_DEP_2)
	v_fmaak_f64 v[26:27], v[20:21], v[26:27], 0xbf9a6d1e7294bff9
	v_fmaak_f64 v[22:23], v[20:21], v[22:23], 0xbfe32d2ccdfe9424
	s_delay_alu instid0(VALU_DEP_1) | instskip(NEXT) | instid1(VALU_DEP_1)
	v_fmaak_f64 v[22:23], v[20:21], v[22:23], 0x400466bc67754fff
	v_fmaak_f64 v[22:23], v[20:21], v[22:23], 0xc014abbce625be09
	s_delay_alu instid0(VALU_DEP_1) | instskip(SKIP_1) | instid1(VALU_DEP_1)
	v_mul_f64_e32 v[22:23], v[24:25], v[22:23]
	v_fmaak_f64 v[24:25], v[20:21], v[26:27], 0x3fce1f5067b90b37
	v_fmaak_f64 v[24:25], v[20:21], v[24:25], 0xbff55d3c7e3c325b
	s_delay_alu instid0(VALU_DEP_1) | instskip(NEXT) | instid1(VALU_DEP_1)
	v_fmaak_f64 v[24:25], v[20:21], v[24:25], 0x40103c1f081b5a67
	v_fmaak_f64 v[24:25], v[20:21], v[24:25], 0xc013bd3cc9be45de
	s_delay_alu instid0(VALU_DEP_1) | instskip(SKIP_1) | instid1(VALU_DEP_1)
	v_fma_f64 v[18:19], v[20:21], v[24:25], 1.0
	v_fmac_f64_e32 v[22:23], 0x400921fb54442d18, v[16:17]
	v_dual_cndmask_b32 v12, v18, v22, vcc_lo :: v_dual_bitop2_b32 v8, v8, v1 bitop3:0x14
	s_delay_alu instid0(VALU_DEP_2) | instskip(NEXT) | instid1(VALU_DEP_1)
	v_cndmask_b32_e32 v16, v19, v23, vcc_lo
	v_bitop3_b32 v8, v16, v8, 0x80000000 bitop3:0x78
	s_delay_alu instid0(VALU_DEP_3) | instskip(NEXT) | instid1(VALU_DEP_2)
	v_cndmask_b32_e64 v16, 0, v12, s0
	v_cndmask_b32_e64 v17, 0x7ff80000, v8, s0
	v_cmp_class_f64_e64 s0, v[0:1], 0x204
	s_delay_alu instid0(VALU_DEP_2) | instskip(NEXT) | instid1(VALU_DEP_1)
	v_mul_f64_e32 v[16:17], v[0:1], v[16:17]
	v_and_b32_e32 v19, 0x7fffffff, v17
	s_delay_alu instid0(VALU_DEP_2) | instskip(NEXT) | instid1(VALU_DEP_1)
	v_mov_b32_e32 v18, v16
	v_div_scale_f64 v[20:21], null, v[18:19], v[18:19], s[4:5]
	v_div_scale_f64 v[18:19], vcc_lo, s[4:5], v[18:19], s[4:5]
	s_delay_alu instid0(VALU_DEP_2) | instskip(SKIP_1) | instid1(TRANS32_DEP_1)
	v_rcp_f64_e32 v[22:23], v[20:21]
	v_nop
	v_fma_f64 v[24:25], -v[20:21], v[22:23], 1.0
	s_delay_alu instid0(VALU_DEP_1) | instskip(NEXT) | instid1(VALU_DEP_1)
	v_fmac_f64_e32 v[22:23], v[22:23], v[24:25]
	v_fma_f64 v[24:25], -v[20:21], v[22:23], 1.0
	s_delay_alu instid0(VALU_DEP_1) | instskip(NEXT) | instid1(VALU_DEP_1)
	v_fmac_f64_e32 v[22:23], v[22:23], v[24:25]
	v_mul_f64_e32 v[24:25], v[18:19], v[22:23]
	s_delay_alu instid0(VALU_DEP_1) | instskip(NEXT) | instid1(VALU_DEP_1)
	v_fma_f64 v[18:19], -v[20:21], v[24:25], v[18:19]
	v_div_fmas_f64 v[18:19], v[18:19], v[22:23], v[24:25]
	s_delay_alu instid0(VALU_DEP_1) | instskip(SKIP_1) | instid1(VALU_DEP_1)
	v_div_fixup_f64 v[16:17], v[18:19], |v[16:17]|, s[4:5]
	s_mov_b64 s[4:5], 0x3fe5555555555555
	v_frexp_mant_f64_e32 v[18:19], v[16:17]
	s_delay_alu instid0(VALU_DEP_1) | instskip(SKIP_2) | instid1(VALU_DEP_1)
	v_cmp_gt_f64_e32 vcc_lo, s[4:5], v[18:19]
	s_mov_b64 s[4:5], 0x3fc3ab76bf559e2b
	v_cndmask_b32_e64 v8, 0, 1, vcc_lo
	v_ldexp_f64 v[18:19], v[18:19], v8
	v_frexp_exp_i32_f64_e32 v8, v[16:17]
	s_delay_alu instid0(VALU_DEP_1) | instskip(SKIP_1) | instid1(VALU_DEP_4)
	v_subrev_co_ci_u32_e64 v8, null, 0, v8, vcc_lo
	v_cmp_class_f64_e64 vcc_lo, v[16:17], 0x204
	v_add_f64_e32 v[20:21], 1.0, v[18:19]
	v_add_f64_e32 v[26:27], -1.0, v[18:19]
	s_delay_alu instid0(VALU_DEP_2) | instskip(SKIP_1) | instid1(VALU_DEP_1)
	v_rcp_f64_e32 v[22:23], v[20:21]
	v_add_f64_e32 v[28:29], -1.0, v[20:21]
	v_add_f64_e64 v[18:19], v[18:19], -v[28:29]
	s_delay_alu instid0(TRANS32_DEP_1) | instskip(NEXT) | instid1(VALU_DEP_1)
	v_fma_f64 v[24:25], -v[20:21], v[22:23], 1.0
	v_fmac_f64_e32 v[22:23], v[24:25], v[22:23]
	s_delay_alu instid0(VALU_DEP_1) | instskip(NEXT) | instid1(VALU_DEP_1)
	v_fma_f64 v[24:25], -v[20:21], v[22:23], 1.0
	v_fmac_f64_e32 v[22:23], v[24:25], v[22:23]
	s_delay_alu instid0(VALU_DEP_1) | instskip(NEXT) | instid1(VALU_DEP_1)
	v_mul_f64_e32 v[24:25], v[26:27], v[22:23]
	v_mul_f64_e32 v[30:31], v[20:21], v[24:25]
	s_delay_alu instid0(VALU_DEP_1) | instskip(NEXT) | instid1(VALU_DEP_1)
	v_fma_f64 v[20:21], v[24:25], v[20:21], -v[30:31]
	v_fmac_f64_e32 v[20:21], v[24:25], v[18:19]
	s_delay_alu instid0(VALU_DEP_1) | instskip(NEXT) | instid1(VALU_DEP_1)
	v_add_f64_e32 v[18:19], v[30:31], v[20:21]
	v_add_f64_e64 v[28:29], v[26:27], -v[18:19]
	v_add_f64_e64 v[30:31], v[18:19], -v[30:31]
	s_delay_alu instid0(VALU_DEP_2) | instskip(NEXT) | instid1(VALU_DEP_2)
	v_add_f64_e64 v[26:27], v[26:27], -v[28:29]
	v_add_f64_e64 v[20:21], v[30:31], -v[20:21]
	s_delay_alu instid0(VALU_DEP_2) | instskip(NEXT) | instid1(VALU_DEP_1)
	v_add_f64_e64 v[18:19], v[26:27], -v[18:19]
	v_add_f64_e32 v[18:19], v[20:21], v[18:19]
	s_delay_alu instid0(VALU_DEP_1) | instskip(NEXT) | instid1(VALU_DEP_1)
	v_add_f64_e32 v[18:19], v[28:29], v[18:19]
	v_mul_f64_e32 v[18:19], v[22:23], v[18:19]
	s_delay_alu instid0(VALU_DEP_1) | instskip(NEXT) | instid1(VALU_DEP_1)
	v_add_f64_e32 v[20:21], v[24:25], v[18:19]
	v_mul_f64_e32 v[22:23], v[20:21], v[20:21]
	s_delay_alu instid0(VALU_DEP_1) | instskip(SKIP_2) | instid1(VALU_DEP_2)
	v_fmaak_f64 v[26:27], s[4:5], v[22:23], 0x3fc385386b47b09a
	v_mul_f64_e32 v[28:29], v[20:21], v[22:23]
	s_mov_b64 s[4:5], 0x3fe62e42fefa39ef
	v_fmaak_f64 v[26:27], v[22:23], v[26:27], 0x3fc7474dd7f4df2e
	s_delay_alu instid0(VALU_DEP_1) | instskip(NEXT) | instid1(VALU_DEP_1)
	v_fmaak_f64 v[26:27], v[22:23], v[26:27], 0x3fcc71c016291751
	v_fmaak_f64 v[26:27], v[22:23], v[26:27], 0x3fd249249b27acf1
	s_delay_alu instid0(VALU_DEP_1) | instskip(NEXT) | instid1(VALU_DEP_1)
	v_fmaak_f64 v[26:27], v[22:23], v[26:27], 0x3fd99999998ef7b6
	v_fmaak_f64 v[22:23], v[22:23], v[26:27], 0x3fe5555555555780
	v_ldexp_f64 v[26:27], v[20:21], 1
	v_add_f64_e64 v[20:21], v[20:21], -v[24:25]
	s_delay_alu instid0(VALU_DEP_3) | instskip(SKIP_1) | instid1(VALU_DEP_3)
	v_mul_f64_e32 v[22:23], v[28:29], v[22:23]
	v_cvt_f64_i32_e32 v[28:29], v8
	v_add_f64_e64 v[18:19], v[18:19], -v[20:21]
	s_delay_alu instid0(VALU_DEP_3) | instskip(NEXT) | instid1(VALU_DEP_2)
	v_add_f64_e32 v[24:25], v[26:27], v[22:23]
	v_ldexp_f64 v[18:19], v[18:19], 1
	s_delay_alu instid0(VALU_DEP_2) | instskip(SKIP_1) | instid1(VALU_DEP_2)
	v_add_f64_e64 v[20:21], v[24:25], -v[26:27]
	v_mul_f64_e32 v[26:27], 0x3fe62e42fefa39ef, v[28:29]
	v_add_f64_e64 v[20:21], v[22:23], -v[20:21]
	s_delay_alu instid0(VALU_DEP_2) | instskip(NEXT) | instid1(VALU_DEP_2)
	v_fma_f64 v[22:23], v[28:29], s[4:5], -v[26:27]
	v_add_f64_e32 v[18:19], v[18:19], v[20:21]
	s_delay_alu instid0(VALU_DEP_2) | instskip(NEXT) | instid1(VALU_DEP_1)
	v_fmamk_f64 v[20:21], v[28:29], 0x3c7abc9e3b39803f, v[22:23]
	v_add_f64_e32 v[22:23], v[26:27], v[20:21]
	s_delay_alu instid0(VALU_DEP_3) | instskip(NEXT) | instid1(VALU_DEP_2)
	v_add_f64_e32 v[28:29], v[24:25], v[18:19]
	v_add_f64_e64 v[26:27], v[22:23], -v[26:27]
	s_delay_alu instid0(VALU_DEP_2) | instskip(SKIP_1) | instid1(VALU_DEP_3)
	v_add_f64_e32 v[30:31], v[22:23], v[28:29]
	v_add_f64_e64 v[24:25], v[28:29], -v[24:25]
	v_add_f64_e64 v[20:21], v[20:21], -v[26:27]
	s_delay_alu instid0(VALU_DEP_3) | instskip(NEXT) | instid1(VALU_DEP_3)
	v_add_f64_e64 v[32:33], v[30:31], -v[22:23]
	v_add_f64_e64 v[18:19], v[18:19], -v[24:25]
	s_delay_alu instid0(VALU_DEP_2) | instskip(SKIP_1) | instid1(VALU_DEP_3)
	v_add_f64_e64 v[34:35], v[30:31], -v[32:33]
	v_add_f64_e64 v[24:25], v[28:29], -v[32:33]
	v_add_f64_e32 v[26:27], v[20:21], v[18:19]
	s_delay_alu instid0(VALU_DEP_3) | instskip(NEXT) | instid1(VALU_DEP_1)
	v_add_f64_e64 v[22:23], v[22:23], -v[34:35]
	v_add_f64_e32 v[22:23], v[24:25], v[22:23]
	s_delay_alu instid0(VALU_DEP_3) | instskip(NEXT) | instid1(VALU_DEP_2)
	v_add_f64_e64 v[24:25], v[26:27], -v[20:21]
	v_add_f64_e32 v[22:23], v[26:27], v[22:23]
	s_delay_alu instid0(VALU_DEP_2) | instskip(SKIP_1) | instid1(VALU_DEP_3)
	v_add_f64_e64 v[26:27], v[26:27], -v[24:25]
	v_add_f64_e64 v[18:19], v[18:19], -v[24:25]
	v_add_f64_e32 v[28:29], v[30:31], v[22:23]
	s_delay_alu instid0(VALU_DEP_3) | instskip(NEXT) | instid1(VALU_DEP_2)
	v_add_f64_e64 v[20:21], v[20:21], -v[26:27]
	v_add_f64_e64 v[24:25], v[28:29], -v[30:31]
	s_delay_alu instid0(VALU_DEP_2) | instskip(NEXT) | instid1(VALU_DEP_2)
	v_add_f64_e32 v[18:19], v[18:19], v[20:21]
	v_add_f64_e64 v[20:21], v[22:23], -v[24:25]
	s_delay_alu instid0(VALU_DEP_1) | instskip(NEXT) | instid1(VALU_DEP_1)
	v_add_f64_e32 v[18:19], v[18:19], v[20:21]
	v_add_f64_e32 v[18:19], v[28:29], v[18:19]
	s_delay_alu instid0(VALU_DEP_1) | instskip(SKIP_2) | instid1(VALU_DEP_3)
	v_dual_cndmask_b32 v8, v18, v16, vcc_lo :: v_dual_cndmask_b32 v12, v19, v17, vcc_lo
	v_cmp_neq_f64_e32 vcc_lo, 0, v[16:17]
	v_fract_f64_e32 v[16:17], v[0:1]
	v_cndmask_b32_e32 v19, 0xfff00000, v12, vcc_lo
	s_delay_alu instid0(VALU_DEP_4) | instskip(NEXT) | instid1(VALU_DEP_3)
	v_cndmask_b32_e32 v18, 0, v8, vcc_lo
	v_cmp_eq_f64_e32 vcc_lo, 0, v[16:17]
	s_delay_alu instid0(VALU_DEP_2)
	v_add_f64_e64 v[14:15], v[18:19], -v[14:15]
	s_or_b32 s0, s0, vcc_lo
	s_delay_alu instid0(VALU_DEP_1) | instid1(SALU_CYCLE_1)
	v_cndmask_b32_e64 v15, v15, 0x7ff00000, s0
	s_delay_alu instid0(VALU_DEP_2)
	v_cndmask_b32_e64 v14, v14, 0, s0
.LBB2_69:
	s_or_b32 exec_lo, exec_lo, s2
.LBB2_70:
	s_delay_alu instid0(SALU_CYCLE_1) | instskip(SKIP_4) | instid1(VALU_DEP_3)
	s_or_b32 exec_lo, exec_lo, s1
	v_frexp_mant_f64_e32 v[16:17], v[2:3]
	s_mov_b64 s[0:1], 0x3fe5555555555555
	v_frexp_exp_i32_f64_e32 v8, v[2:3]
	v_cmp_class_f64_e64 s2, v[6:7], 0x244
	v_cmp_gt_f64_e32 vcc_lo, s[0:1], v[16:17]
	s_mov_b64 s[0:1], 0x3fc3ab76bf559e2b
	v_cndmask_b32_e64 v12, 0, 1, vcc_lo
	v_subrev_co_ci_u32_e64 v8, null, 0, v8, vcc_lo
	v_cmp_gt_f64_e32 vcc_lo, 0, v[6:7]
	s_delay_alu instid0(VALU_DEP_3) | instskip(NEXT) | instid1(VALU_DEP_1)
	v_ldexp_f64 v[16:17], v[16:17], v12
	v_add_f64_e32 v[18:19], 1.0, v[16:17]
	v_add_f64_e32 v[24:25], -1.0, v[16:17]
	s_delay_alu instid0(VALU_DEP_2) | instskip(SKIP_1) | instid1(VALU_DEP_1)
	v_rcp_f64_e32 v[20:21], v[18:19]
	v_add_f64_e32 v[26:27], -1.0, v[18:19]
	v_add_f64_e64 v[16:17], v[16:17], -v[26:27]
	s_delay_alu instid0(TRANS32_DEP_1) | instskip(NEXT) | instid1(VALU_DEP_1)
	v_fma_f64 v[22:23], -v[18:19], v[20:21], 1.0
	v_fmac_f64_e32 v[20:21], v[22:23], v[20:21]
	s_delay_alu instid0(VALU_DEP_1) | instskip(NEXT) | instid1(VALU_DEP_1)
	v_fma_f64 v[22:23], -v[18:19], v[20:21], 1.0
	v_fmac_f64_e32 v[20:21], v[22:23], v[20:21]
	s_delay_alu instid0(VALU_DEP_1) | instskip(NEXT) | instid1(VALU_DEP_1)
	v_mul_f64_e32 v[22:23], v[24:25], v[20:21]
	v_mul_f64_e32 v[28:29], v[18:19], v[22:23]
	s_delay_alu instid0(VALU_DEP_1) | instskip(NEXT) | instid1(VALU_DEP_1)
	v_fma_f64 v[18:19], v[22:23], v[18:19], -v[28:29]
	v_fmac_f64_e32 v[18:19], v[22:23], v[16:17]
	s_delay_alu instid0(VALU_DEP_1) | instskip(NEXT) | instid1(VALU_DEP_1)
	v_add_f64_e32 v[16:17], v[28:29], v[18:19]
	v_add_f64_e64 v[26:27], v[24:25], -v[16:17]
	v_add_f64_e64 v[28:29], v[16:17], -v[28:29]
	s_delay_alu instid0(VALU_DEP_2) | instskip(NEXT) | instid1(VALU_DEP_2)
	v_add_f64_e64 v[24:25], v[24:25], -v[26:27]
	v_add_f64_e64 v[18:19], v[28:29], -v[18:19]
	s_delay_alu instid0(VALU_DEP_2) | instskip(NEXT) | instid1(VALU_DEP_1)
	v_add_f64_e64 v[16:17], v[24:25], -v[16:17]
	v_add_f64_e32 v[16:17], v[18:19], v[16:17]
	s_delay_alu instid0(VALU_DEP_1) | instskip(NEXT) | instid1(VALU_DEP_1)
	v_add_f64_e32 v[16:17], v[26:27], v[16:17]
	v_mul_f64_e32 v[16:17], v[20:21], v[16:17]
	s_delay_alu instid0(VALU_DEP_1) | instskip(NEXT) | instid1(VALU_DEP_1)
	v_add_f64_e32 v[18:19], v[22:23], v[16:17]
	v_mul_f64_e32 v[20:21], v[18:19], v[18:19]
	s_delay_alu instid0(VALU_DEP_1) | instskip(SKIP_2) | instid1(VALU_DEP_2)
	v_fmaak_f64 v[24:25], s[0:1], v[20:21], 0x3fc385386b47b09a
	v_mul_f64_e32 v[26:27], v[18:19], v[20:21]
	s_mov_b64 s[0:1], 0x3fe62e42fefa39ef
	v_fmaak_f64 v[24:25], v[20:21], v[24:25], 0x3fc7474dd7f4df2e
	s_delay_alu instid0(VALU_DEP_1) | instskip(NEXT) | instid1(VALU_DEP_1)
	v_fmaak_f64 v[24:25], v[20:21], v[24:25], 0x3fcc71c016291751
	v_fmaak_f64 v[24:25], v[20:21], v[24:25], 0x3fd249249b27acf1
	s_delay_alu instid0(VALU_DEP_1) | instskip(NEXT) | instid1(VALU_DEP_1)
	v_fmaak_f64 v[24:25], v[20:21], v[24:25], 0x3fd99999998ef7b6
	v_fmaak_f64 v[20:21], v[20:21], v[24:25], 0x3fe5555555555780
	v_ldexp_f64 v[24:25], v[18:19], 1
	v_add_f64_e64 v[18:19], v[18:19], -v[22:23]
	s_delay_alu instid0(VALU_DEP_3) | instskip(SKIP_1) | instid1(VALU_DEP_3)
	v_mul_f64_e32 v[20:21], v[26:27], v[20:21]
	v_cvt_f64_i32_e32 v[26:27], v8
	v_add_f64_e64 v[16:17], v[16:17], -v[18:19]
	s_delay_alu instid0(VALU_DEP_3) | instskip(NEXT) | instid1(VALU_DEP_2)
	v_add_f64_e32 v[22:23], v[24:25], v[20:21]
	v_ldexp_f64 v[16:17], v[16:17], 1
	s_delay_alu instid0(VALU_DEP_2) | instskip(SKIP_1) | instid1(VALU_DEP_2)
	v_add_f64_e64 v[18:19], v[22:23], -v[24:25]
	v_mul_f64_e32 v[24:25], 0x3fe62e42fefa39ef, v[26:27]
	v_add_f64_e64 v[18:19], v[20:21], -v[18:19]
	s_delay_alu instid0(VALU_DEP_2)
	v_fma_f64 v[20:21], v[26:27], s[0:1], -v[24:25]
	v_cmp_lt_u32_e64 s0, 0x432fffff, v9
	v_cmp_class_f64_e64 s1, v[2:3], 0x204
	s_and_b32 s0, vcc_lo, s0
	v_cmp_u_f64_e32 vcc_lo, v[6:7], v[6:7]
	s_or_b32 s0, s2, s0
	v_cmp_class_f64_e64 s2, v[0:1], 0x264
	v_cndmask_b32_e64 v10, v10, 0, s0
	v_cndmask_b32_e64 v11, v11, 0x7ff00000, s0
	v_cmp_gt_f64_e64 s0, 0, v[0:1]
	v_add_f64_e32 v[16:17], v[16:17], v[18:19]
	v_fmamk_f64 v[18:19], v[26:27], 0x3c7abc9e3b39803f, v[20:21]
	s_delay_alu instid0(VALU_DEP_4) | instskip(NEXT) | instid1(VALU_DEP_2)
	v_cndmask_b32_e32 v7, v11, v7, vcc_lo
	v_add_f64_e32 v[20:21], v[24:25], v[18:19]
	v_cndmask_b32_e32 v6, v10, v6, vcc_lo
	v_cmp_nge_f64_e32 vcc_lo, 0, v[2:3]
	v_add_f64_e32 v[26:27], v[22:23], v[16:17]
	s_delay_alu instid0(VALU_DEP_4) | instskip(NEXT) | instid1(VALU_DEP_2)
	v_add_f64_e64 v[24:25], v[20:21], -v[24:25]
	v_add_f64_e32 v[28:29], v[20:21], v[26:27]
	v_add_f64_e64 v[22:23], v[26:27], -v[22:23]
	s_delay_alu instid0(VALU_DEP_3) | instskip(NEXT) | instid1(VALU_DEP_3)
	v_add_f64_e64 v[18:19], v[18:19], -v[24:25]
	v_add_f64_e64 v[30:31], v[28:29], -v[20:21]
	s_delay_alu instid0(VALU_DEP_3) | instskip(NEXT) | instid1(VALU_DEP_2)
	v_add_f64_e64 v[16:17], v[16:17], -v[22:23]
	v_add_f64_e64 v[32:33], v[28:29], -v[30:31]
	;; [unrolled: 1-line block ×3, first 2 shown]
	s_delay_alu instid0(VALU_DEP_3) | instskip(NEXT) | instid1(VALU_DEP_3)
	v_add_f64_e32 v[24:25], v[18:19], v[16:17]
	v_add_f64_e64 v[20:21], v[20:21], -v[32:33]
	s_delay_alu instid0(VALU_DEP_1) | instskip(NEXT) | instid1(VALU_DEP_3)
	v_add_f64_e32 v[20:21], v[22:23], v[20:21]
	v_add_f64_e64 v[22:23], v[24:25], -v[18:19]
	s_delay_alu instid0(VALU_DEP_2) | instskip(NEXT) | instid1(VALU_DEP_2)
	v_add_f64_e32 v[20:21], v[24:25], v[20:21]
	v_add_f64_e64 v[24:25], v[24:25], -v[22:23]
	v_add_f64_e64 v[16:17], v[16:17], -v[22:23]
	s_delay_alu instid0(VALU_DEP_3) | instskip(NEXT) | instid1(VALU_DEP_3)
	v_add_f64_e32 v[26:27], v[28:29], v[20:21]
	v_add_f64_e64 v[18:19], v[18:19], -v[24:25]
	s_delay_alu instid0(VALU_DEP_2) | instskip(NEXT) | instid1(VALU_DEP_2)
	v_add_f64_e64 v[22:23], v[26:27], -v[28:29]
	v_add_f64_e32 v[16:17], v[16:17], v[18:19]
	s_delay_alu instid0(VALU_DEP_2) | instskip(NEXT) | instid1(VALU_DEP_1)
	v_add_f64_e64 v[18:19], v[20:21], -v[22:23]
	v_add_f64_e32 v[16:17], v[16:17], v[18:19]
	s_delay_alu instid0(VALU_DEP_1) | instskip(NEXT) | instid1(VALU_DEP_1)
	v_add_f64_e32 v[8:9], v[26:27], v[16:17]
	v_dual_cndmask_b32 v8, v8, v2, s1 :: v_dual_cndmask_b32 v9, v9, v3, s1
	v_cmp_ngt_f64_e64 s1, 0, v[2:3]
	s_delay_alu instid0(VALU_DEP_2) | instskip(SKIP_1) | instid1(VALU_DEP_3)
	v_cndmask_b32_e32 v8, 0, v8, vcc_lo
	v_cmp_neq_f64_e32 vcc_lo, 0, v[2:3]
	v_cndmask_b32_e64 v9, 0x7ff80000, v9, s1
	s_delay_alu instid0(VALU_DEP_1) | instskip(SKIP_1) | instid1(VALU_DEP_2)
	v_cndmask_b32_e32 v9, 0xfff00000, v9, vcc_lo
	v_cmp_lt_u32_e32 vcc_lo, 0x432fffff, v13
	v_fma_f64 v[2:3], v[0:1], v[8:9], -v[6:7]
	s_and_b32 s0, s0, vcc_lo
	v_cmp_u_f64_e32 vcc_lo, v[0:1], v[0:1]
	s_or_b32 s0, s2, s0
	s_mov_b64 s[2:3], 0x40862e42fefa39ef
	v_cndmask_b32_e64 v10, v14, 0, s0
	v_cndmask_b32_e64 v11, v15, 0x7ff00000, s0
	s_mov_b64 s[0:1], 0x3e21f32ea9d67f34
	s_delay_alu instid0(VALU_DEP_4) | instskip(SKIP_1) | instid1(VALU_DEP_3)
	v_mul_f64_e32 v[6:7], 0x3ff71547652b82fe, v[2:3]
	v_cmp_nlt_f64_e64 s2, s[2:3], v[2:3]
	v_dual_cndmask_b32 v11, v11, v1 :: v_dual_cndmask_b32 v10, v10, v0
	v_cmp_ngt_f64_e64 s3, 0xc0428000, v[2:3]
	s_delay_alu instid0(VALU_DEP_2) | instskip(SKIP_1) | instid1(VALU_DEP_2)
	v_fma_f64 v[0:1], v[0:1], v[8:9], -v[10:11]
	v_rndne_f64_e32 v[6:7], v[6:7]
	v_mul_f64_e32 v[10:11], 0x3ff71547652b82fe, v[0:1]
	s_delay_alu instid0(VALU_DEP_2) | instskip(SKIP_2) | instid1(VALU_DEP_3)
	v_fmamk_f64 v[8:9], v[6:7], 0xbfe62e42fefa39ef, v[2:3]
	v_cvt_i32_f64_e32 v18, v[6:7]
	v_cmp_eq_f64_e32 vcc_lo, 0x40900000, v[6:7]
	v_fmac_f64_e32 v[8:9], 0xbc7abc9e3b39803f, v[6:7]
	v_rndne_f64_e32 v[10:11], v[10:11]
	s_delay_alu instid0(VALU_DEP_4) | instskip(NEXT) | instid1(VALU_DEP_3)
	v_ldexp_f64 v[18:19], 1.0, v18
	v_fmaak_f64 v[12:13], s[0:1], v[8:9], 0x3e5af4eb2a1b768b
	s_delay_alu instid0(VALU_DEP_3) | instskip(SKIP_1) | instid1(VALU_DEP_2)
	v_fmamk_f64 v[14:15], v[10:11], 0xbfe62e42fefa39ef, v[0:1]
	s_mov_b64 s[0:1], 0x3e5ade156a5dcb37
	v_fmaak_f64 v[12:13], v[8:9], v[12:13], 0x3e927e500e0ac05b
	s_delay_alu instid0(VALU_DEP_2) | instskip(SKIP_1) | instid1(VALU_DEP_3)
	v_fmac_f64_e32 v[14:15], 0xbc7abc9e3b39803f, v[10:11]
	v_cvt_i32_f64_e32 v10, v[10:11]
	v_fmaak_f64 v[12:13], v[8:9], v[12:13], 0x3ec71de01b889c29
	s_delay_alu instid0(VALU_DEP_1) | instskip(NEXT) | instid1(VALU_DEP_1)
	v_fmaak_f64 v[12:13], v[8:9], v[12:13], 0x3efa01a0197bcfd8
	v_fmaak_f64 v[12:13], v[8:9], v[12:13], 0x3f2a01a01ac1a723
	s_delay_alu instid0(VALU_DEP_1) | instskip(SKIP_2) | instid1(VALU_DEP_3)
	v_fmaak_f64 v[12:13], v[8:9], v[12:13], 0x3f56c16c16c18931
	v_fmaak_f64 v[16:17], s[0:1], v[14:15], 0x3e928af3fca7ab0c
	v_cmp_nlt_f64_e64 s0, 0x40900000, v[0:1]
	v_fmaak_f64 v[12:13], v[8:9], v[12:13], 0x3f81111111110056
	v_cmp_ngt_f64_e64 s1, 0xc090cc00, v[0:1]
	s_delay_alu instid0(VALU_DEP_4) | instskip(NEXT) | instid1(VALU_DEP_3)
	v_fmaak_f64 v[16:17], v[14:15], v[16:17], 0x3ec71dee623fde64
	v_fmaak_f64 v[12:13], v[8:9], v[12:13], 0x3fa5555555555552
	s_delay_alu instid0(VALU_DEP_2) | instskip(NEXT) | instid1(VALU_DEP_2)
	v_fmaak_f64 v[16:17], v[14:15], v[16:17], 0x3efa01997c89e6b0
	v_fmaak_f64 v[12:13], v[8:9], v[12:13], 0x3fc5555555555557
	s_delay_alu instid0(VALU_DEP_2) | instskip(NEXT) | instid1(VALU_DEP_2)
	v_fmaak_f64 v[16:17], v[14:15], v[16:17], 0x3f2a01a014761f6e
	v_fma_f64 v[12:13], v[8:9], v[12:13], 0.5
	s_delay_alu instid0(VALU_DEP_2) | instskip(SKIP_2) | instid1(VALU_DEP_3)
	v_fmaak_f64 v[6:7], v[14:15], v[16:17], 0x3f56c16c1852b7b0
	v_cndmask_b32_e64 v17, v19, 0x7fe00000, vcc_lo
	v_cndmask_b32_e64 v16, v18, 0, vcc_lo
	v_fmaak_f64 v[6:7], v[14:15], v[6:7], 0x3f81111111122322
	s_delay_alu instid0(VALU_DEP_2) | instskip(NEXT) | instid1(VALU_DEP_2)
	v_add_f64_e32 v[18:19], -1.0, v[16:17]
	v_fmaak_f64 v[6:7], v[14:15], v[6:7], 0x3fa55555555502a1
	s_delay_alu instid0(VALU_DEP_1) | instskip(SKIP_1) | instid1(VALU_DEP_2)
	v_fmaak_f64 v[6:7], v[14:15], v[6:7], 0x3fc5555555555511
	v_mul_f64_e32 v[12:13], v[8:9], v[12:13]
	v_fmaak_f64 v[6:7], v[14:15], v[6:7], 0x3fe000000000000b
	s_delay_alu instid0(VALU_DEP_1) | instskip(NEXT) | instid1(VALU_DEP_3)
	v_fma_f64 v[6:7], v[14:15], v[6:7], 1.0
	v_fmac_f64_e32 v[8:9], v[8:9], v[12:13]
	s_delay_alu instid0(VALU_DEP_2) | instskip(NEXT) | instid1(VALU_DEP_2)
	v_fma_f64 v[6:7], v[14:15], v[6:7], 1.0
	v_fmac_f64_e32 v[18:19], v[16:17], v[8:9]
	s_delay_alu instid0(VALU_DEP_2) | instskip(NEXT) | instid1(VALU_DEP_2)
	v_ldexp_f64 v[6:7], v[6:7], v10
	v_add_f64_e32 v[8:9], v[18:19], v[18:19]
	s_delay_alu instid0(VALU_DEP_2) | instskip(NEXT) | instid1(VALU_DEP_1)
	v_cndmask_b32_e64 v7, 0x7ff00000, v7, s0
	v_dual_cndmask_b32 v1, 0, v7, s1 :: v_dual_cndmask_b32 v9, -v19, -v9, vcc_lo
	s_delay_alu instid0(VALU_DEP_3) | instskip(SKIP_2) | instid1(VALU_DEP_3)
	v_cndmask_b32_e32 v2, v18, v8, vcc_lo
	s_and_b32 vcc_lo, s1, s0
	v_cndmask_b32_e32 v0, 0, v6, vcc_lo
	v_cndmask_b32_e64 v9, 0xfff00000, v9, s2
	s_and_b32 vcc_lo, s3, s2
	v_cndmask_b32_e32 v2, 0, v2, vcc_lo
	s_delay_alu instid0(VALU_DEP_2) | instskip(NEXT) | instid1(VALU_DEP_1)
	v_cndmask_b32_e64 v3, 0x3ff00000, v9, s3
	v_fma_f64 v[0:1], -v[4:5], v[0:1], v[2:3]
	s_set_pc_i64 s[30:31]
.Lfunc_end2:
	.size	_ZN12_GLOBAL__N_120_igamc_helper_seriesIdEET_S1_S1_, .Lfunc_end2-_ZN12_GLOBAL__N_120_igamc_helper_seriesIdEET_S1_S1_
                                        ; -- End function
	.set .L_ZN12_GLOBAL__N_120_igamc_helper_seriesIdEET_S1_S1_.num_vgpr, 54
	.set .L_ZN12_GLOBAL__N_120_igamc_helper_seriesIdEET_S1_S1_.num_agpr, 0
	.set .L_ZN12_GLOBAL__N_120_igamc_helper_seriesIdEET_S1_S1_.numbered_sgpr, 32
	.set .L_ZN12_GLOBAL__N_120_igamc_helper_seriesIdEET_S1_S1_.num_named_barrier, 0
	.set .L_ZN12_GLOBAL__N_120_igamc_helper_seriesIdEET_S1_S1_.private_seg_size, 0
	.set .L_ZN12_GLOBAL__N_120_igamc_helper_seriesIdEET_S1_S1_.uses_vcc, 1
	.set .L_ZN12_GLOBAL__N_120_igamc_helper_seriesIdEET_S1_S1_.uses_flat_scratch, 0
	.set .L_ZN12_GLOBAL__N_120_igamc_helper_seriesIdEET_S1_S1_.has_dyn_sized_stack, 0
	.set .L_ZN12_GLOBAL__N_120_igamc_helper_seriesIdEET_S1_S1_.has_recursion, 0
	.set .L_ZN12_GLOBAL__N_120_igamc_helper_seriesIdEET_S1_S1_.has_indirect_call, 0
	.section	.AMDGPU.csdata,"",@progbits
; Function info:
; codeLenInByte = 15640
; TotalNumSgprs: 34
; NumVgprs: 54
; ScratchSize: 0
; MemoryBound: 0
	.text
	.p2align	2                               ; -- Begin function _ZN12_GLOBAL__N_112calc_igammacIdEET_S1_S1_
	.type	_ZN12_GLOBAL__N_112calc_igammacIdEET_S1_S1_,@function
_ZN12_GLOBAL__N_112calc_igammacIdEET_S1_S1_: ; @_ZN12_GLOBAL__N_112calc_igammacIdEET_S1_S1_
; %bb.0:
	s_wait_loadcnt_dscnt 0x0
	s_wait_kmcnt 0x0
	s_mov_b32 s23, s33
	s_mov_b32 s33, s32
	s_or_saveexec_b32 s0, -1
	scratch_store_b32 off, v40, s33         ; 4-byte Folded Spill
	s_wait_xcnt 0x0
	s_mov_b32 exec_lo, s0
	v_writelane_b32 v40, s30, 0
	s_add_co_i32 s32, s32, 16
	v_writelane_b32 v40, s31, 1
	v_dual_mov_b32 v113, v3 :: v_dual_mov_b32 v112, v2
	v_dual_mov_b32 v115, v1 :: v_dual_mov_b32 v114, v0
	s_delay_alu instid0(VALU_DEP_2) | instskip(NEXT) | instid1(VALU_DEP_2)
	v_max_num_f64_e32 v[0:1], v[112:113], v[112:113]
	v_max_num_f64_e32 v[2:3], v[114:115], v[114:115]
	s_delay_alu instid0(VALU_DEP_1) | instskip(NEXT) | instid1(VALU_DEP_1)
	v_min_num_f64_e32 v[0:1], v[2:3], v[0:1]
	v_cmp_ngt_f64_e32 vcc_lo, 0, v[0:1]
	v_mov_b64_e32 v[0:1], 0x7ff8000000000000
	s_and_saveexec_b32 s16, vcc_lo
	s_cbranch_execz .LBB3_58
; %bb.1:
                                        ; implicit-def: $vgpr0_vgpr1
	s_mov_b32 s0, exec_lo
	v_cmpx_neq_f64_e32 0, v[114:115]
	s_xor_b32 s17, exec_lo, s0
	s_cbranch_execz .LBB3_53
; %bb.2:
	v_mov_b64_e32 v[0:1], 1.0
	s_mov_b32 s18, exec_lo
	v_cmpx_neq_f64_e32 0, v[112:113]
	s_cbranch_execz .LBB3_52
; %bb.3:
	v_cmp_neq_f64_e64 s0, 0x7ff00000, |v[112:113]|
                                        ; implicit-def: $vgpr0_vgpr1
	s_mov_b32 s2, exec_lo
	v_cmpx_neq_f64_e64 0x7ff00000, |v[114:115]|
	s_xor_b32 s19, exec_lo, s2
	s_cbranch_execz .LBB3_47
; %bb.4:
	v_mov_b64_e32 v[0:1], 0
	s_and_saveexec_b32 s20, s0
	s_cbranch_execz .LBB3_46
; %bb.5:
	v_add_f64_e64 v[0:1], v[112:113], -v[114:115]
	s_mov_b64 s[0:1], 0x3fd3333333333333
	s_delay_alu instid0(VALU_DEP_1) | instskip(NEXT) | instid1(VALU_DEP_2)
	v_and_b32_e32 v3, 0x7fffffff, v1
	v_mov_b32_e32 v2, v0
	s_delay_alu instid0(VALU_DEP_1) | instskip(SKIP_1) | instid1(VALU_DEP_2)
	v_div_scale_f64 v[4:5], null, v[114:115], v[114:115], v[2:3]
	v_div_scale_f64 v[2:3], vcc_lo, v[2:3], v[114:115], v[2:3]
	v_rcp_f64_e32 v[6:7], v[4:5]
	v_nop
	s_delay_alu instid0(TRANS32_DEP_1) | instskip(NEXT) | instid1(VALU_DEP_1)
	v_fma_f64 v[8:9], -v[4:5], v[6:7], 1.0
	v_fmac_f64_e32 v[6:7], v[6:7], v[8:9]
	s_delay_alu instid0(VALU_DEP_1) | instskip(NEXT) | instid1(VALU_DEP_1)
	v_fma_f64 v[8:9], -v[4:5], v[6:7], 1.0
	v_fmac_f64_e32 v[6:7], v[6:7], v[8:9]
	s_delay_alu instid0(VALU_DEP_1) | instskip(NEXT) | instid1(VALU_DEP_1)
	v_mul_f64_e32 v[8:9], v[2:3], v[6:7]
	v_fma_f64 v[2:3], -v[4:5], v[8:9], v[2:3]
	s_delay_alu instid0(VALU_DEP_1) | instskip(SKIP_1) | instid1(VALU_DEP_2)
	v_div_fmas_f64 v[2:3], v[2:3], v[6:7], v[8:9]
	v_cmp_ngt_f64_e32 vcc_lo, 0x40690000, v[114:115]
	v_div_fixup_f64 v[2:3], v[2:3], v[114:115], |v[0:1]|
                                        ; implicit-def: $vgpr0_vgpr1
	s_delay_alu instid0(VALU_DEP_1) | instskip(SKIP_2) | instid1(SALU_CYCLE_1)
	v_cmp_ngt_f64_e64 s0, s[0:1], v[2:3]
	v_cmp_nlt_f64_e64 s1, 0x40340000, v[114:115]
	s_or_b32 s0, vcc_lo, s0
	s_or_b32 s0, s0, s1
	s_delay_alu instid0(SALU_CYCLE_1) | instskip(NEXT) | instid1(SALU_CYCLE_1)
	s_and_saveexec_b32 s1, s0
	s_xor_b32 s21, exec_lo, s1
	s_cbranch_execz .LBB3_43
; %bb.6:
	s_mov_b32 s1, -1
	s_mov_b32 s11, 0
	s_mov_b32 s0, exec_lo
	v_cmpx_lt_f64_e32 0x40690000, v[114:115]
	s_cbranch_execz .LBB3_8
; %bb.7:
	v_cmp_gt_f64_e32 vcc_lo, 0x10000000, v[114:115]
	s_mov_b32 s11, exec_lo
	v_cndmask_b32_e64 v0, 0, 0x100, vcc_lo
	s_delay_alu instid0(VALU_DEP_1) | instskip(NEXT) | instid1(VALU_DEP_1)
	v_ldexp_f64 v[0:1], v[114:115], v0
	v_rsq_f64_e32 v[4:5], v[0:1]
	v_nop
	s_delay_alu instid0(TRANS32_DEP_1) | instskip(SKIP_1) | instid1(VALU_DEP_1)
	v_mul_f64_e32 v[6:7], v[0:1], v[4:5]
	v_mul_f64_e32 v[4:5], 0.5, v[4:5]
	v_fma_f64 v[8:9], -v[4:5], v[6:7], 0.5
	s_delay_alu instid0(VALU_DEP_1) | instskip(SKIP_1) | instid1(VALU_DEP_2)
	v_fmac_f64_e32 v[6:7], v[6:7], v[8:9]
	v_fmac_f64_e32 v[4:5], v[4:5], v[8:9]
	v_fma_f64 v[8:9], -v[6:7], v[6:7], v[0:1]
	s_delay_alu instid0(VALU_DEP_1) | instskip(NEXT) | instid1(VALU_DEP_1)
	v_fmac_f64_e32 v[6:7], v[8:9], v[4:5]
	v_fma_f64 v[8:9], -v[6:7], v[6:7], v[0:1]
	s_delay_alu instid0(VALU_DEP_1) | instskip(SKIP_2) | instid1(VALU_DEP_2)
	v_fmac_f64_e32 v[6:7], v[8:9], v[4:5]
	v_cndmask_b32_e64 v4, 0, 0xffffff80, vcc_lo
	v_cmp_class_f64_e64 vcc_lo, v[0:1], 0x260
	v_ldexp_f64 v[4:5], v[6:7], v4
	s_delay_alu instid0(VALU_DEP_1) | instskip(NEXT) | instid1(VALU_DEP_1)
	v_dual_cndmask_b32 v1, v5, v1 :: v_dual_cndmask_b32 v0, v4, v0
	v_div_scale_f64 v[4:5], null, v[0:1], v[0:1], 0x40120000
	s_delay_alu instid0(VALU_DEP_1) | instskip(SKIP_1) | instid1(TRANS32_DEP_1)
	v_rcp_f64_e32 v[6:7], v[4:5]
	v_nop
	v_fma_f64 v[8:9], -v[4:5], v[6:7], 1.0
	s_delay_alu instid0(VALU_DEP_1) | instskip(NEXT) | instid1(VALU_DEP_1)
	v_fmac_f64_e32 v[6:7], v[6:7], v[8:9]
	v_fma_f64 v[8:9], -v[4:5], v[6:7], 1.0
	s_delay_alu instid0(VALU_DEP_1) | instskip(SKIP_1) | instid1(VALU_DEP_1)
	v_fmac_f64_e32 v[6:7], v[6:7], v[8:9]
	v_div_scale_f64 v[8:9], vcc_lo, 0x40120000, v[0:1], 0x40120000
	v_mul_f64_e32 v[10:11], v[8:9], v[6:7]
	s_delay_alu instid0(VALU_DEP_1) | instskip(NEXT) | instid1(VALU_DEP_1)
	v_fma_f64 v[4:5], -v[4:5], v[10:11], v[8:9]
	v_div_fmas_f64 v[4:5], v[4:5], v[6:7], v[10:11]
	s_delay_alu instid0(VALU_DEP_1) | instskip(NEXT) | instid1(VALU_DEP_1)
	v_div_fixup_f64 v[0:1], v[4:5], v[0:1], 0x40120000
	v_cmp_nlt_f64_e32 vcc_lo, v[2:3], v[0:1]
	s_or_not1_b32 s1, vcc_lo, exec_lo
.LBB3_8:
	s_or_b32 exec_lo, exec_lo, s0
                                        ; implicit-def: $vgpr0_vgpr1
	s_and_saveexec_b32 s0, s1
	s_delay_alu instid0(SALU_CYCLE_1)
	s_xor_b32 s12, exec_lo, s0
	s_cbranch_execz .LBB3_40
; %bb.9:
	s_mov_b64 s[0:1], 0x3ff199999999999a
                                        ; implicit-def: $vgpr0_vgpr1
	s_delay_alu instid0(SALU_CYCLE_1) | instskip(SKIP_1) | instid1(SALU_CYCLE_1)
	v_cmp_nlt_f64_e32 vcc_lo, s[0:1], v[112:113]
	s_and_saveexec_b32 s0, vcc_lo
	s_xor_b32 s10, exec_lo, s0
	s_cbranch_execz .LBB3_31
; %bb.10:
                                        ; implicit-def: $vgpr0_vgpr1
	s_mov_b32 s0, exec_lo
	v_cmpx_ge_f64_e32 0.5, v[112:113]
	s_xor_b32 s13, exec_lo, s0
	s_cbranch_execz .LBB3_20
; %bb.11:
	v_frexp_mant_f64_e32 v[0:1], v[112:113]
	s_mov_b64 s[0:1], 0x3fe5555555555555
	s_delay_alu instid0(VALU_DEP_1) | instid1(SALU_CYCLE_1)
	v_cmp_gt_f64_e32 vcc_lo, s[0:1], v[0:1]
	s_mov_b64 s[0:1], 0x3fc3ab76bf559e2b
	v_cndmask_b32_e64 v2, 0, 1, vcc_lo
	s_delay_alu instid0(VALU_DEP_1) | instskip(NEXT) | instid1(VALU_DEP_1)
	v_ldexp_f64 v[0:1], v[0:1], v2
	v_add_f64_e32 v[2:3], 1.0, v[0:1]
	v_add_f64_e32 v[8:9], -1.0, v[0:1]
	s_delay_alu instid0(VALU_DEP_2) | instskip(SKIP_1) | instid1(VALU_DEP_1)
	v_rcp_f64_e32 v[4:5], v[2:3]
	v_add_f64_e32 v[10:11], -1.0, v[2:3]
	v_add_f64_e64 v[0:1], v[0:1], -v[10:11]
	s_delay_alu instid0(TRANS32_DEP_1) | instskip(NEXT) | instid1(VALU_DEP_1)
	v_fma_f64 v[6:7], -v[2:3], v[4:5], 1.0
	v_fmac_f64_e32 v[4:5], v[6:7], v[4:5]
	s_delay_alu instid0(VALU_DEP_1) | instskip(NEXT) | instid1(VALU_DEP_1)
	v_fma_f64 v[6:7], -v[2:3], v[4:5], 1.0
	v_fmac_f64_e32 v[4:5], v[6:7], v[4:5]
	s_delay_alu instid0(VALU_DEP_1) | instskip(NEXT) | instid1(VALU_DEP_1)
	v_mul_f64_e32 v[6:7], v[8:9], v[4:5]
	v_mul_f64_e32 v[12:13], v[2:3], v[6:7]
	s_delay_alu instid0(VALU_DEP_1) | instskip(NEXT) | instid1(VALU_DEP_1)
	v_fma_f64 v[2:3], v[6:7], v[2:3], -v[12:13]
	v_fmac_f64_e32 v[2:3], v[6:7], v[0:1]
	s_delay_alu instid0(VALU_DEP_1) | instskip(NEXT) | instid1(VALU_DEP_1)
	v_add_f64_e32 v[0:1], v[12:13], v[2:3]
	v_add_f64_e64 v[10:11], v[8:9], -v[0:1]
	v_add_f64_e64 v[12:13], v[0:1], -v[12:13]
	s_delay_alu instid0(VALU_DEP_2) | instskip(NEXT) | instid1(VALU_DEP_2)
	v_add_f64_e64 v[8:9], v[8:9], -v[10:11]
	v_add_f64_e64 v[2:3], v[12:13], -v[2:3]
	s_delay_alu instid0(VALU_DEP_2) | instskip(NEXT) | instid1(VALU_DEP_1)
	v_add_f64_e64 v[0:1], v[8:9], -v[0:1]
	v_add_f64_e32 v[0:1], v[2:3], v[0:1]
	s_delay_alu instid0(VALU_DEP_1) | instskip(NEXT) | instid1(VALU_DEP_1)
	v_add_f64_e32 v[0:1], v[10:11], v[0:1]
	v_mul_f64_e32 v[0:1], v[4:5], v[0:1]
	s_delay_alu instid0(VALU_DEP_1) | instskip(NEXT) | instid1(VALU_DEP_1)
	v_add_f64_e32 v[2:3], v[6:7], v[0:1]
	v_mul_f64_e32 v[4:5], v[2:3], v[2:3]
	s_delay_alu instid0(VALU_DEP_1) | instskip(SKIP_2) | instid1(VALU_DEP_2)
	v_fmaak_f64 v[8:9], s[0:1], v[4:5], 0x3fc385386b47b09a
	v_mul_f64_e32 v[10:11], v[2:3], v[4:5]
	s_mov_b64 s[0:1], 0x3fe62e42fefa39ef
	v_fmaak_f64 v[8:9], v[4:5], v[8:9], 0x3fc7474dd7f4df2e
	s_delay_alu instid0(VALU_DEP_1) | instskip(NEXT) | instid1(VALU_DEP_1)
	v_fmaak_f64 v[8:9], v[4:5], v[8:9], 0x3fcc71c016291751
	v_fmaak_f64 v[8:9], v[4:5], v[8:9], 0x3fd249249b27acf1
	s_delay_alu instid0(VALU_DEP_1) | instskip(NEXT) | instid1(VALU_DEP_1)
	v_fmaak_f64 v[8:9], v[4:5], v[8:9], 0x3fd99999998ef7b6
	v_fmaak_f64 v[4:5], v[4:5], v[8:9], 0x3fe5555555555780
	v_ldexp_f64 v[8:9], v[2:3], 1
	v_add_f64_e64 v[2:3], v[2:3], -v[6:7]
	s_delay_alu instid0(VALU_DEP_3) | instskip(SKIP_1) | instid1(VALU_DEP_3)
	v_mul_f64_e32 v[4:5], v[10:11], v[4:5]
	v_frexp_exp_i32_f64_e32 v10, v[112:113]
	v_add_f64_e64 v[0:1], v[0:1], -v[2:3]
	s_delay_alu instid0(VALU_DEP_3) | instskip(NEXT) | instid1(VALU_DEP_3)
	v_add_f64_e32 v[6:7], v[8:9], v[4:5]
	v_subrev_co_ci_u32_e64 v10, null, 0, v10, vcc_lo
	s_delay_alu instid0(VALU_DEP_1) | instskip(NEXT) | instid1(VALU_DEP_4)
	v_cvt_f64_i32_e32 v[10:11], v10
	v_ldexp_f64 v[0:1], v[0:1], 1
	s_delay_alu instid0(VALU_DEP_4) | instskip(NEXT) | instid1(VALU_DEP_3)
	v_add_f64_e64 v[2:3], v[6:7], -v[8:9]
	v_mul_f64_e32 v[8:9], 0x3fe62e42fefa39ef, v[10:11]
	s_delay_alu instid0(VALU_DEP_2) | instskip(NEXT) | instid1(VALU_DEP_2)
	v_add_f64_e64 v[2:3], v[4:5], -v[2:3]
	v_fma_f64 v[4:5], v[10:11], s[0:1], -v[8:9]
	s_mov_b64 s[0:1], 0xbfd999999999999a
	s_delay_alu instid0(VALU_DEP_2) | instskip(NEXT) | instid1(VALU_DEP_2)
	v_add_f64_e32 v[0:1], v[0:1], v[2:3]
	v_fmamk_f64 v[2:3], v[10:11], 0x3c7abc9e3b39803f, v[4:5]
	s_delay_alu instid0(VALU_DEP_1) | instskip(NEXT) | instid1(VALU_DEP_3)
	v_add_f64_e32 v[4:5], v[8:9], v[2:3]
	v_add_f64_e32 v[10:11], v[6:7], v[0:1]
	s_delay_alu instid0(VALU_DEP_2) | instskip(NEXT) | instid1(VALU_DEP_2)
	v_add_f64_e64 v[8:9], v[4:5], -v[8:9]
	v_add_f64_e32 v[12:13], v[4:5], v[10:11]
	v_add_f64_e64 v[6:7], v[10:11], -v[6:7]
	s_delay_alu instid0(VALU_DEP_3) | instskip(NEXT) | instid1(VALU_DEP_3)
	v_add_f64_e64 v[2:3], v[2:3], -v[8:9]
	v_add_f64_e64 v[14:15], v[12:13], -v[4:5]
	s_delay_alu instid0(VALU_DEP_3) | instskip(NEXT) | instid1(VALU_DEP_2)
	v_add_f64_e64 v[0:1], v[0:1], -v[6:7]
	v_add_f64_e64 v[16:17], v[12:13], -v[14:15]
	;; [unrolled: 1-line block ×3, first 2 shown]
	s_delay_alu instid0(VALU_DEP_3) | instskip(NEXT) | instid1(VALU_DEP_3)
	v_add_f64_e32 v[8:9], v[2:3], v[0:1]
	v_add_f64_e64 v[4:5], v[4:5], -v[16:17]
	s_delay_alu instid0(VALU_DEP_1) | instskip(NEXT) | instid1(VALU_DEP_3)
	v_add_f64_e32 v[4:5], v[6:7], v[4:5]
	v_add_f64_e64 v[6:7], v[8:9], -v[2:3]
	s_delay_alu instid0(VALU_DEP_2) | instskip(NEXT) | instid1(VALU_DEP_2)
	v_add_f64_e32 v[4:5], v[8:9], v[4:5]
	v_add_f64_e64 v[8:9], v[8:9], -v[6:7]
	v_add_f64_e64 v[0:1], v[0:1], -v[6:7]
	s_delay_alu instid0(VALU_DEP_3) | instskip(NEXT) | instid1(VALU_DEP_3)
	v_add_f64_e32 v[10:11], v[12:13], v[4:5]
	v_add_f64_e64 v[2:3], v[2:3], -v[8:9]
	s_delay_alu instid0(VALU_DEP_2) | instskip(NEXT) | instid1(VALU_DEP_2)
	v_add_f64_e64 v[6:7], v[10:11], -v[12:13]
	v_add_f64_e32 v[0:1], v[0:1], v[2:3]
	s_delay_alu instid0(VALU_DEP_2) | instskip(NEXT) | instid1(VALU_DEP_1)
	v_add_f64_e64 v[2:3], v[4:5], -v[6:7]
	v_add_f64_e32 v[0:1], v[0:1], v[2:3]
	s_delay_alu instid0(VALU_DEP_1) | instskip(NEXT) | instid1(VALU_DEP_1)
	v_add_f64_e32 v[0:1], v[10:11], v[0:1]
	v_div_scale_f64 v[2:3], null, v[0:1], v[0:1], s[0:1]
	s_delay_alu instid0(VALU_DEP_1) | instskip(SKIP_1) | instid1(TRANS32_DEP_1)
	v_rcp_f64_e32 v[4:5], v[2:3]
	v_nop
	v_fma_f64 v[6:7], -v[2:3], v[4:5], 1.0
	s_delay_alu instid0(VALU_DEP_1) | instskip(NEXT) | instid1(VALU_DEP_1)
	v_fmac_f64_e32 v[4:5], v[4:5], v[6:7]
	v_fma_f64 v[6:7], -v[2:3], v[4:5], 1.0
	s_delay_alu instid0(VALU_DEP_1) | instskip(SKIP_1) | instid1(VALU_DEP_1)
	v_fmac_f64_e32 v[4:5], v[4:5], v[6:7]
	v_div_scale_f64 v[6:7], vcc_lo, s[0:1], v[0:1], s[0:1]
	v_mul_f64_e32 v[8:9], v[6:7], v[4:5]
	s_delay_alu instid0(VALU_DEP_1) | instskip(NEXT) | instid1(VALU_DEP_1)
	v_fma_f64 v[2:3], -v[2:3], v[8:9], v[6:7]
	v_div_fmas_f64 v[2:3], v[2:3], v[4:5], v[8:9]
	s_delay_alu instid0(VALU_DEP_1) | instskip(NEXT) | instid1(VALU_DEP_1)
	v_div_fixup_f64 v[0:1], v[2:3], v[0:1], s[0:1]
	v_cmp_nlt_f64_e32 vcc_lo, v[0:1], v[114:115]
                                        ; implicit-def: $vgpr0_vgpr1
	s_and_saveexec_b32 s0, vcc_lo
	s_delay_alu instid0(SALU_CYCLE_1)
	s_xor_b32 s14, exec_lo, s0
	s_cbranch_execz .LBB3_13
; %bb.12:
	v_dual_mov_b32 v0, v114 :: v_dual_mov_b32 v1, v115
	v_dual_mov_b32 v2, v112 :: v_dual_mov_b32 v3, v113
	s_get_pc_i64 s[0:1]
	s_add_nc_u64 s[0:1], s[0:1], _ZN12_GLOBAL__N_120_igamc_helper_seriesIdEET_S1_S1_@rel64+4
	s_delay_alu instid0(SALU_CYCLE_1)
	s_swap_pc_i64 s[30:31], s[0:1]
.LBB3_13:
	s_and_not1_saveexec_b32 s14, s14
	s_cbranch_execz .LBB3_19
; %bb.14:
	v_dual_mov_b32 v0, v114 :: v_dual_mov_b32 v1, v115
	v_dual_mov_b32 v2, v112 :: v_dual_mov_b32 v3, v113
	s_get_pc_i64 s[0:1]
	s_add_nc_u64 s[0:1], s[0:1], _ZN12_GLOBAL__N_116_igam_helper_facIdEET_S1_S1_@rel64+4
	s_delay_alu instid0(SALU_CYCLE_1)
	s_swap_pc_i64 s[30:31], s[0:1]
	v_mov_b64_e32 v[2:3], 0
	s_mov_b32 s0, exec_lo
	v_cmpx_neq_f64_e32 0, v[0:1]
	s_cbranch_execz .LBB3_18
; %bb.15:
	v_mov_b64_e32 v[6:7], 1.0
	v_mov_b64_e32 v[2:3], 1.0
	v_mov_b64_e32 v[4:5], v[114:115]
	v_mov_b32_e32 v8, 0x7cf
	s_mov_b32 s1, 0
.LBB3_16:                               ; =>This Inner Loop Header: Depth=1
	s_delay_alu instid0(VALU_DEP_2) | instskip(NEXT) | instid1(VALU_DEP_2)
	v_add_f64_e32 v[4:5], 1.0, v[4:5]
	v_sub_co_u32 v8, s2, v8, 1
	s_delay_alu instid0(VALU_DEP_2) | instskip(SKIP_1) | instid1(VALU_DEP_2)
	v_div_scale_f64 v[10:11], null, v[4:5], v[4:5], v[112:113]
	v_div_scale_f64 v[16:17], vcc_lo, v[112:113], v[4:5], v[112:113]
	v_rcp_f64_e32 v[12:13], v[10:11]
	v_nop
	s_delay_alu instid0(TRANS32_DEP_1) | instskip(NEXT) | instid1(VALU_DEP_1)
	v_fma_f64 v[14:15], -v[10:11], v[12:13], 1.0
	v_fmac_f64_e32 v[12:13], v[12:13], v[14:15]
	s_delay_alu instid0(VALU_DEP_1) | instskip(NEXT) | instid1(VALU_DEP_1)
	v_fma_f64 v[14:15], -v[10:11], v[12:13], 1.0
	v_fmac_f64_e32 v[12:13], v[12:13], v[14:15]
	s_delay_alu instid0(VALU_DEP_1) | instskip(NEXT) | instid1(VALU_DEP_1)
	v_mul_f64_e32 v[14:15], v[16:17], v[12:13]
	v_fma_f64 v[10:11], -v[10:11], v[14:15], v[16:17]
	s_delay_alu instid0(VALU_DEP_1) | instskip(NEXT) | instid1(VALU_DEP_1)
	v_div_fmas_f64 v[10:11], v[10:11], v[12:13], v[14:15]
	v_div_fixup_f64 v[10:11], v[10:11], v[4:5], v[112:113]
	s_delay_alu instid0(VALU_DEP_1) | instskip(SKIP_1) | instid1(VALU_DEP_2)
	v_fmac_f64_e32 v[2:3], v[6:7], v[10:11]
	v_mul_f64_e32 v[6:7], v[6:7], v[10:11]
	v_ldexp_f64 v[10:11], v[2:3], 0xffffffcb
	s_delay_alu instid0(VALU_DEP_1) | instskip(SKIP_1) | instid1(SALU_CYCLE_1)
	v_cmp_le_f64_e32 vcc_lo, v[6:7], v[10:11]
	s_or_b32 s2, vcc_lo, s2
	s_and_b32 s2, exec_lo, s2
	s_delay_alu instid0(SALU_CYCLE_1) | instskip(NEXT) | instid1(SALU_CYCLE_1)
	s_or_b32 s1, s2, s1
	s_and_not1_b32 exec_lo, exec_lo, s1
	s_cbranch_execnz .LBB3_16
; %bb.17:
	s_or_b32 exec_lo, exec_lo, s1
	v_mul_f64_e32 v[0:1], v[0:1], v[2:3]
	s_delay_alu instid0(VALU_DEP_1) | instskip(NEXT) | instid1(VALU_DEP_1)
	v_div_scale_f64 v[2:3], null, v[114:115], v[114:115], v[0:1]
	v_rcp_f64_e32 v[4:5], v[2:3]
	v_nop
	s_delay_alu instid0(TRANS32_DEP_1) | instskip(NEXT) | instid1(VALU_DEP_1)
	v_fma_f64 v[6:7], -v[2:3], v[4:5], 1.0
	v_fmac_f64_e32 v[4:5], v[4:5], v[6:7]
	s_delay_alu instid0(VALU_DEP_1) | instskip(NEXT) | instid1(VALU_DEP_1)
	v_fma_f64 v[6:7], -v[2:3], v[4:5], 1.0
	v_fmac_f64_e32 v[4:5], v[4:5], v[6:7]
	v_div_scale_f64 v[6:7], vcc_lo, v[0:1], v[114:115], v[0:1]
	s_delay_alu instid0(VALU_DEP_1) | instskip(NEXT) | instid1(VALU_DEP_1)
	v_mul_f64_e32 v[8:9], v[6:7], v[4:5]
	v_fma_f64 v[2:3], -v[2:3], v[8:9], v[6:7]
	s_delay_alu instid0(VALU_DEP_1) | instskip(NEXT) | instid1(VALU_DEP_1)
	v_div_fmas_f64 v[2:3], v[2:3], v[4:5], v[8:9]
	v_div_fixup_f64 v[2:3], v[2:3], v[114:115], v[0:1]
.LBB3_18:
	s_or_b32 exec_lo, exec_lo, s0
	s_delay_alu instid0(VALU_DEP_1)
	v_add_f64_e64 v[0:1], -v[2:3], 1.0
.LBB3_19:
	s_or_b32 exec_lo, exec_lo, s14
.LBB3_20:
	s_and_not1_saveexec_b32 s13, s13
	s_cbranch_execz .LBB3_30
; %bb.21:
	v_mul_f64_e32 v[0:1], 0x3ff199999999999a, v[112:113]
	s_delay_alu instid0(VALU_DEP_1) | instskip(SKIP_1) | instid1(SALU_CYCLE_1)
	v_cmp_nlt_f64_e32 vcc_lo, v[0:1], v[114:115]
                                        ; implicit-def: $vgpr0_vgpr1
	s_and_saveexec_b32 s0, vcc_lo
	s_xor_b32 s14, exec_lo, s0
	s_cbranch_execz .LBB3_23
; %bb.22:
	v_dual_mov_b32 v0, v114 :: v_dual_mov_b32 v1, v115
	v_dual_mov_b32 v2, v112 :: v_dual_mov_b32 v3, v113
	s_get_pc_i64 s[0:1]
	s_add_nc_u64 s[0:1], s[0:1], _ZN12_GLOBAL__N_120_igamc_helper_seriesIdEET_S1_S1_@rel64+4
	s_delay_alu instid0(SALU_CYCLE_1)
	s_swap_pc_i64 s[30:31], s[0:1]
.LBB3_23:
	s_and_not1_saveexec_b32 s14, s14
	s_cbranch_execz .LBB3_29
; %bb.24:
	v_dual_mov_b32 v0, v114 :: v_dual_mov_b32 v1, v115
	v_dual_mov_b32 v2, v112 :: v_dual_mov_b32 v3, v113
	s_get_pc_i64 s[0:1]
	s_add_nc_u64 s[0:1], s[0:1], _ZN12_GLOBAL__N_116_igam_helper_facIdEET_S1_S1_@rel64+4
	s_delay_alu instid0(SALU_CYCLE_1)
	s_swap_pc_i64 s[30:31], s[0:1]
	v_mov_b64_e32 v[2:3], 0
	s_mov_b32 s0, exec_lo
	v_cmpx_neq_f64_e32 0, v[0:1]
	s_cbranch_execz .LBB3_28
; %bb.25:
	v_mov_b64_e32 v[6:7], 1.0
	v_mov_b64_e32 v[2:3], 1.0
	v_mov_b64_e32 v[4:5], v[114:115]
	v_mov_b32_e32 v8, 0x7cf
	s_mov_b32 s1, 0
.LBB3_26:                               ; =>This Inner Loop Header: Depth=1
	s_delay_alu instid0(VALU_DEP_2) | instskip(NEXT) | instid1(VALU_DEP_2)
	v_add_f64_e32 v[4:5], 1.0, v[4:5]
	v_sub_co_u32 v8, s2, v8, 1
	s_delay_alu instid0(VALU_DEP_2) | instskip(SKIP_1) | instid1(VALU_DEP_2)
	v_div_scale_f64 v[10:11], null, v[4:5], v[4:5], v[112:113]
	v_div_scale_f64 v[16:17], vcc_lo, v[112:113], v[4:5], v[112:113]
	v_rcp_f64_e32 v[12:13], v[10:11]
	v_nop
	s_delay_alu instid0(TRANS32_DEP_1) | instskip(NEXT) | instid1(VALU_DEP_1)
	v_fma_f64 v[14:15], -v[10:11], v[12:13], 1.0
	v_fmac_f64_e32 v[12:13], v[12:13], v[14:15]
	s_delay_alu instid0(VALU_DEP_1) | instskip(NEXT) | instid1(VALU_DEP_1)
	v_fma_f64 v[14:15], -v[10:11], v[12:13], 1.0
	v_fmac_f64_e32 v[12:13], v[12:13], v[14:15]
	s_delay_alu instid0(VALU_DEP_1) | instskip(NEXT) | instid1(VALU_DEP_1)
	v_mul_f64_e32 v[14:15], v[16:17], v[12:13]
	v_fma_f64 v[10:11], -v[10:11], v[14:15], v[16:17]
	s_delay_alu instid0(VALU_DEP_1) | instskip(NEXT) | instid1(VALU_DEP_1)
	v_div_fmas_f64 v[10:11], v[10:11], v[12:13], v[14:15]
	v_div_fixup_f64 v[10:11], v[10:11], v[4:5], v[112:113]
	s_delay_alu instid0(VALU_DEP_1) | instskip(SKIP_1) | instid1(VALU_DEP_2)
	v_fmac_f64_e32 v[2:3], v[6:7], v[10:11]
	v_mul_f64_e32 v[6:7], v[6:7], v[10:11]
	v_ldexp_f64 v[10:11], v[2:3], 0xffffffcb
	s_delay_alu instid0(VALU_DEP_1) | instskip(SKIP_1) | instid1(SALU_CYCLE_1)
	v_cmp_le_f64_e32 vcc_lo, v[6:7], v[10:11]
	s_or_b32 s2, vcc_lo, s2
	s_and_b32 s2, exec_lo, s2
	s_delay_alu instid0(SALU_CYCLE_1) | instskip(NEXT) | instid1(SALU_CYCLE_1)
	s_or_b32 s1, s2, s1
	s_and_not1_b32 exec_lo, exec_lo, s1
	s_cbranch_execnz .LBB3_26
; %bb.27:
	s_or_b32 exec_lo, exec_lo, s1
	v_mul_f64_e32 v[0:1], v[0:1], v[2:3]
	s_delay_alu instid0(VALU_DEP_1) | instskip(NEXT) | instid1(VALU_DEP_1)
	v_div_scale_f64 v[2:3], null, v[114:115], v[114:115], v[0:1]
	v_rcp_f64_e32 v[4:5], v[2:3]
	v_nop
	s_delay_alu instid0(TRANS32_DEP_1) | instskip(NEXT) | instid1(VALU_DEP_1)
	v_fma_f64 v[6:7], -v[2:3], v[4:5], 1.0
	v_fmac_f64_e32 v[4:5], v[4:5], v[6:7]
	s_delay_alu instid0(VALU_DEP_1) | instskip(NEXT) | instid1(VALU_DEP_1)
	v_fma_f64 v[6:7], -v[2:3], v[4:5], 1.0
	v_fmac_f64_e32 v[4:5], v[4:5], v[6:7]
	v_div_scale_f64 v[6:7], vcc_lo, v[0:1], v[114:115], v[0:1]
	s_delay_alu instid0(VALU_DEP_1) | instskip(NEXT) | instid1(VALU_DEP_1)
	v_mul_f64_e32 v[8:9], v[6:7], v[4:5]
	v_fma_f64 v[2:3], -v[2:3], v[8:9], v[6:7]
	s_delay_alu instid0(VALU_DEP_1) | instskip(NEXT) | instid1(VALU_DEP_1)
	v_div_fmas_f64 v[2:3], v[2:3], v[4:5], v[8:9]
	v_div_fixup_f64 v[2:3], v[2:3], v[114:115], v[0:1]
.LBB3_28:
	s_or_b32 exec_lo, exec_lo, s0
	s_delay_alu instid0(VALU_DEP_1)
	v_add_f64_e64 v[0:1], -v[2:3], 1.0
.LBB3_29:
	s_or_b32 exec_lo, exec_lo, s14
.LBB3_30:
	s_delay_alu instid0(SALU_CYCLE_1)
	s_or_b32 exec_lo, exec_lo, s13
.LBB3_31:
	s_and_not1_saveexec_b32 s13, s10
	s_cbranch_execz .LBB3_68
; %bb.32:
	v_dual_mov_b32 v0, v114 :: v_dual_mov_b32 v1, v115
	v_dual_mov_b32 v2, v112 :: v_dual_mov_b32 v3, v113
	s_get_pc_i64 s[0:1]
	s_add_nc_u64 s[0:1], s[0:1], _ZN12_GLOBAL__N_116_igam_helper_facIdEET_S1_S1_@rel64+4
	v_cmp_nlt_f64_e64 s10, v[112:113], v[114:115]
	s_swap_pc_i64 s[30:31], s[0:1]
	v_dual_mov_b32 v2, v0 :: v_dual_mov_b32 v3, v1
                                        ; implicit-def: $vgpr0_vgpr1
	s_delay_alu instid0(VALU_DEP_1) | instskip(SKIP_1) | instid1(SALU_CYCLE_1)
	v_cmp_neq_f64_e64 s0, 0, v[2:3]
	s_and_saveexec_b32 s1, s10
	s_xor_b32 s1, exec_lo, s1
	s_cbranch_execz .LBB3_61
; %bb.33:
	v_mov_b64_e32 v[0:1], 0
	s_and_saveexec_b32 s2, s0
	s_cbranch_execz .LBB3_60
; %bb.34:
	v_add_f64_e64 v[0:1], -v[114:115], 1.0
	v_add_f64_e32 v[6:7], 1.0, v[112:113]
	v_mov_b64_e32 v[18:19], v[112:113]
	v_mov_b32_e32 v20, 0x7cf
	s_mov_b32 s3, 0
	s_delay_alu instid0(VALU_DEP_4) | instskip(NEXT) | instid1(VALU_DEP_1)
	v_add_f64_e32 v[4:5], v[112:113], v[0:1]
	v_add_f64_e32 v[4:5], 1.0, v[4:5]
	s_delay_alu instid0(VALU_DEP_1) | instskip(NEXT) | instid1(VALU_DEP_1)
	v_mul_f64_e32 v[8:9], v[112:113], v[4:5]
	v_div_scale_f64 v[10:11], null, v[8:9], v[8:9], v[6:7]
	s_delay_alu instid0(VALU_DEP_1) | instskip(SKIP_1) | instid1(TRANS32_DEP_1)
	v_rcp_f64_e32 v[12:13], v[10:11]
	v_nop
	v_fma_f64 v[14:15], -v[10:11], v[12:13], 1.0
	s_delay_alu instid0(VALU_DEP_1) | instskip(NEXT) | instid1(VALU_DEP_1)
	v_fmac_f64_e32 v[12:13], v[12:13], v[14:15]
	v_fma_f64 v[14:15], -v[10:11], v[12:13], 1.0
	s_delay_alu instid0(VALU_DEP_1) | instskip(SKIP_1) | instid1(VALU_DEP_1)
	v_fmac_f64_e32 v[12:13], v[12:13], v[14:15]
	v_div_scale_f64 v[14:15], vcc_lo, v[6:7], v[8:9], v[6:7]
	v_mul_f64_e32 v[16:17], v[14:15], v[12:13]
	s_delay_alu instid0(VALU_DEP_1) | instskip(NEXT) | instid1(VALU_DEP_1)
	v_fma_f64 v[10:11], -v[10:11], v[16:17], v[14:15]
	v_div_fmas_f64 v[10:11], v[10:11], v[12:13], v[16:17]
	v_mov_b64_e32 v[16:17], 1.0
	s_delay_alu instid0(VALU_DEP_2)
	v_div_fixup_f64 v[12:13], v[10:11], v[8:9], v[6:7]
	v_mov_b64_e32 v[10:11], 0
	s_branch .LBB3_36
.LBB3_35:                               ;   in Loop: Header=BB3_36 Depth=1
	s_or_b32 exec_lo, exec_lo, s4
	v_sub_co_u32 v20, s4, v20, 1
	s_delay_alu instid0(VALU_DEP_3) | instskip(NEXT) | instid1(VALU_DEP_3)
	v_mov_b64_e32 v[18:19], v[8:9]
	v_mov_b64_e32 v[8:9], v[16:17]
	;; [unrolled: 1-line block ×4, first 2 shown]
	s_or_b32 s4, s5, s4
	s_delay_alu instid0(SALU_CYCLE_1) | instskip(NEXT) | instid1(SALU_CYCLE_1)
	s_and_b32 s4, exec_lo, s4
	s_or_b32 s3, s4, s3
	s_delay_alu instid0(SALU_CYCLE_1)
	s_and_not1_b32 exec_lo, exec_lo, s3
	s_cbranch_execz .LBB3_59
.LBB3_36:                               ; =>This Inner Loop Header: Depth=1
	s_delay_alu instid0(VALU_DEP_1) | instskip(SKIP_4) | instid1(VALU_DEP_2)
	v_add_f64_e32 v[10:11], 1.0, v[10:11]
	v_add_f64_e32 v[0:1], 1.0, v[0:1]
	;; [unrolled: 1-line block ×3, first 2 shown]
	s_mov_b32 s5, 0
	s_mov_b32 s4, exec_lo
	v_mul_f64_e32 v[14:15], v[10:11], v[0:1]
	s_delay_alu instid0(VALU_DEP_1) | instskip(SKIP_1) | instid1(VALU_DEP_2)
	v_mul_f64_e32 v[18:19], v[18:19], v[14:15]
	v_mul_f64_e32 v[14:15], v[16:17], v[14:15]
	v_fma_f64 v[16:17], v[8:9], v[4:5], -v[18:19]
	s_delay_alu instid0(VALU_DEP_2) | instskip(NEXT) | instid1(VALU_DEP_2)
	v_fma_f64 v[14:15], v[6:7], v[4:5], -v[14:15]
	v_cmpx_neq_f64_e32 0, v[16:17]
	s_cbranch_execz .LBB3_38
; %bb.37:                               ;   in Loop: Header=BB3_36 Depth=1
	s_delay_alu instid0(VALU_DEP_2) | instskip(SKIP_1) | instid1(VALU_DEP_2)
	v_div_scale_f64 v[18:19], null, v[16:17], v[16:17], v[14:15]
	v_div_scale_f64 v[26:27], vcc_lo, v[14:15], v[16:17], v[14:15]
	v_rcp_f64_e32 v[22:23], v[18:19]
	v_nop
	s_delay_alu instid0(TRANS32_DEP_1) | instskip(NEXT) | instid1(VALU_DEP_1)
	v_fma_f64 v[24:25], -v[18:19], v[22:23], 1.0
	v_fmac_f64_e32 v[22:23], v[22:23], v[24:25]
	s_delay_alu instid0(VALU_DEP_1) | instskip(NEXT) | instid1(VALU_DEP_1)
	v_fma_f64 v[24:25], -v[18:19], v[22:23], 1.0
	v_fmac_f64_e32 v[22:23], v[22:23], v[24:25]
	s_delay_alu instid0(VALU_DEP_1) | instskip(NEXT) | instid1(VALU_DEP_1)
	v_mul_f64_e32 v[24:25], v[26:27], v[22:23]
	v_fma_f64 v[18:19], -v[18:19], v[24:25], v[26:27]
	s_delay_alu instid0(VALU_DEP_1) | instskip(NEXT) | instid1(VALU_DEP_1)
	v_div_fmas_f64 v[18:19], v[18:19], v[22:23], v[24:25]
	v_div_fixup_f64 v[18:19], v[18:19], v[16:17], v[14:15]
	s_delay_alu instid0(VALU_DEP_1) | instskip(NEXT) | instid1(VALU_DEP_1)
	v_add_f64_e64 v[12:13], v[12:13], -v[18:19]
	v_div_scale_f64 v[22:23], null, v[18:19], v[18:19], v[12:13]
	s_delay_alu instid0(VALU_DEP_1) | instskip(SKIP_1) | instid1(TRANS32_DEP_1)
	v_rcp_f64_e32 v[24:25], v[22:23]
	v_nop
	v_fma_f64 v[26:27], -v[22:23], v[24:25], 1.0
	s_delay_alu instid0(VALU_DEP_1) | instskip(NEXT) | instid1(VALU_DEP_1)
	v_fmac_f64_e32 v[24:25], v[24:25], v[26:27]
	v_fma_f64 v[26:27], -v[22:23], v[24:25], 1.0
	s_delay_alu instid0(VALU_DEP_1) | instskip(SKIP_1) | instid1(VALU_DEP_1)
	v_fmac_f64_e32 v[24:25], v[24:25], v[26:27]
	v_div_scale_f64 v[26:27], vcc_lo, v[12:13], v[18:19], v[12:13]
	v_mul_f64_e32 v[28:29], v[26:27], v[24:25]
	s_delay_alu instid0(VALU_DEP_1) | instskip(NEXT) | instid1(VALU_DEP_1)
	v_fma_f64 v[22:23], -v[22:23], v[28:29], v[26:27]
	v_div_fmas_f64 v[22:23], v[22:23], v[24:25], v[28:29]
	s_delay_alu instid0(VALU_DEP_1) | instskip(NEXT) | instid1(VALU_DEP_1)
	v_div_fixup_f64 v[12:13], v[22:23], v[18:19], v[12:13]
	v_cmp_ge_f64_e64 s5, 0x3ca00000, |v[12:13]|
	v_mov_b64_e32 v[12:13], v[18:19]
	s_and_b32 s5, s5, exec_lo
.LBB3_38:                               ;   in Loop: Header=BB3_36 Depth=1
	s_or_b32 exec_lo, exec_lo, s4
	s_delay_alu instid0(SALU_CYCLE_1) | instskip(NEXT) | instid1(VALU_DEP_2)
	s_mov_b32 s4, exec_lo
	v_cmpx_lt_f64_e64 0x43300000, |v[14:15]|
	s_cbranch_execz .LBB3_35
; %bb.39:                               ;   in Loop: Header=BB3_36 Depth=1
	v_ldexp_f64 v[6:7], v[6:7], 0xffffffcc
	v_ldexp_f64 v[14:15], v[14:15], 0xffffffcc
	;; [unrolled: 1-line block ×4, first 2 shown]
	s_branch .LBB3_35
.LBB3_40:
	s_or_b32 exec_lo, exec_lo, s12
	s_and_saveexec_b32 s22, s11
	s_cbranch_execz .LBB3_42
.LBB3_41:
	v_dual_mov_b32 v0, v114 :: v_dual_mov_b32 v1, v115
	v_dual_mov_b32 v2, v112 :: v_dual_mov_b32 v3, v113
	v_mov_b32_e32 v4, 0
	s_get_pc_i64 s[0:1]
	s_add_nc_u64 s[0:1], s[0:1], _ZN12_GLOBAL__N_130_igam_helper_asymptotic_seriesIdEET_S1_S1_b@rel64+4
	s_delay_alu instid0(SALU_CYCLE_1)
	s_swap_pc_i64 s[30:31], s[0:1]
.LBB3_42:
	s_or_b32 exec_lo, exec_lo, s22
                                        ; implicit-def: $vgpr114_vgpr115
                                        ; implicit-def: $vgpr112_vgpr113
.LBB3_43:
	s_and_not1_saveexec_b32 s21, s21
	s_cbranch_execz .LBB3_45
; %bb.44:
	v_dual_mov_b32 v0, v114 :: v_dual_mov_b32 v1, v115
	v_dual_mov_b32 v2, v112 :: v_dual_mov_b32 v3, v113
	v_mov_b32_e32 v4, 0
	s_get_pc_i64 s[0:1]
	s_add_nc_u64 s[0:1], s[0:1], _ZN12_GLOBAL__N_130_igam_helper_asymptotic_seriesIdEET_S1_S1_b@rel64+4
	s_delay_alu instid0(SALU_CYCLE_1)
	s_swap_pc_i64 s[30:31], s[0:1]
.LBB3_45:
	s_or_b32 exec_lo, exec_lo, s21
.LBB3_46:
	s_delay_alu instid0(SALU_CYCLE_1)
	s_or_b32 exec_lo, exec_lo, s20
                                        ; implicit-def: $vgpr112_vgpr113
.LBB3_47:
	s_and_not1_saveexec_b32 s0, s19
	s_cbranch_execz .LBB3_51
; %bb.48:
	v_cmp_class_f64_e64 s2, v[112:113], 0x204
	v_mov_b64_e32 v[0:1], 1.0
	s_and_saveexec_b32 s1, s2
; %bb.49:
	v_mov_b64_e32 v[0:1], 0x7ff8000000000000
; %bb.50:
	s_or_b32 exec_lo, exec_lo, s1
.LBB3_51:
	s_delay_alu instid0(SALU_CYCLE_1)
	s_or_b32 exec_lo, exec_lo, s0
.LBB3_52:
	s_delay_alu instid0(SALU_CYCLE_1)
	s_or_b32 exec_lo, exec_lo, s18
                                        ; implicit-def: $vgpr112_vgpr113
.LBB3_53:
	s_and_not1_saveexec_b32 s0, s17
	s_cbranch_execz .LBB3_57
; %bb.54:
	v_mov_b64_e32 v[0:1], 0
	s_mov_b32 s1, exec_lo
	v_cmpx_nlt_f64_e32 0, v[112:113]
; %bb.55:
	v_mov_b64_e32 v[0:1], 0x7ff8000000000000
; %bb.56:
	s_or_b32 exec_lo, exec_lo, s1
.LBB3_57:
	s_delay_alu instid0(SALU_CYCLE_1)
	s_or_b32 exec_lo, exec_lo, s0
.LBB3_58:
	s_delay_alu instid0(SALU_CYCLE_1)
	s_or_b32 exec_lo, exec_lo, s16
	v_readlane_b32 s30, v40, 0
	v_readlane_b32 s31, v40, 1
	s_mov_b32 s32, s33
	s_or_saveexec_b32 s0, -1
	scratch_load_b32 v40, off, s33          ; 4-byte Folded Reload
	s_wait_xcnt 0x0
	s_mov_b32 exec_lo, s0
	s_mov_b32 s33, s23
	s_wait_loadcnt 0x0
	s_set_pc_i64 s[30:31]
.LBB3_59:
	s_or_b32 exec_lo, exec_lo, s3
	v_mul_f64_e32 v[0:1], v[2:3], v[12:13]
.LBB3_60:
	s_or_b32 exec_lo, exec_lo, s2
                                        ; implicit-def: $vgpr2_vgpr3
.LBB3_61:
	s_and_not1_saveexec_b32 s1, s1
	s_cbranch_execz .LBB3_67
; %bb.62:
	v_mov_b64_e32 v[0:1], 0
	s_and_saveexec_b32 s2, s0
	s_cbranch_execz .LBB3_66
; %bb.63:
	v_mov_b64_e32 v[6:7], 1.0
	v_mov_b64_e32 v[0:1], 1.0
	v_mov_b64_e32 v[4:5], v[114:115]
	v_mov_b32_e32 v8, 0x7cf
	s_mov_b32 s0, 0
.LBB3_64:                               ; =>This Inner Loop Header: Depth=1
	s_delay_alu instid0(VALU_DEP_2) | instskip(NEXT) | instid1(VALU_DEP_2)
	v_add_f64_e32 v[4:5], 1.0, v[4:5]
	v_sub_co_u32 v8, s3, v8, 1
	s_delay_alu instid0(VALU_DEP_2) | instskip(SKIP_1) | instid1(VALU_DEP_2)
	v_div_scale_f64 v[10:11], null, v[4:5], v[4:5], v[112:113]
	v_div_scale_f64 v[16:17], vcc_lo, v[112:113], v[4:5], v[112:113]
	v_rcp_f64_e32 v[12:13], v[10:11]
	v_nop
	s_delay_alu instid0(TRANS32_DEP_1) | instskip(NEXT) | instid1(VALU_DEP_1)
	v_fma_f64 v[14:15], -v[10:11], v[12:13], 1.0
	v_fmac_f64_e32 v[12:13], v[12:13], v[14:15]
	s_delay_alu instid0(VALU_DEP_1) | instskip(NEXT) | instid1(VALU_DEP_1)
	v_fma_f64 v[14:15], -v[10:11], v[12:13], 1.0
	v_fmac_f64_e32 v[12:13], v[12:13], v[14:15]
	s_delay_alu instid0(VALU_DEP_1) | instskip(NEXT) | instid1(VALU_DEP_1)
	v_mul_f64_e32 v[14:15], v[16:17], v[12:13]
	v_fma_f64 v[10:11], -v[10:11], v[14:15], v[16:17]
	s_delay_alu instid0(VALU_DEP_1) | instskip(NEXT) | instid1(VALU_DEP_1)
	v_div_fmas_f64 v[10:11], v[10:11], v[12:13], v[14:15]
	v_div_fixup_f64 v[10:11], v[10:11], v[4:5], v[112:113]
	s_delay_alu instid0(VALU_DEP_1) | instskip(SKIP_1) | instid1(VALU_DEP_2)
	v_fmac_f64_e32 v[0:1], v[6:7], v[10:11]
	v_mul_f64_e32 v[6:7], v[6:7], v[10:11]
	v_ldexp_f64 v[10:11], v[0:1], 0xffffffcb
	s_delay_alu instid0(VALU_DEP_1) | instskip(SKIP_1) | instid1(SALU_CYCLE_1)
	v_cmp_le_f64_e32 vcc_lo, v[6:7], v[10:11]
	s_or_b32 s3, vcc_lo, s3
	s_and_b32 s3, exec_lo, s3
	s_delay_alu instid0(SALU_CYCLE_1) | instskip(NEXT) | instid1(SALU_CYCLE_1)
	s_or_b32 s0, s3, s0
	s_and_not1_b32 exec_lo, exec_lo, s0
	s_cbranch_execnz .LBB3_64
; %bb.65:
	s_or_b32 exec_lo, exec_lo, s0
	v_mul_f64_e32 v[0:1], v[2:3], v[0:1]
	s_delay_alu instid0(VALU_DEP_1) | instskip(NEXT) | instid1(VALU_DEP_1)
	v_div_scale_f64 v[2:3], null, v[114:115], v[114:115], v[0:1]
	v_rcp_f64_e32 v[4:5], v[2:3]
	v_nop
	s_delay_alu instid0(TRANS32_DEP_1) | instskip(NEXT) | instid1(VALU_DEP_1)
	v_fma_f64 v[6:7], -v[2:3], v[4:5], 1.0
	v_fmac_f64_e32 v[4:5], v[4:5], v[6:7]
	s_delay_alu instid0(VALU_DEP_1) | instskip(NEXT) | instid1(VALU_DEP_1)
	v_fma_f64 v[6:7], -v[2:3], v[4:5], 1.0
	v_fmac_f64_e32 v[4:5], v[4:5], v[6:7]
	v_div_scale_f64 v[6:7], vcc_lo, v[0:1], v[114:115], v[0:1]
	s_delay_alu instid0(VALU_DEP_1) | instskip(NEXT) | instid1(VALU_DEP_1)
	v_mul_f64_e32 v[8:9], v[6:7], v[4:5]
	v_fma_f64 v[2:3], -v[2:3], v[8:9], v[6:7]
	s_delay_alu instid0(VALU_DEP_1) | instskip(NEXT) | instid1(VALU_DEP_1)
	v_div_fmas_f64 v[2:3], v[2:3], v[4:5], v[8:9]
	v_div_fixup_f64 v[0:1], v[2:3], v[114:115], v[0:1]
.LBB3_66:
	s_or_b32 exec_lo, exec_lo, s2
	s_delay_alu instid0(VALU_DEP_1)
	v_add_f64_e64 v[0:1], -v[0:1], 1.0
.LBB3_67:
	s_or_b32 exec_lo, exec_lo, s1
.LBB3_68:
	s_delay_alu instid0(SALU_CYCLE_1) | instskip(NEXT) | instid1(SALU_CYCLE_1)
	s_or_b32 exec_lo, exec_lo, s13
	s_and_not1_b32 s11, s11, exec_lo
	s_or_b32 exec_lo, exec_lo, s12
	s_and_saveexec_b32 s22, s11
	s_cbranch_execnz .LBB3_41
	s_branch .LBB3_42
.Lfunc_end3:
	.size	_ZN12_GLOBAL__N_112calc_igammacIdEET_S1_S1_, .Lfunc_end3-_ZN12_GLOBAL__N_112calc_igammacIdEET_S1_S1_
                                        ; -- End function
	.set .L_ZN12_GLOBAL__N_112calc_igammacIdEET_S1_S1_.num_vgpr, max(116, .L_ZN12_GLOBAL__N_120_igamc_helper_seriesIdEET_S1_S1_.num_vgpr, .L_ZN12_GLOBAL__N_116_igam_helper_facIdEET_S1_S1_.num_vgpr, .L_ZN12_GLOBAL__N_130_igam_helper_asymptotic_seriesIdEET_S1_S1_b.num_vgpr)
	.set .L_ZN12_GLOBAL__N_112calc_igammacIdEET_S1_S1_.num_agpr, max(0, .L_ZN12_GLOBAL__N_120_igamc_helper_seriesIdEET_S1_S1_.num_agpr, .L_ZN12_GLOBAL__N_116_igam_helper_facIdEET_S1_S1_.num_agpr, .L_ZN12_GLOBAL__N_130_igam_helper_asymptotic_seriesIdEET_S1_S1_b.num_agpr)
	.set .L_ZN12_GLOBAL__N_112calc_igammacIdEET_S1_S1_.numbered_sgpr, max(34, .L_ZN12_GLOBAL__N_120_igamc_helper_seriesIdEET_S1_S1_.numbered_sgpr, .L_ZN12_GLOBAL__N_116_igam_helper_facIdEET_S1_S1_.numbered_sgpr, .L_ZN12_GLOBAL__N_130_igam_helper_asymptotic_seriesIdEET_S1_S1_b.numbered_sgpr)
	.set .L_ZN12_GLOBAL__N_112calc_igammacIdEET_S1_S1_.num_named_barrier, max(0, .L_ZN12_GLOBAL__N_120_igamc_helper_seriesIdEET_S1_S1_.num_named_barrier, .L_ZN12_GLOBAL__N_116_igam_helper_facIdEET_S1_S1_.num_named_barrier, .L_ZN12_GLOBAL__N_130_igam_helper_asymptotic_seriesIdEET_S1_S1_b.num_named_barrier)
	.set .L_ZN12_GLOBAL__N_112calc_igammacIdEET_S1_S1_.private_seg_size, 16+max(.L_ZN12_GLOBAL__N_120_igamc_helper_seriesIdEET_S1_S1_.private_seg_size, .L_ZN12_GLOBAL__N_116_igam_helper_facIdEET_S1_S1_.private_seg_size, .L_ZN12_GLOBAL__N_130_igam_helper_asymptotic_seriesIdEET_S1_S1_b.private_seg_size)
	.set .L_ZN12_GLOBAL__N_112calc_igammacIdEET_S1_S1_.uses_vcc, or(1, .L_ZN12_GLOBAL__N_120_igamc_helper_seriesIdEET_S1_S1_.uses_vcc, .L_ZN12_GLOBAL__N_116_igam_helper_facIdEET_S1_S1_.uses_vcc, .L_ZN12_GLOBAL__N_130_igam_helper_asymptotic_seriesIdEET_S1_S1_b.uses_vcc)
	.set .L_ZN12_GLOBAL__N_112calc_igammacIdEET_S1_S1_.uses_flat_scratch, or(0, .L_ZN12_GLOBAL__N_120_igamc_helper_seriesIdEET_S1_S1_.uses_flat_scratch, .L_ZN12_GLOBAL__N_116_igam_helper_facIdEET_S1_S1_.uses_flat_scratch, .L_ZN12_GLOBAL__N_130_igam_helper_asymptotic_seriesIdEET_S1_S1_b.uses_flat_scratch)
	.set .L_ZN12_GLOBAL__N_112calc_igammacIdEET_S1_S1_.has_dyn_sized_stack, or(0, .L_ZN12_GLOBAL__N_120_igamc_helper_seriesIdEET_S1_S1_.has_dyn_sized_stack, .L_ZN12_GLOBAL__N_116_igam_helper_facIdEET_S1_S1_.has_dyn_sized_stack, .L_ZN12_GLOBAL__N_130_igam_helper_asymptotic_seriesIdEET_S1_S1_b.has_dyn_sized_stack)
	.set .L_ZN12_GLOBAL__N_112calc_igammacIdEET_S1_S1_.has_recursion, or(0, .L_ZN12_GLOBAL__N_120_igamc_helper_seriesIdEET_S1_S1_.has_recursion, .L_ZN12_GLOBAL__N_116_igam_helper_facIdEET_S1_S1_.has_recursion, .L_ZN12_GLOBAL__N_130_igam_helper_asymptotic_seriesIdEET_S1_S1_b.has_recursion)
	.set .L_ZN12_GLOBAL__N_112calc_igammacIdEET_S1_S1_.has_indirect_call, or(0, .L_ZN12_GLOBAL__N_120_igamc_helper_seriesIdEET_S1_S1_.has_indirect_call, .L_ZN12_GLOBAL__N_116_igam_helper_facIdEET_S1_S1_.has_indirect_call, .L_ZN12_GLOBAL__N_130_igam_helper_asymptotic_seriesIdEET_S1_S1_b.has_indirect_call)
	.section	.AMDGPU.csdata,"",@progbits
; Function info:
; codeLenInByte = 3772
; TotalNumSgprs: 36
; NumVgprs: 116
; ScratchSize: 224
; MemoryBound: 0
	.text
	.p2align	2                               ; -- Begin function _ZN12_GLOBAL__N_111calc_igammaIdEET_S1_S1_
	.type	_ZN12_GLOBAL__N_111calc_igammaIdEET_S1_S1_,@function
_ZN12_GLOBAL__N_111calc_igammaIdEET_S1_S1_: ; @_ZN12_GLOBAL__N_111calc_igammaIdEET_S1_S1_
; %bb.0:
	s_wait_loadcnt_dscnt 0x0
	s_wait_kmcnt 0x0
	s_mov_b32 s43, s33
	s_mov_b32 s33, s32
	s_or_saveexec_b32 s0, -1
	scratch_store_b32 off, v41, s33 offset:4 ; 4-byte Folded Spill
	s_wait_xcnt 0x0
	s_mov_b32 exec_lo, s0
	s_add_co_i32 s32, s32, 16
	scratch_store_b32 off, v40, s33         ; 4-byte Folded Spill
	v_writelane_b32 v41, s30, 0
	v_writelane_b32 v41, s31, 1
	v_dual_mov_b32 v117, v3 :: v_dual_mov_b32 v116, v2
	v_dual_mov_b32 v119, v1 :: v_dual_mov_b32 v118, v0
	s_delay_alu instid0(VALU_DEP_2) | instskip(NEXT) | instid1(VALU_DEP_2)
	v_max_num_f64_e32 v[0:1], v[116:117], v[116:117]
	v_max_num_f64_e32 v[2:3], v[118:119], v[118:119]
	s_delay_alu instid0(VALU_DEP_1) | instskip(NEXT) | instid1(VALU_DEP_1)
	v_min_num_f64_e32 v[0:1], v[2:3], v[0:1]
	v_cmp_ngt_f64_e32 vcc_lo, 0, v[0:1]
	v_mov_b64_e32 v[0:1], 0x7ff8000000000000
	s_wait_xcnt 0x0
	s_and_saveexec_b32 s24, vcc_lo
	s_cbranch_execz .LBB4_36
; %bb.1:
                                        ; implicit-def: $vgpr0_vgpr1
	s_mov_b32 s0, exec_lo
	v_cmpx_neq_f64_e32 0, v[118:119]
	s_xor_b32 s25, exec_lo, s0
	s_cbranch_execz .LBB4_31
; %bb.2:
	v_mov_b64_e32 v[0:1], 0
	s_mov_b32 s26, exec_lo
	v_cmpx_neq_f64_e32 0, v[116:117]
	s_cbranch_execz .LBB4_30
; %bb.3:
	v_cmp_neq_f64_e64 s0, 0x7ff00000, |v[116:117]|
                                        ; implicit-def: $vgpr0_vgpr1
	s_mov_b32 s2, exec_lo
	v_cmpx_neq_f64_e64 0x7ff00000, |v[118:119]|
	s_xor_b32 s27, exec_lo, s2
	s_cbranch_execz .LBB4_25
; %bb.4:
	v_mov_b64_e32 v[0:1], 1.0
	s_and_saveexec_b32 s28, s0
	s_cbranch_execz .LBB4_24
; %bb.5:
	v_add_f64_e64 v[0:1], v[116:117], -v[118:119]
	s_mov_b64 s[0:1], 0x3fd3333333333333
	s_delay_alu instid0(VALU_DEP_1) | instskip(NEXT) | instid1(VALU_DEP_2)
	v_and_b32_e32 v3, 0x7fffffff, v1
	v_mov_b32_e32 v2, v0
	s_delay_alu instid0(VALU_DEP_1) | instskip(SKIP_1) | instid1(VALU_DEP_2)
	v_div_scale_f64 v[4:5], null, v[118:119], v[118:119], v[2:3]
	v_div_scale_f64 v[2:3], vcc_lo, v[2:3], v[118:119], v[2:3]
	v_rcp_f64_e32 v[6:7], v[4:5]
	v_nop
	s_delay_alu instid0(TRANS32_DEP_1) | instskip(NEXT) | instid1(VALU_DEP_1)
	v_fma_f64 v[8:9], -v[4:5], v[6:7], 1.0
	v_fmac_f64_e32 v[6:7], v[6:7], v[8:9]
	s_delay_alu instid0(VALU_DEP_1) | instskip(NEXT) | instid1(VALU_DEP_1)
	v_fma_f64 v[8:9], -v[4:5], v[6:7], 1.0
	v_fmac_f64_e32 v[6:7], v[6:7], v[8:9]
	s_delay_alu instid0(VALU_DEP_1) | instskip(NEXT) | instid1(VALU_DEP_1)
	v_mul_f64_e32 v[8:9], v[2:3], v[6:7]
	v_fma_f64 v[2:3], -v[4:5], v[8:9], v[2:3]
	s_delay_alu instid0(VALU_DEP_1) | instskip(SKIP_1) | instid1(VALU_DEP_2)
	v_div_fmas_f64 v[2:3], v[2:3], v[6:7], v[8:9]
	v_cmp_ngt_f64_e32 vcc_lo, 0x40690000, v[118:119]
	v_div_fixup_f64 v[2:3], v[2:3], v[118:119], |v[0:1]|
                                        ; implicit-def: $vgpr0_vgpr1
	s_delay_alu instid0(VALU_DEP_1) | instskip(SKIP_2) | instid1(SALU_CYCLE_1)
	v_cmp_ngt_f64_e64 s0, s[0:1], v[2:3]
	v_cmp_nlt_f64_e64 s1, 0x40340000, v[118:119]
	s_or_b32 s0, vcc_lo, s0
	s_or_b32 s0, s0, s1
	s_delay_alu instid0(SALU_CYCLE_1) | instskip(NEXT) | instid1(SALU_CYCLE_1)
	s_and_saveexec_b32 s1, s0
	s_xor_b32 s29, exec_lo, s1
	s_cbranch_execz .LBB4_21
; %bb.6:
	s_mov_b32 s1, -1
	s_mov_b32 s40, 0
	s_mov_b32 s0, exec_lo
	v_cmpx_lt_f64_e32 0x40690000, v[118:119]
	s_cbranch_execz .LBB4_8
; %bb.7:
	v_cmp_gt_f64_e32 vcc_lo, 0x10000000, v[118:119]
	s_mov_b32 s40, exec_lo
	v_cndmask_b32_e64 v0, 0, 0x100, vcc_lo
	s_delay_alu instid0(VALU_DEP_1) | instskip(NEXT) | instid1(VALU_DEP_1)
	v_ldexp_f64 v[0:1], v[118:119], v0
	v_rsq_f64_e32 v[4:5], v[0:1]
	v_nop
	s_delay_alu instid0(TRANS32_DEP_1) | instskip(SKIP_1) | instid1(VALU_DEP_1)
	v_mul_f64_e32 v[6:7], v[0:1], v[4:5]
	v_mul_f64_e32 v[4:5], 0.5, v[4:5]
	v_fma_f64 v[8:9], -v[4:5], v[6:7], 0.5
	s_delay_alu instid0(VALU_DEP_1) | instskip(SKIP_1) | instid1(VALU_DEP_2)
	v_fmac_f64_e32 v[6:7], v[6:7], v[8:9]
	v_fmac_f64_e32 v[4:5], v[4:5], v[8:9]
	v_fma_f64 v[8:9], -v[6:7], v[6:7], v[0:1]
	s_delay_alu instid0(VALU_DEP_1) | instskip(NEXT) | instid1(VALU_DEP_1)
	v_fmac_f64_e32 v[6:7], v[8:9], v[4:5]
	v_fma_f64 v[8:9], -v[6:7], v[6:7], v[0:1]
	s_delay_alu instid0(VALU_DEP_1) | instskip(SKIP_2) | instid1(VALU_DEP_2)
	v_fmac_f64_e32 v[6:7], v[8:9], v[4:5]
	v_cndmask_b32_e64 v4, 0, 0xffffff80, vcc_lo
	v_cmp_class_f64_e64 vcc_lo, v[0:1], 0x260
	v_ldexp_f64 v[4:5], v[6:7], v4
	s_delay_alu instid0(VALU_DEP_1) | instskip(NEXT) | instid1(VALU_DEP_1)
	v_dual_cndmask_b32 v1, v5, v1 :: v_dual_cndmask_b32 v0, v4, v0
	v_div_scale_f64 v[4:5], null, v[0:1], v[0:1], 0x40120000
	s_delay_alu instid0(VALU_DEP_1) | instskip(SKIP_1) | instid1(TRANS32_DEP_1)
	v_rcp_f64_e32 v[6:7], v[4:5]
	v_nop
	v_fma_f64 v[8:9], -v[4:5], v[6:7], 1.0
	s_delay_alu instid0(VALU_DEP_1) | instskip(NEXT) | instid1(VALU_DEP_1)
	v_fmac_f64_e32 v[6:7], v[6:7], v[8:9]
	v_fma_f64 v[8:9], -v[4:5], v[6:7], 1.0
	s_delay_alu instid0(VALU_DEP_1) | instskip(SKIP_1) | instid1(VALU_DEP_1)
	v_fmac_f64_e32 v[6:7], v[6:7], v[8:9]
	v_div_scale_f64 v[8:9], vcc_lo, 0x40120000, v[0:1], 0x40120000
	v_mul_f64_e32 v[10:11], v[8:9], v[6:7]
	s_delay_alu instid0(VALU_DEP_1) | instskip(NEXT) | instid1(VALU_DEP_1)
	v_fma_f64 v[4:5], -v[4:5], v[10:11], v[8:9]
	v_div_fmas_f64 v[4:5], v[4:5], v[6:7], v[10:11]
	s_delay_alu instid0(VALU_DEP_1) | instskip(NEXT) | instid1(VALU_DEP_1)
	v_div_fixup_f64 v[0:1], v[4:5], v[0:1], 0x40120000
	v_cmp_nlt_f64_e32 vcc_lo, v[2:3], v[0:1]
	s_or_not1_b32 s1, vcc_lo, exec_lo
.LBB4_8:
	s_or_b32 exec_lo, exec_lo, s0
                                        ; implicit-def: $vgpr0_vgpr1
	s_and_saveexec_b32 s0, s1
	s_delay_alu instid0(SALU_CYCLE_1)
	s_xor_b32 s41, exec_lo, s0
	s_cbranch_execz .LBB4_18
; %bb.9:
	v_cmp_nlt_f64_e32 vcc_lo, 1.0, v[116:117]
	v_cmp_ngt_f64_e64 s0, v[116:117], v[118:119]
                                        ; implicit-def: $vgpr0_vgpr1
	s_or_b32 s0, vcc_lo, s0
	s_delay_alu instid0(SALU_CYCLE_1) | instskip(NEXT) | instid1(SALU_CYCLE_1)
	s_and_saveexec_b32 s1, s0
	s_xor_b32 s10, exec_lo, s1
	s_cbranch_execz .LBB4_15
; %bb.10:
	v_dual_mov_b32 v0, v118 :: v_dual_mov_b32 v1, v119
	v_dual_mov_b32 v2, v116 :: v_dual_mov_b32 v3, v117
	s_get_pc_i64 s[0:1]
	s_add_nc_u64 s[0:1], s[0:1], _ZN12_GLOBAL__N_116_igam_helper_facIdEET_S1_S1_@rel64+4
	s_delay_alu instid0(SALU_CYCLE_1) | instskip(SKIP_3) | instid1(VALU_DEP_2)
	s_swap_pc_i64 s[30:31], s[0:1]
	v_dual_mov_b32 v2, v0 :: v_dual_mov_b32 v3, v1
	v_mov_b64_e32 v[0:1], 0
	s_mov_b32 s0, exec_lo
	v_cmpx_neq_f64_e32 0, v[2:3]
	s_cbranch_execz .LBB4_14
; %bb.11:
	v_mov_b64_e32 v[6:7], 1.0
	v_mov_b64_e32 v[0:1], 1.0
	v_mov_b64_e32 v[4:5], v[118:119]
	v_mov_b32_e32 v8, 0x7cf
	s_mov_b32 s1, 0
.LBB4_12:                               ; =>This Inner Loop Header: Depth=1
	s_delay_alu instid0(VALU_DEP_2) | instskip(NEXT) | instid1(VALU_DEP_2)
	v_add_f64_e32 v[4:5], 1.0, v[4:5]
	v_sub_co_u32 v8, s2, v8, 1
	s_delay_alu instid0(VALU_DEP_2) | instskip(SKIP_1) | instid1(VALU_DEP_2)
	v_div_scale_f64 v[10:11], null, v[4:5], v[4:5], v[116:117]
	v_div_scale_f64 v[16:17], vcc_lo, v[116:117], v[4:5], v[116:117]
	v_rcp_f64_e32 v[12:13], v[10:11]
	v_nop
	s_delay_alu instid0(TRANS32_DEP_1) | instskip(NEXT) | instid1(VALU_DEP_1)
	v_fma_f64 v[14:15], -v[10:11], v[12:13], 1.0
	v_fmac_f64_e32 v[12:13], v[12:13], v[14:15]
	s_delay_alu instid0(VALU_DEP_1) | instskip(NEXT) | instid1(VALU_DEP_1)
	v_fma_f64 v[14:15], -v[10:11], v[12:13], 1.0
	v_fmac_f64_e32 v[12:13], v[12:13], v[14:15]
	s_delay_alu instid0(VALU_DEP_1) | instskip(NEXT) | instid1(VALU_DEP_1)
	v_mul_f64_e32 v[14:15], v[16:17], v[12:13]
	v_fma_f64 v[10:11], -v[10:11], v[14:15], v[16:17]
	s_delay_alu instid0(VALU_DEP_1) | instskip(NEXT) | instid1(VALU_DEP_1)
	v_div_fmas_f64 v[10:11], v[10:11], v[12:13], v[14:15]
	v_div_fixup_f64 v[10:11], v[10:11], v[4:5], v[116:117]
	s_delay_alu instid0(VALU_DEP_1) | instskip(SKIP_1) | instid1(VALU_DEP_2)
	v_fmac_f64_e32 v[0:1], v[6:7], v[10:11]
	v_mul_f64_e32 v[6:7], v[6:7], v[10:11]
	v_ldexp_f64 v[10:11], v[0:1], 0xffffffcb
	s_delay_alu instid0(VALU_DEP_1) | instskip(SKIP_1) | instid1(SALU_CYCLE_1)
	v_cmp_le_f64_e32 vcc_lo, v[6:7], v[10:11]
	s_or_b32 s2, vcc_lo, s2
	s_and_b32 s2, exec_lo, s2
	s_delay_alu instid0(SALU_CYCLE_1) | instskip(NEXT) | instid1(SALU_CYCLE_1)
	s_or_b32 s1, s2, s1
	s_and_not1_b32 exec_lo, exec_lo, s1
	s_cbranch_execnz .LBB4_12
; %bb.13:
	s_or_b32 exec_lo, exec_lo, s1
	v_mul_f64_e32 v[0:1], v[2:3], v[0:1]
	s_delay_alu instid0(VALU_DEP_1) | instskip(NEXT) | instid1(VALU_DEP_1)
	v_div_scale_f64 v[2:3], null, v[118:119], v[118:119], v[0:1]
	v_rcp_f64_e32 v[4:5], v[2:3]
	v_nop
	s_delay_alu instid0(TRANS32_DEP_1) | instskip(NEXT) | instid1(VALU_DEP_1)
	v_fma_f64 v[6:7], -v[2:3], v[4:5], 1.0
	v_fmac_f64_e32 v[4:5], v[4:5], v[6:7]
	s_delay_alu instid0(VALU_DEP_1) | instskip(NEXT) | instid1(VALU_DEP_1)
	v_fma_f64 v[6:7], -v[2:3], v[4:5], 1.0
	v_fmac_f64_e32 v[4:5], v[4:5], v[6:7]
	v_div_scale_f64 v[6:7], vcc_lo, v[0:1], v[118:119], v[0:1]
	s_delay_alu instid0(VALU_DEP_1) | instskip(NEXT) | instid1(VALU_DEP_1)
	v_mul_f64_e32 v[8:9], v[6:7], v[4:5]
	v_fma_f64 v[2:3], -v[2:3], v[8:9], v[6:7]
	s_delay_alu instid0(VALU_DEP_1) | instskip(NEXT) | instid1(VALU_DEP_1)
	v_div_fmas_f64 v[2:3], v[2:3], v[4:5], v[8:9]
	v_div_fixup_f64 v[0:1], v[2:3], v[118:119], v[0:1]
.LBB4_14:
	s_or_b32 exec_lo, exec_lo, s0
.LBB4_15:
	s_and_not1_saveexec_b32 s42, s10
	s_cbranch_execz .LBB4_17
; %bb.16:
	v_dual_mov_b32 v0, v118 :: v_dual_mov_b32 v1, v119
	v_dual_mov_b32 v2, v116 :: v_dual_mov_b32 v3, v117
	s_get_pc_i64 s[0:1]
	s_add_nc_u64 s[0:1], s[0:1], _ZN12_GLOBAL__N_112calc_igammacIdEET_S1_S1_@rel64+4
	s_delay_alu instid0(SALU_CYCLE_1)
	s_swap_pc_i64 s[30:31], s[0:1]
	v_add_f64_e64 v[0:1], -v[0:1], 1.0
.LBB4_17:
	s_or_b32 exec_lo, exec_lo, s42
	s_delay_alu instid0(SALU_CYCLE_1)
	s_and_not1_b32 s40, s40, exec_lo
	s_or_b32 exec_lo, exec_lo, s41
	s_and_saveexec_b32 s16, s40
	s_cbranch_execnz .LBB4_19
	s_branch .LBB4_20
.LBB4_18:
	s_or_b32 exec_lo, exec_lo, s41
	s_and_saveexec_b32 s16, s40
	s_cbranch_execz .LBB4_20
.LBB4_19:
	v_dual_mov_b32 v0, v118 :: v_dual_mov_b32 v1, v119
	v_dual_mov_b32 v2, v116 :: v_dual_mov_b32 v3, v117
	v_mov_b32_e32 v4, 1
	s_get_pc_i64 s[0:1]
	s_add_nc_u64 s[0:1], s[0:1], _ZN12_GLOBAL__N_130_igam_helper_asymptotic_seriesIdEET_S1_S1_b@rel64+4
	s_delay_alu instid0(SALU_CYCLE_1)
	s_swap_pc_i64 s[30:31], s[0:1]
.LBB4_20:
	s_or_b32 exec_lo, exec_lo, s16
                                        ; implicit-def: $vgpr118_vgpr119
                                        ; implicit-def: $vgpr116_vgpr117
.LBB4_21:
	s_and_not1_saveexec_b32 s16, s29
	s_cbranch_execz .LBB4_23
; %bb.22:
	v_dual_mov_b32 v0, v118 :: v_dual_mov_b32 v1, v119
	v_dual_mov_b32 v2, v116 :: v_dual_mov_b32 v3, v117
	v_mov_b32_e32 v4, 1
	s_get_pc_i64 s[0:1]
	s_add_nc_u64 s[0:1], s[0:1], _ZN12_GLOBAL__N_130_igam_helper_asymptotic_seriesIdEET_S1_S1_b@rel64+4
	s_delay_alu instid0(SALU_CYCLE_1)
	s_swap_pc_i64 s[30:31], s[0:1]
.LBB4_23:
	s_or_b32 exec_lo, exec_lo, s16
.LBB4_24:
	s_delay_alu instid0(SALU_CYCLE_1)
	s_or_b32 exec_lo, exec_lo, s28
                                        ; implicit-def: $vgpr116_vgpr117
.LBB4_25:
	s_and_not1_saveexec_b32 s0, s27
	s_cbranch_execz .LBB4_29
; %bb.26:
	v_cmp_class_f64_e64 s2, v[116:117], 0x204
	v_mov_b64_e32 v[0:1], 0
	s_and_saveexec_b32 s1, s2
; %bb.27:
	v_mov_b64_e32 v[0:1], 0x7ff8000000000000
; %bb.28:
	s_or_b32 exec_lo, exec_lo, s1
.LBB4_29:
	s_delay_alu instid0(SALU_CYCLE_1)
	s_or_b32 exec_lo, exec_lo, s0
.LBB4_30:
	s_delay_alu instid0(SALU_CYCLE_1)
	s_or_b32 exec_lo, exec_lo, s26
                                        ; implicit-def: $vgpr116_vgpr117
.LBB4_31:
	s_and_not1_saveexec_b32 s0, s25
	s_cbranch_execz .LBB4_35
; %bb.32:
	v_mov_b64_e32 v[0:1], 1.0
	s_mov_b32 s1, exec_lo
	v_cmpx_nlt_f64_e32 0, v[116:117]
; %bb.33:
	v_mov_b64_e32 v[0:1], 0x7ff8000000000000
; %bb.34:
	s_or_b32 exec_lo, exec_lo, s1
.LBB4_35:
	s_delay_alu instid0(SALU_CYCLE_1)
	s_or_b32 exec_lo, exec_lo, s0
.LBB4_36:
	s_delay_alu instid0(SALU_CYCLE_1)
	s_or_b32 exec_lo, exec_lo, s24
	scratch_load_b32 v40, off, s33          ; 4-byte Folded Reload
	v_readlane_b32 s30, v41, 0
	v_readlane_b32 s31, v41, 1
	s_mov_b32 s32, s33
	s_wait_xcnt 0x0
	s_or_saveexec_b32 s0, -1
	scratch_load_b32 v41, off, s33 offset:4 ; 4-byte Folded Reload
	s_wait_xcnt 0x0
	s_mov_b32 exec_lo, s0
	s_mov_b32 s33, s43
	s_wait_loadcnt 0x0
	s_set_pc_i64 s[30:31]
.Lfunc_end4:
	.size	_ZN12_GLOBAL__N_111calc_igammaIdEET_S1_S1_, .Lfunc_end4-_ZN12_GLOBAL__N_111calc_igammaIdEET_S1_S1_
                                        ; -- End function
	.set .L_ZN12_GLOBAL__N_111calc_igammaIdEET_S1_S1_.num_vgpr, max(120, .L_ZN12_GLOBAL__N_116_igam_helper_facIdEET_S1_S1_.num_vgpr, .L_ZN12_GLOBAL__N_112calc_igammacIdEET_S1_S1_.num_vgpr, .L_ZN12_GLOBAL__N_130_igam_helper_asymptotic_seriesIdEET_S1_S1_b.num_vgpr)
	.set .L_ZN12_GLOBAL__N_111calc_igammaIdEET_S1_S1_.num_agpr, max(0, .L_ZN12_GLOBAL__N_116_igam_helper_facIdEET_S1_S1_.num_agpr, .L_ZN12_GLOBAL__N_112calc_igammacIdEET_S1_S1_.num_agpr, .L_ZN12_GLOBAL__N_130_igam_helper_asymptotic_seriesIdEET_S1_S1_b.num_agpr)
	.set .L_ZN12_GLOBAL__N_111calc_igammaIdEET_S1_S1_.numbered_sgpr, max(44, .L_ZN12_GLOBAL__N_116_igam_helper_facIdEET_S1_S1_.numbered_sgpr, .L_ZN12_GLOBAL__N_112calc_igammacIdEET_S1_S1_.numbered_sgpr, .L_ZN12_GLOBAL__N_130_igam_helper_asymptotic_seriesIdEET_S1_S1_b.numbered_sgpr)
	.set .L_ZN12_GLOBAL__N_111calc_igammaIdEET_S1_S1_.num_named_barrier, max(0, .L_ZN12_GLOBAL__N_116_igam_helper_facIdEET_S1_S1_.num_named_barrier, .L_ZN12_GLOBAL__N_112calc_igammacIdEET_S1_S1_.num_named_barrier, .L_ZN12_GLOBAL__N_130_igam_helper_asymptotic_seriesIdEET_S1_S1_b.num_named_barrier)
	.set .L_ZN12_GLOBAL__N_111calc_igammaIdEET_S1_S1_.private_seg_size, 16+max(.L_ZN12_GLOBAL__N_116_igam_helper_facIdEET_S1_S1_.private_seg_size, .L_ZN12_GLOBAL__N_112calc_igammacIdEET_S1_S1_.private_seg_size, .L_ZN12_GLOBAL__N_130_igam_helper_asymptotic_seriesIdEET_S1_S1_b.private_seg_size)
	.set .L_ZN12_GLOBAL__N_111calc_igammaIdEET_S1_S1_.uses_vcc, or(1, .L_ZN12_GLOBAL__N_116_igam_helper_facIdEET_S1_S1_.uses_vcc, .L_ZN12_GLOBAL__N_112calc_igammacIdEET_S1_S1_.uses_vcc, .L_ZN12_GLOBAL__N_130_igam_helper_asymptotic_seriesIdEET_S1_S1_b.uses_vcc)
	.set .L_ZN12_GLOBAL__N_111calc_igammaIdEET_S1_S1_.uses_flat_scratch, or(0, .L_ZN12_GLOBAL__N_116_igam_helper_facIdEET_S1_S1_.uses_flat_scratch, .L_ZN12_GLOBAL__N_112calc_igammacIdEET_S1_S1_.uses_flat_scratch, .L_ZN12_GLOBAL__N_130_igam_helper_asymptotic_seriesIdEET_S1_S1_b.uses_flat_scratch)
	.set .L_ZN12_GLOBAL__N_111calc_igammaIdEET_S1_S1_.has_dyn_sized_stack, or(0, .L_ZN12_GLOBAL__N_116_igam_helper_facIdEET_S1_S1_.has_dyn_sized_stack, .L_ZN12_GLOBAL__N_112calc_igammacIdEET_S1_S1_.has_dyn_sized_stack, .L_ZN12_GLOBAL__N_130_igam_helper_asymptotic_seriesIdEET_S1_S1_b.has_dyn_sized_stack)
	.set .L_ZN12_GLOBAL__N_111calc_igammaIdEET_S1_S1_.has_recursion, or(0, .L_ZN12_GLOBAL__N_116_igam_helper_facIdEET_S1_S1_.has_recursion, .L_ZN12_GLOBAL__N_112calc_igammacIdEET_S1_S1_.has_recursion, .L_ZN12_GLOBAL__N_130_igam_helper_asymptotic_seriesIdEET_S1_S1_b.has_recursion)
	.set .L_ZN12_GLOBAL__N_111calc_igammaIdEET_S1_S1_.has_indirect_call, or(0, .L_ZN12_GLOBAL__N_116_igam_helper_facIdEET_S1_S1_.has_indirect_call, .L_ZN12_GLOBAL__N_112calc_igammacIdEET_S1_S1_.has_indirect_call, .L_ZN12_GLOBAL__N_130_igam_helper_asymptotic_seriesIdEET_S1_S1_b.has_indirect_call)
	.section	.AMDGPU.csdata,"",@progbits
; Function info:
; codeLenInByte = 1504
; TotalNumSgprs: 46
; NumVgprs: 120
; ScratchSize: 240
; MemoryBound: 0
	.section	.text._ZN2at6native29vectorized_elementwise_kernelILi16EN12_GLOBAL__N_110CalcIgammaIdEESt5arrayIPcLm3EEEEviT0_T1_,"axG",@progbits,_ZN2at6native29vectorized_elementwise_kernelILi16EN12_GLOBAL__N_110CalcIgammaIdEESt5arrayIPcLm3EEEEviT0_T1_,comdat
	.globl	_ZN2at6native29vectorized_elementwise_kernelILi16EN12_GLOBAL__N_110CalcIgammaIdEESt5arrayIPcLm3EEEEviT0_T1_ ; -- Begin function _ZN2at6native29vectorized_elementwise_kernelILi16EN12_GLOBAL__N_110CalcIgammaIdEESt5arrayIPcLm3EEEEviT0_T1_
	.p2align	8
	.type	_ZN2at6native29vectorized_elementwise_kernelILi16EN12_GLOBAL__N_110CalcIgammaIdEESt5arrayIPcLm3EEEEviT0_T1_,@function
_ZN2at6native29vectorized_elementwise_kernelILi16EN12_GLOBAL__N_110CalcIgammaIdEESt5arrayIPcLm3EEEEviT0_T1_: ; @_ZN2at6native29vectorized_elementwise_kernelILi16EN12_GLOBAL__N_110CalcIgammaIdEESt5arrayIPcLm3EEEEviT0_T1_
; %bb.0:
	s_load_b64 s[4:5], s[0:1], 0x4
	s_load_b64 s[6:7], s[2:3], 0x0
	v_and_b32_e32 v88, 0x3ff, v0
	v_bfe_u32 v2, v0, 10, 10
	v_bfe_u32 v0, v0, 20, 10
	s_clause 0x1
	s_load_b128 s[36:39], s[2:3], 0x8
	s_load_b64 s[46:47], s[2:3], 0x18
	s_wait_xcnt 0x0
	s_and_b32 s1, ttmp6, 15
	s_getreg_b32 s2, hwreg(HW_REG_IB_STS2, 6, 4)
	s_mov_b32 s32, 0
	s_wait_kmcnt 0x0
	s_lshr_b32 s0, s4, 16
	v_mul_u32_u24_e32 v2, s5, v2
	s_mul_i32 s0, s0, s5
	s_delay_alu instid0(SALU_CYCLE_1) | instskip(SKIP_1) | instid1(SALU_CYCLE_1)
	v_mul_lo_u32 v1, s0, v88
	s_and_b32 s0, s7, 1
	v_mov_b32_e32 v3, s0
	s_bfe_u32 s0, ttmp6, 0x4000c
	s_delay_alu instid0(SALU_CYCLE_1) | instskip(NEXT) | instid1(SALU_CYCLE_1)
	s_add_co_i32 s0, s0, 1
	s_mul_i32 s0, ttmp9, s0
	s_delay_alu instid0(SALU_CYCLE_1) | instskip(NEXT) | instid1(VALU_DEP_2)
	s_add_co_i32 s1, s1, s0
	v_add3_u32 v46, v1, v2, v0
	s_cmp_eq_u32 s2, 0
	s_cselect_b32 s0, ttmp9, s1
	s_delay_alu instid0(SALU_CYCLE_1)
	s_lshl_b32 s44, s0, 10
	ds_store_b8 v46, v3
	ds_load_u8 v0, v46
	s_sub_co_i32 s48, s6, s44
	s_mov_b32 s0, -1
	s_cmp_gt_i32 s48, 0x3ff
	s_wait_dscnt 0x0
	v_and_b32_e32 v0, 1, v0
	s_delay_alu instid0(VALU_DEP_1)
	v_cmp_eq_u32_e32 vcc_lo, 1, v0
	ds_store_b8 v46, v0 offset:256
	v_cndmask_b32_e64 v47, 0, 1, vcc_lo
	s_cbranch_scc0 .LBB5_18
; %bb.1:
	s_ashr_i32 s45, s44, 31
	v_lshlrev_b32_e32 v89, 5, v88
	s_lshl_b64 s[34:35], s[44:45], 3
                                        ; implicit-def: $vgpr42_vgpr43
	s_delay_alu instid0(SALU_CYCLE_1)
	s_add_nc_u64 s[0:1], s[38:39], s[34:35]
	s_add_nc_u64 s[2:3], s[46:47], s[34:35]
	s_clause 0x3
	global_load_b128 v[60:63], v89, s[0:1] offset:16
	global_load_b128 v[76:79], v89, s[0:1]
	global_load_b128 v[56:59], v89, s[2:3] offset:16
	global_load_b128 v[72:75], v89, s[2:3]
	ds_store_b8 v46, v47 offset:512
	ds_load_u8 v0, v46 offset:512
	s_wait_dscnt 0x0
	v_and_b32_e32 v0, 1, v0
	s_delay_alu instid0(VALU_DEP_1) | instskip(SKIP_3) | instid1(SALU_CYCLE_1)
	v_cmp_eq_u32_e32 vcc_lo, 1, v0
	s_xor_b32 s45, vcc_lo, -1
	s_wait_xcnt 0x0
	s_and_saveexec_b32 s0, s45
	s_xor_b32 s49, exec_lo, s0
	s_cbranch_execz .LBB5_5
; %bb.2:
	s_wait_loadcnt 0x2
	v_dual_mov_b32 v0, v76 :: v_dual_mov_b32 v1, v77
	s_wait_loadcnt 0x0
	v_dual_mov_b32 v2, v72 :: v_dual_mov_b32 v3, v73
	s_get_pc_i64 s[0:1]
	s_add_nc_u64 s[0:1], s[0:1], _ZN12_GLOBAL__N_111calc_igammaIdEET_S1_S1_@rel64+4
	s_delay_alu instid0(SALU_CYCLE_1)
	s_swap_pc_i64 s[30:31], s[0:1]
	v_dual_mov_b32 v42, v0 :: v_dual_mov_b32 v43, v1
	s_and_not1_saveexec_b32 s24, s49
	s_cbranch_execnz .LBB5_6
.LBB5_3:
	s_or_b32 exec_lo, exec_lo, s24
	s_and_saveexec_b32 s0, s45
	s_delay_alu instid0(SALU_CYCLE_1)
	s_xor_b32 s49, exec_lo, s0
	s_cbranch_execz .LBB5_7
.LBB5_4:
	s_wait_loadcnt 0x2
	v_dual_mov_b32 v0, v78 :: v_dual_mov_b32 v1, v79
	s_wait_loadcnt 0x0
	v_dual_mov_b32 v2, v74 :: v_dual_mov_b32 v3, v75
	s_get_pc_i64 s[0:1]
	s_add_nc_u64 s[0:1], s[0:1], _ZN12_GLOBAL__N_111calc_igammaIdEET_S1_S1_@rel64+4
	s_delay_alu instid0(SALU_CYCLE_1)
	s_swap_pc_i64 s[30:31], s[0:1]
	v_dual_mov_b32 v44, v0 :: v_dual_mov_b32 v45, v1
                                        ; implicit-def: $vgpr76_vgpr77_vgpr78_vgpr79
                                        ; implicit-def: $vgpr72_vgpr73_vgpr74_vgpr75
	s_and_not1_saveexec_b32 s24, s49
	s_cbranch_execz .LBB5_9
	s_branch .LBB5_8
.LBB5_5:
	s_and_not1_saveexec_b32 s24, s49
	s_cbranch_execz .LBB5_3
.LBB5_6:
	s_wait_loadcnt 0x2
	v_dual_mov_b32 v0, v76 :: v_dual_mov_b32 v1, v77
	s_wait_loadcnt 0x0
	v_dual_mov_b32 v2, v72 :: v_dual_mov_b32 v3, v73
	s_get_pc_i64 s[0:1]
	s_add_nc_u64 s[0:1], s[0:1], _ZN12_GLOBAL__N_112calc_igammacIdEET_S1_S1_@rel64+4
	s_delay_alu instid0(SALU_CYCLE_1) | instskip(SKIP_3) | instid1(SALU_CYCLE_1)
	s_swap_pc_i64 s[30:31], s[0:1]
	v_dual_mov_b32 v42, v0 :: v_dual_mov_b32 v43, v1
	s_or_b32 exec_lo, exec_lo, s24
	s_and_saveexec_b32 s0, s45
	s_xor_b32 s49, exec_lo, s0
	s_cbranch_execnz .LBB5_4
.LBB5_7:
	s_and_not1_saveexec_b32 s24, s49
	s_cbranch_execz .LBB5_9
.LBB5_8:
	s_wait_loadcnt 0x2
	v_dual_mov_b32 v0, v78 :: v_dual_mov_b32 v1, v79
	s_wait_loadcnt 0x0
	v_dual_mov_b32 v2, v74 :: v_dual_mov_b32 v3, v75
	s_get_pc_i64 s[0:1]
	s_add_nc_u64 s[0:1], s[0:1], _ZN12_GLOBAL__N_112calc_igammacIdEET_S1_S1_@rel64+4
	s_delay_alu instid0(SALU_CYCLE_1)
	s_swap_pc_i64 s[30:31], s[0:1]
	v_dual_mov_b32 v44, v0 :: v_dual_mov_b32 v45, v1
.LBB5_9:
	s_or_b32 exec_lo, exec_lo, s24
                                        ; implicit-def: $vgpr72_vgpr73
	s_and_saveexec_b32 s0, s45
	s_delay_alu instid0(SALU_CYCLE_1)
	s_xor_b32 s49, exec_lo, s0
	s_cbranch_execz .LBB5_13
; %bb.10:
	s_wait_loadcnt 0x3
	v_dual_mov_b32 v0, v60 :: v_dual_mov_b32 v1, v61
	s_wait_loadcnt 0x1
	v_dual_mov_b32 v2, v56 :: v_dual_mov_b32 v3, v57
	s_get_pc_i64 s[0:1]
	s_add_nc_u64 s[0:1], s[0:1], _ZN12_GLOBAL__N_111calc_igammaIdEET_S1_S1_@rel64+4
	s_delay_alu instid0(SALU_CYCLE_1)
	s_swap_pc_i64 s[30:31], s[0:1]
	v_dual_mov_b32 v72, v0 :: v_dual_mov_b32 v73, v1
	s_and_not1_saveexec_b32 s24, s49
	s_cbranch_execnz .LBB5_14
.LBB5_11:
	s_or_b32 exec_lo, exec_lo, s24
	s_and_saveexec_b32 s0, s45
	s_delay_alu instid0(SALU_CYCLE_1)
	s_xor_b32 s45, exec_lo, s0
	s_cbranch_execz .LBB5_15
.LBB5_12:
	s_wait_loadcnt 0x3
	v_dual_mov_b32 v0, v62 :: v_dual_mov_b32 v1, v63
	s_wait_loadcnt 0x1
	v_dual_mov_b32 v2, v58 :: v_dual_mov_b32 v3, v59
	s_get_pc_i64 s[0:1]
	s_add_nc_u64 s[0:1], s[0:1], _ZN12_GLOBAL__N_111calc_igammaIdEET_S1_S1_@rel64+4
	s_delay_alu instid0(SALU_CYCLE_1)
	s_swap_pc_i64 s[30:31], s[0:1]
	v_dual_mov_b32 v74, v0 :: v_dual_mov_b32 v75, v1
                                        ; implicit-def: $vgpr60_vgpr61_vgpr62_vgpr63
                                        ; implicit-def: $vgpr56_vgpr57_vgpr58_vgpr59
	s_and_not1_saveexec_b32 s24, s45
	s_cbranch_execnz .LBB5_16
	s_branch .LBB5_17
.LBB5_13:
	s_and_not1_saveexec_b32 s24, s49
	s_cbranch_execz .LBB5_11
.LBB5_14:
	s_wait_loadcnt 0x3
	v_dual_mov_b32 v0, v60 :: v_dual_mov_b32 v1, v61
	s_wait_loadcnt 0x1
	v_dual_mov_b32 v2, v56 :: v_dual_mov_b32 v3, v57
	s_get_pc_i64 s[0:1]
	s_add_nc_u64 s[0:1], s[0:1], _ZN12_GLOBAL__N_112calc_igammacIdEET_S1_S1_@rel64+4
	s_delay_alu instid0(SALU_CYCLE_1) | instskip(SKIP_3) | instid1(SALU_CYCLE_1)
	s_swap_pc_i64 s[30:31], s[0:1]
	v_dual_mov_b32 v72, v0 :: v_dual_mov_b32 v73, v1
	s_or_b32 exec_lo, exec_lo, s24
	s_and_saveexec_b32 s0, s45
	s_xor_b32 s45, exec_lo, s0
	s_cbranch_execnz .LBB5_12
.LBB5_15:
	s_and_not1_saveexec_b32 s24, s45
	s_cbranch_execz .LBB5_17
.LBB5_16:
	s_wait_loadcnt 0x3
	v_dual_mov_b32 v0, v62 :: v_dual_mov_b32 v1, v63
	s_wait_loadcnt 0x1
	v_dual_mov_b32 v2, v58 :: v_dual_mov_b32 v3, v59
	s_get_pc_i64 s[0:1]
	s_add_nc_u64 s[0:1], s[0:1], _ZN12_GLOBAL__N_112calc_igammacIdEET_S1_S1_@rel64+4
	s_delay_alu instid0(SALU_CYCLE_1)
	s_swap_pc_i64 s[30:31], s[0:1]
	v_dual_mov_b32 v74, v0 :: v_dual_mov_b32 v75, v1
.LBB5_17:
	s_or_b32 exec_lo, exec_lo, s24
	s_add_nc_u64 s[2:3], s[36:37], s[34:35]
	s_mov_b32 s0, 0
	global_store_b128 v89, v[42:45], s[2:3]
	s_wait_loadcnt 0x0
	global_store_b128 v89, v[72:75], s[2:3] offset:16
.LBB5_18:
	s_and_b32 vcc_lo, exec_lo, s0
	s_cbranch_vccz .LBB5_55
; %bb.19:
	v_mov_b64_e32 v[62:63], 0
	v_mov_b64_e32 v[0:1], 0
	v_mov_b64_e32 v[2:3], 0
	v_cmp_gt_i32_e64 s34, s48, v88
	s_wait_xcnt 0x0
	v_dual_mov_b32 v4, v88 :: v_dual_bitop2_b32 v74, s44, v88 bitop3:0x54
	v_add_nc_u32_e32 v75, 0x100, v88
	ds_store_b8 v46, v47 offset:768
	s_and_saveexec_b32 s0, s34
	s_cbranch_execz .LBB5_21
; %bb.20:
	s_clause 0x1
	global_load_b64 v[0:1], v74, s[38:39] scale_offset
	global_load_b64 v[2:3], v74, s[46:47] scale_offset
	v_add_nc_u32_e32 v4, 0x100, v88
.LBB5_21:
	s_wait_xcnt 0x0
	s_or_b32 exec_lo, exec_lo, s0
	v_mov_b64_e32 v[72:73], 0
	s_mov_b32 s0, exec_lo
	v_cmpx_gt_i32_e64 s48, v4
	s_cbranch_execz .LBB5_23
; %bb.22:
	v_add_nc_u32_e32 v5, s44, v4
	v_add_nc_u32_e32 v4, 0x100, v4
	s_clause 0x1
	global_load_b64 v[62:63], v5, s[38:39] scale_offset
	global_load_b64 v[72:73], v5, s[46:47] scale_offset
.LBB5_23:
	s_wait_xcnt 0x0
	s_or_b32 exec_lo, exec_lo, s0
	v_mov_b64_e32 v[42:43], 0
	v_mov_b64_e32 v[58:59], 0
	v_mov_b64_e32 v[56:57], 0
	s_mov_b32 s0, exec_lo
	v_cmpx_gt_i32_e64 s48, v4
	s_cbranch_execz .LBB5_25
; %bb.24:
	v_add_nc_u32_e32 v5, s44, v4
	v_add_nc_u32_e32 v4, 0x100, v4
	s_clause 0x1
	global_load_b64 v[58:59], v5, s[38:39] scale_offset
	global_load_b64 v[56:57], v5, s[46:47] scale_offset
.LBB5_25:
	s_wait_xcnt 0x0
	s_or_b32 exec_lo, exec_lo, s0
	v_mov_b64_e32 v[44:45], 0
	s_mov_b32 s0, exec_lo
	v_cmpx_gt_i32_e64 s48, v4
	s_cbranch_execz .LBB5_27
; %bb.26:
	v_add_nc_u32_e32 v4, s44, v4
	s_clause 0x1
	global_load_b64 v[42:43], v4, s[38:39] scale_offset
	global_load_b64 v[44:45], v4, s[46:47] scale_offset
.LBB5_27:
	s_wait_xcnt 0x0
	s_or_b32 exec_lo, exec_lo, s0
	ds_load_u8 v4, v46 offset:768
                                        ; implicit-def: $vgpr46_vgpr47
	s_wait_dscnt 0x0
	v_and_b32_e32 v4, 1, v4
	s_delay_alu instid0(VALU_DEP_1)
	v_cmp_eq_u32_e32 vcc_lo, 1, v4
	s_xor_b32 s35, vcc_lo, -1
	s_and_saveexec_b32 s38, s34
	s_cbranch_execz .LBB5_33
; %bb.28:
                                        ; implicit-def: $vgpr46_vgpr47
	s_and_saveexec_b32 s0, s35
	s_delay_alu instid0(SALU_CYCLE_1)
	s_xor_b32 s39, exec_lo, s0
	s_cbranch_execz .LBB5_30
; %bb.29:
	s_get_pc_i64 s[0:1]
	s_add_nc_u64 s[0:1], s[0:1], _ZN12_GLOBAL__N_111calc_igammaIdEET_S1_S1_@rel64+4
	s_delay_alu instid0(SALU_CYCLE_1)
	s_swap_pc_i64 s[30:31], s[0:1]
	v_dual_mov_b32 v46, v0 :: v_dual_mov_b32 v47, v1
                                        ; implicit-def: $vgpr0_vgpr1
                                        ; implicit-def: $vgpr2_vgpr3
.LBB5_30:
	s_and_not1_saveexec_b32 s24, s39
	s_cbranch_execz .LBB5_32
; %bb.31:
	s_get_pc_i64 s[0:1]
	s_add_nc_u64 s[0:1], s[0:1], _ZN12_GLOBAL__N_112calc_igammacIdEET_S1_S1_@rel64+4
	s_delay_alu instid0(SALU_CYCLE_1)
	s_swap_pc_i64 s[30:31], s[0:1]
	v_dual_mov_b32 v46, v0 :: v_dual_mov_b32 v47, v1
.LBB5_32:
	s_or_b32 exec_lo, exec_lo, s24
.LBB5_33:
	s_delay_alu instid0(SALU_CYCLE_1) | instskip(NEXT) | instid1(SALU_CYCLE_1)
	s_or_b32 exec_lo, exec_lo, s38
	s_mov_b32 s38, exec_lo
                                        ; implicit-def: $vgpr60_vgpr61
	v_cmpx_gt_i32_e64 s48, v75
	s_cbranch_execz .LBB5_39
; %bb.34:
                                        ; implicit-def: $vgpr60_vgpr61
	s_and_saveexec_b32 s0, s35
	s_delay_alu instid0(SALU_CYCLE_1)
	s_xor_b32 s39, exec_lo, s0
	s_cbranch_execz .LBB5_36
; %bb.35:
	s_wait_loadcnt 0x1
	v_dual_mov_b32 v0, v62 :: v_dual_mov_b32 v1, v63
	s_wait_loadcnt 0x0
	v_dual_mov_b32 v2, v72 :: v_dual_mov_b32 v3, v73
	s_get_pc_i64 s[0:1]
	s_add_nc_u64 s[0:1], s[0:1], _ZN12_GLOBAL__N_111calc_igammaIdEET_S1_S1_@rel64+4
	s_delay_alu instid0(SALU_CYCLE_1)
	s_swap_pc_i64 s[30:31], s[0:1]
	v_dual_mov_b32 v60, v0 :: v_dual_mov_b32 v61, v1
                                        ; implicit-def: $vgpr62_vgpr63
                                        ; implicit-def: $vgpr72_vgpr73
.LBB5_36:
	s_and_not1_saveexec_b32 s24, s39
	s_cbranch_execz .LBB5_38
; %bb.37:
	s_wait_loadcnt 0x1
	v_dual_mov_b32 v0, v62 :: v_dual_mov_b32 v1, v63
	s_wait_loadcnt 0x0
	v_dual_mov_b32 v2, v72 :: v_dual_mov_b32 v3, v73
	s_get_pc_i64 s[0:1]
	s_add_nc_u64 s[0:1], s[0:1], _ZN12_GLOBAL__N_112calc_igammacIdEET_S1_S1_@rel64+4
	s_delay_alu instid0(SALU_CYCLE_1)
	s_swap_pc_i64 s[30:31], s[0:1]
	v_dual_mov_b32 v60, v0 :: v_dual_mov_b32 v61, v1
.LBB5_38:
	s_or_b32 exec_lo, exec_lo, s24
.LBB5_39:
	s_delay_alu instid0(SALU_CYCLE_1) | instskip(SKIP_3) | instid1(VALU_DEP_1)
	s_or_b32 exec_lo, exec_lo, s38
	s_wait_loadcnt 0x1
	v_add_nc_u32_e32 v0, 0x200, v88
	s_mov_b32 s38, exec_lo
                                        ; implicit-def: $vgpr62_vgpr63
	v_cmpx_gt_i32_e64 s48, v0
	s_cbranch_execz .LBB5_45
; %bb.40:
                                        ; implicit-def: $vgpr62_vgpr63
	s_and_saveexec_b32 s0, s35
	s_delay_alu instid0(SALU_CYCLE_1)
	s_xor_b32 s39, exec_lo, s0
	s_cbranch_execz .LBB5_42
; %bb.41:
	v_dual_mov_b32 v0, v58 :: v_dual_mov_b32 v1, v59
	s_wait_loadcnt 0x0
	v_dual_mov_b32 v2, v56 :: v_dual_mov_b32 v3, v57
	s_get_pc_i64 s[0:1]
	s_add_nc_u64 s[0:1], s[0:1], _ZN12_GLOBAL__N_111calc_igammaIdEET_S1_S1_@rel64+4
	s_delay_alu instid0(SALU_CYCLE_1)
	s_swap_pc_i64 s[30:31], s[0:1]
	v_dual_mov_b32 v62, v0 :: v_dual_mov_b32 v63, v1
                                        ; implicit-def: $vgpr58_vgpr59
                                        ; implicit-def: $vgpr56_vgpr57
.LBB5_42:
	s_and_not1_saveexec_b32 s24, s39
	s_cbranch_execz .LBB5_44
; %bb.43:
	v_dual_mov_b32 v0, v58 :: v_dual_mov_b32 v1, v59
	s_wait_loadcnt 0x0
	v_dual_mov_b32 v2, v56 :: v_dual_mov_b32 v3, v57
	s_get_pc_i64 s[0:1]
	s_add_nc_u64 s[0:1], s[0:1], _ZN12_GLOBAL__N_112calc_igammacIdEET_S1_S1_@rel64+4
	s_delay_alu instid0(SALU_CYCLE_1)
	s_swap_pc_i64 s[30:31], s[0:1]
	v_dual_mov_b32 v62, v0 :: v_dual_mov_b32 v63, v1
.LBB5_44:
	s_or_b32 exec_lo, exec_lo, s24
.LBB5_45:
	s_delay_alu instid0(SALU_CYCLE_1) | instskip(SKIP_1) | instid1(VALU_DEP_1)
	s_or_b32 exec_lo, exec_lo, s38
	v_add_nc_u32_e32 v0, 0x300, v88
	v_cmp_gt_i32_e32 vcc_lo, s48, v0
                                        ; implicit-def: $vgpr0_vgpr1
	s_and_saveexec_b32 s38, vcc_lo
	s_cbranch_execz .LBB5_56
; %bb.46:
                                        ; implicit-def: $vgpr0_vgpr1
	s_and_saveexec_b32 s0, s35
	s_delay_alu instid0(SALU_CYCLE_1)
	s_xor_b32 s35, exec_lo, s0
	s_cbranch_execz .LBB5_48
; %bb.47:
	v_dual_mov_b32 v0, v42 :: v_dual_mov_b32 v1, v43
	s_wait_loadcnt 0x0
	v_dual_mov_b32 v2, v44 :: v_dual_mov_b32 v3, v45
	s_get_pc_i64 s[0:1]
	s_add_nc_u64 s[0:1], s[0:1], _ZN12_GLOBAL__N_111calc_igammaIdEET_S1_S1_@rel64+4
	s_delay_alu instid0(SALU_CYCLE_1)
	s_swap_pc_i64 s[30:31], s[0:1]
                                        ; implicit-def: $vgpr42_vgpr43
                                        ; implicit-def: $vgpr44_vgpr45
.LBB5_48:
	s_and_not1_saveexec_b32 s24, s35
	s_cbranch_execz .LBB5_50
; %bb.49:
	v_dual_mov_b32 v0, v42 :: v_dual_mov_b32 v1, v43
	s_wait_loadcnt 0x0
	v_dual_mov_b32 v2, v44 :: v_dual_mov_b32 v3, v45
	s_get_pc_i64 s[0:1]
	s_add_nc_u64 s[0:1], s[0:1], _ZN12_GLOBAL__N_112calc_igammacIdEET_S1_S1_@rel64+4
	s_delay_alu instid0(SALU_CYCLE_1)
	s_swap_pc_i64 s[30:31], s[0:1]
.LBB5_50:
	s_or_b32 exec_lo, exec_lo, s24
	s_delay_alu instid0(SALU_CYCLE_1) | instskip(SKIP_1) | instid1(SALU_CYCLE_1)
	s_or_b32 exec_lo, exec_lo, s38
	s_and_saveexec_b32 s0, s34
	s_xor_b32 s0, exec_lo, s0
	s_cbranch_execnz .LBB5_57
.LBB5_51:
	s_or_b32 exec_lo, exec_lo, s0
	s_delay_alu instid0(SALU_CYCLE_1)
	s_mov_b32 s0, exec_lo
	v_cmpx_gt_i32_e64 s48, v88
	s_cbranch_execz .LBB5_58
.LBB5_52:
	s_wait_loadcnt 0x0
	v_add_nc_u32_e32 v2, s44, v88
	v_add_nc_u32_e32 v88, 0x100, v88
	global_store_b64 v2, v[60:61], s[36:37] scale_offset
	s_wait_xcnt 0x0
	s_or_b32 exec_lo, exec_lo, s0
	s_delay_alu instid0(SALU_CYCLE_1)
	s_mov_b32 s0, exec_lo
	v_cmpx_gt_i32_e64 s48, v88
	s_cbranch_execnz .LBB5_59
.LBB5_53:
	s_or_b32 exec_lo, exec_lo, s0
	s_delay_alu instid0(SALU_CYCLE_1)
	s_mov_b32 s0, exec_lo
	v_cmpx_gt_i32_e64 s48, v88
	s_cbranch_execz .LBB5_55
.LBB5_54:
	s_wait_loadcnt 0x0
	v_add_nc_u32_e32 v2, s44, v88
	global_store_b64 v2, v[0:1], s[36:37] scale_offset
.LBB5_55:
	s_endpgm
.LBB5_56:
	s_or_b32 exec_lo, exec_lo, s38
	s_and_saveexec_b32 s0, s34
	s_delay_alu instid0(SALU_CYCLE_1)
	s_xor_b32 s0, exec_lo, s0
	s_cbranch_execz .LBB5_51
.LBB5_57:
	v_mov_b32_e32 v88, v75
	global_store_b64 v74, v[46:47], s[36:37] scale_offset
	s_wait_xcnt 0x0
	s_or_b32 exec_lo, exec_lo, s0
	s_delay_alu instid0(SALU_CYCLE_1)
	s_mov_b32 s0, exec_lo
	v_cmpx_gt_i32_e64 s48, v88
	s_cbranch_execnz .LBB5_52
.LBB5_58:
	s_or_b32 exec_lo, exec_lo, s0
	s_delay_alu instid0(SALU_CYCLE_1)
	s_mov_b32 s0, exec_lo
	v_cmpx_gt_i32_e64 s48, v88
	s_cbranch_execz .LBB5_53
.LBB5_59:
	s_wait_loadcnt 0x0
	v_add_nc_u32_e32 v2, s44, v88
	v_add_nc_u32_e32 v88, 0x100, v88
	global_store_b64 v2, v[62:63], s[36:37] scale_offset
	s_wait_xcnt 0x0
	s_or_b32 exec_lo, exec_lo, s0
	s_delay_alu instid0(SALU_CYCLE_1)
	s_mov_b32 s0, exec_lo
	v_cmpx_gt_i32_e64 s48, v88
	s_cbranch_execnz .LBB5_54
	s_branch .LBB5_55
	.section	.rodata,"a",@progbits
	.p2align	6, 0x0
	.amdhsa_kernel _ZN2at6native29vectorized_elementwise_kernelILi16EN12_GLOBAL__N_110CalcIgammaIdEESt5arrayIPcLm3EEEEviT0_T1_
		.amdhsa_group_segment_fixed_size 1024
		.amdhsa_private_segment_fixed_size 240
		.amdhsa_kernarg_size 32
		.amdhsa_user_sgpr_count 4
		.amdhsa_user_sgpr_dispatch_ptr 1
		.amdhsa_user_sgpr_queue_ptr 0
		.amdhsa_user_sgpr_kernarg_segment_ptr 1
		.amdhsa_user_sgpr_dispatch_id 0
		.amdhsa_user_sgpr_kernarg_preload_length 0
		.amdhsa_user_sgpr_kernarg_preload_offset 0
		.amdhsa_user_sgpr_private_segment_size 0
		.amdhsa_wavefront_size32 1
		.amdhsa_uses_dynamic_stack 0
		.amdhsa_enable_private_segment 1
		.amdhsa_system_sgpr_workgroup_id_x 1
		.amdhsa_system_sgpr_workgroup_id_y 0
		.amdhsa_system_sgpr_workgroup_id_z 0
		.amdhsa_system_sgpr_workgroup_info 0
		.amdhsa_system_vgpr_workitem_id 2
		.amdhsa_next_free_vgpr 120
		.amdhsa_next_free_sgpr 50
		.amdhsa_named_barrier_count 0
		.amdhsa_reserve_vcc 1
		.amdhsa_float_round_mode_32 0
		.amdhsa_float_round_mode_16_64 0
		.amdhsa_float_denorm_mode_32 3
		.amdhsa_float_denorm_mode_16_64 3
		.amdhsa_fp16_overflow 0
		.amdhsa_memory_ordered 1
		.amdhsa_forward_progress 1
		.amdhsa_inst_pref_size 18
		.amdhsa_round_robin_scheduling 0
		.amdhsa_exception_fp_ieee_invalid_op 0
		.amdhsa_exception_fp_denorm_src 0
		.amdhsa_exception_fp_ieee_div_zero 0
		.amdhsa_exception_fp_ieee_overflow 0
		.amdhsa_exception_fp_ieee_underflow 0
		.amdhsa_exception_fp_ieee_inexact 0
		.amdhsa_exception_int_div_zero 0
	.end_amdhsa_kernel
	.section	.text._ZN2at6native29vectorized_elementwise_kernelILi16EN12_GLOBAL__N_110CalcIgammaIdEESt5arrayIPcLm3EEEEviT0_T1_,"axG",@progbits,_ZN2at6native29vectorized_elementwise_kernelILi16EN12_GLOBAL__N_110CalcIgammaIdEESt5arrayIPcLm3EEEEviT0_T1_,comdat
.Lfunc_end5:
	.size	_ZN2at6native29vectorized_elementwise_kernelILi16EN12_GLOBAL__N_110CalcIgammaIdEESt5arrayIPcLm3EEEEviT0_T1_, .Lfunc_end5-_ZN2at6native29vectorized_elementwise_kernelILi16EN12_GLOBAL__N_110CalcIgammaIdEESt5arrayIPcLm3EEEEviT0_T1_
                                        ; -- End function
	.set _ZN2at6native29vectorized_elementwise_kernelILi16EN12_GLOBAL__N_110CalcIgammaIdEESt5arrayIPcLm3EEEEviT0_T1_.num_vgpr, max(90, .L_ZN12_GLOBAL__N_111calc_igammaIdEET_S1_S1_.num_vgpr, .L_ZN12_GLOBAL__N_112calc_igammacIdEET_S1_S1_.num_vgpr)
	.set _ZN2at6native29vectorized_elementwise_kernelILi16EN12_GLOBAL__N_110CalcIgammaIdEESt5arrayIPcLm3EEEEviT0_T1_.num_agpr, max(0, .L_ZN12_GLOBAL__N_111calc_igammaIdEET_S1_S1_.num_agpr, .L_ZN12_GLOBAL__N_112calc_igammacIdEET_S1_S1_.num_agpr)
	.set _ZN2at6native29vectorized_elementwise_kernelILi16EN12_GLOBAL__N_110CalcIgammaIdEESt5arrayIPcLm3EEEEviT0_T1_.numbered_sgpr, max(50, .L_ZN12_GLOBAL__N_111calc_igammaIdEET_S1_S1_.numbered_sgpr, .L_ZN12_GLOBAL__N_112calc_igammacIdEET_S1_S1_.numbered_sgpr)
	.set _ZN2at6native29vectorized_elementwise_kernelILi16EN12_GLOBAL__N_110CalcIgammaIdEESt5arrayIPcLm3EEEEviT0_T1_.num_named_barrier, max(0, .L_ZN12_GLOBAL__N_111calc_igammaIdEET_S1_S1_.num_named_barrier, .L_ZN12_GLOBAL__N_112calc_igammacIdEET_S1_S1_.num_named_barrier)
	.set _ZN2at6native29vectorized_elementwise_kernelILi16EN12_GLOBAL__N_110CalcIgammaIdEESt5arrayIPcLm3EEEEviT0_T1_.private_seg_size, 0+max(.L_ZN12_GLOBAL__N_111calc_igammaIdEET_S1_S1_.private_seg_size, .L_ZN12_GLOBAL__N_112calc_igammacIdEET_S1_S1_.private_seg_size)
	.set _ZN2at6native29vectorized_elementwise_kernelILi16EN12_GLOBAL__N_110CalcIgammaIdEESt5arrayIPcLm3EEEEviT0_T1_.uses_vcc, or(1, .L_ZN12_GLOBAL__N_111calc_igammaIdEET_S1_S1_.uses_vcc, .L_ZN12_GLOBAL__N_112calc_igammacIdEET_S1_S1_.uses_vcc)
	.set _ZN2at6native29vectorized_elementwise_kernelILi16EN12_GLOBAL__N_110CalcIgammaIdEESt5arrayIPcLm3EEEEviT0_T1_.uses_flat_scratch, or(0, .L_ZN12_GLOBAL__N_111calc_igammaIdEET_S1_S1_.uses_flat_scratch, .L_ZN12_GLOBAL__N_112calc_igammacIdEET_S1_S1_.uses_flat_scratch)
	.set _ZN2at6native29vectorized_elementwise_kernelILi16EN12_GLOBAL__N_110CalcIgammaIdEESt5arrayIPcLm3EEEEviT0_T1_.has_dyn_sized_stack, or(0, .L_ZN12_GLOBAL__N_111calc_igammaIdEET_S1_S1_.has_dyn_sized_stack, .L_ZN12_GLOBAL__N_112calc_igammacIdEET_S1_S1_.has_dyn_sized_stack)
	.set _ZN2at6native29vectorized_elementwise_kernelILi16EN12_GLOBAL__N_110CalcIgammaIdEESt5arrayIPcLm3EEEEviT0_T1_.has_recursion, or(0, .L_ZN12_GLOBAL__N_111calc_igammaIdEET_S1_S1_.has_recursion, .L_ZN12_GLOBAL__N_112calc_igammacIdEET_S1_S1_.has_recursion)
	.set _ZN2at6native29vectorized_elementwise_kernelILi16EN12_GLOBAL__N_110CalcIgammaIdEESt5arrayIPcLm3EEEEviT0_T1_.has_indirect_call, or(0, .L_ZN12_GLOBAL__N_111calc_igammaIdEET_S1_S1_.has_indirect_call, .L_ZN12_GLOBAL__N_112calc_igammacIdEET_S1_S1_.has_indirect_call)
	.section	.AMDGPU.csdata,"",@progbits
; Kernel info:
; codeLenInByte = 2228
; TotalNumSgprs: 52
; NumVgprs: 120
; ScratchSize: 240
; MemoryBound: 1
; FloatMode: 240
; IeeeMode: 1
; LDSByteSize: 1024 bytes/workgroup (compile time only)
; SGPRBlocks: 0
; VGPRBlocks: 7
; NumSGPRsForWavesPerEU: 52
; NumVGPRsForWavesPerEU: 120
; NamedBarCnt: 0
; Occupancy: 8
; WaveLimiterHint : 0
; COMPUTE_PGM_RSRC2:SCRATCH_EN: 1
; COMPUTE_PGM_RSRC2:USER_SGPR: 4
; COMPUTE_PGM_RSRC2:TRAP_HANDLER: 0
; COMPUTE_PGM_RSRC2:TGID_X_EN: 1
; COMPUTE_PGM_RSRC2:TGID_Y_EN: 0
; COMPUTE_PGM_RSRC2:TGID_Z_EN: 0
; COMPUTE_PGM_RSRC2:TIDIG_COMP_CNT: 2
	.section	.text._ZN2at6native29vectorized_elementwise_kernelILi8EN12_GLOBAL__N_110CalcIgammaIdEESt5arrayIPcLm3EEEEviT0_T1_,"axG",@progbits,_ZN2at6native29vectorized_elementwise_kernelILi8EN12_GLOBAL__N_110CalcIgammaIdEESt5arrayIPcLm3EEEEviT0_T1_,comdat
	.globl	_ZN2at6native29vectorized_elementwise_kernelILi8EN12_GLOBAL__N_110CalcIgammaIdEESt5arrayIPcLm3EEEEviT0_T1_ ; -- Begin function _ZN2at6native29vectorized_elementwise_kernelILi8EN12_GLOBAL__N_110CalcIgammaIdEESt5arrayIPcLm3EEEEviT0_T1_
	.p2align	8
	.type	_ZN2at6native29vectorized_elementwise_kernelILi8EN12_GLOBAL__N_110CalcIgammaIdEESt5arrayIPcLm3EEEEviT0_T1_,@function
_ZN2at6native29vectorized_elementwise_kernelILi8EN12_GLOBAL__N_110CalcIgammaIdEESt5arrayIPcLm3EEEEviT0_T1_: ; @_ZN2at6native29vectorized_elementwise_kernelILi8EN12_GLOBAL__N_110CalcIgammaIdEESt5arrayIPcLm3EEEEviT0_T1_
; %bb.0:
	s_load_b64 s[4:5], s[0:1], 0x4
	s_load_b64 s[6:7], s[2:3], 0x0
	v_and_b32_e32 v88, 0x3ff, v0
	v_bfe_u32 v2, v0, 10, 10
	v_bfe_u32 v0, v0, 20, 10
	s_clause 0x1
	s_load_b128 s[36:39], s[2:3], 0x8
	s_load_b64 s[46:47], s[2:3], 0x18
	s_wait_xcnt 0x0
	s_and_b32 s1, ttmp6, 15
	s_getreg_b32 s2, hwreg(HW_REG_IB_STS2, 6, 4)
	s_mov_b32 s32, 0
	s_wait_kmcnt 0x0
	s_lshr_b32 s0, s4, 16
	v_mul_u32_u24_e32 v2, s5, v2
	s_mul_i32 s0, s0, s5
	s_delay_alu instid0(SALU_CYCLE_1) | instskip(SKIP_1) | instid1(SALU_CYCLE_1)
	v_mul_lo_u32 v1, s0, v88
	s_and_b32 s0, s7, 1
	v_mov_b32_e32 v3, s0
	s_bfe_u32 s0, ttmp6, 0x4000c
	s_delay_alu instid0(SALU_CYCLE_1) | instskip(NEXT) | instid1(SALU_CYCLE_1)
	s_add_co_i32 s0, s0, 1
	s_mul_i32 s0, ttmp9, s0
	s_delay_alu instid0(SALU_CYCLE_1) | instskip(NEXT) | instid1(VALU_DEP_2)
	s_add_co_i32 s1, s1, s0
	v_add3_u32 v46, v1, v2, v0
	s_cmp_eq_u32 s2, 0
	s_cselect_b32 s0, ttmp9, s1
	s_delay_alu instid0(SALU_CYCLE_1)
	s_lshl_b32 s44, s0, 10
	ds_store_b8 v46, v3
	ds_load_u8 v0, v46
	s_sub_co_i32 s48, s6, s44
	s_mov_b32 s0, -1
	s_cmp_gt_i32 s48, 0x3ff
	s_wait_dscnt 0x0
	v_and_b32_e32 v0, 1, v0
	s_delay_alu instid0(VALU_DEP_1)
	v_cmp_eq_u32_e32 vcc_lo, 1, v0
	ds_store_b8 v46, v0 offset:256
	v_cndmask_b32_e64 v47, 0, 1, vcc_lo
	s_cbranch_scc0 .LBB6_18
; %bb.1:
	s_ashr_i32 s45, s44, 31
	v_lshlrev_b32_e32 v89, 5, v88
	s_lshl_b64 s[34:35], s[44:45], 3
                                        ; implicit-def: $vgpr42_vgpr43
	s_delay_alu instid0(SALU_CYCLE_1)
	s_add_nc_u64 s[0:1], s[38:39], s[34:35]
	s_add_nc_u64 s[2:3], s[46:47], s[34:35]
	s_clause 0x3
	global_load_b128 v[60:63], v89, s[0:1] offset:16
	global_load_b128 v[76:79], v89, s[0:1]
	global_load_b128 v[56:59], v89, s[2:3] offset:16
	global_load_b128 v[72:75], v89, s[2:3]
	ds_store_b8 v46, v47 offset:512
	ds_load_u8 v0, v46 offset:512
	s_wait_dscnt 0x0
	v_and_b32_e32 v0, 1, v0
	s_delay_alu instid0(VALU_DEP_1) | instskip(SKIP_3) | instid1(SALU_CYCLE_1)
	v_cmp_eq_u32_e32 vcc_lo, 1, v0
	s_xor_b32 s45, vcc_lo, -1
	s_wait_xcnt 0x0
	s_and_saveexec_b32 s0, s45
	s_xor_b32 s49, exec_lo, s0
	s_cbranch_execz .LBB6_5
; %bb.2:
	s_wait_loadcnt 0x2
	v_dual_mov_b32 v0, v76 :: v_dual_mov_b32 v1, v77
	s_wait_loadcnt 0x0
	v_dual_mov_b32 v2, v72 :: v_dual_mov_b32 v3, v73
	s_get_pc_i64 s[0:1]
	s_add_nc_u64 s[0:1], s[0:1], _ZN12_GLOBAL__N_111calc_igammaIdEET_S1_S1_@rel64+4
	s_delay_alu instid0(SALU_CYCLE_1)
	s_swap_pc_i64 s[30:31], s[0:1]
	v_dual_mov_b32 v42, v0 :: v_dual_mov_b32 v43, v1
	s_and_not1_saveexec_b32 s24, s49
	s_cbranch_execnz .LBB6_6
.LBB6_3:
	s_or_b32 exec_lo, exec_lo, s24
	s_and_saveexec_b32 s0, s45
	s_delay_alu instid0(SALU_CYCLE_1)
	s_xor_b32 s49, exec_lo, s0
	s_cbranch_execz .LBB6_7
.LBB6_4:
	s_wait_loadcnt 0x2
	v_dual_mov_b32 v0, v78 :: v_dual_mov_b32 v1, v79
	s_wait_loadcnt 0x0
	v_dual_mov_b32 v2, v74 :: v_dual_mov_b32 v3, v75
	s_get_pc_i64 s[0:1]
	s_add_nc_u64 s[0:1], s[0:1], _ZN12_GLOBAL__N_111calc_igammaIdEET_S1_S1_@rel64+4
	s_delay_alu instid0(SALU_CYCLE_1)
	s_swap_pc_i64 s[30:31], s[0:1]
	v_dual_mov_b32 v44, v0 :: v_dual_mov_b32 v45, v1
                                        ; implicit-def: $vgpr76_vgpr77_vgpr78_vgpr79
                                        ; implicit-def: $vgpr72_vgpr73_vgpr74_vgpr75
	s_and_not1_saveexec_b32 s24, s49
	s_cbranch_execz .LBB6_9
	s_branch .LBB6_8
.LBB6_5:
	s_and_not1_saveexec_b32 s24, s49
	s_cbranch_execz .LBB6_3
.LBB6_6:
	s_wait_loadcnt 0x2
	v_dual_mov_b32 v0, v76 :: v_dual_mov_b32 v1, v77
	s_wait_loadcnt 0x0
	v_dual_mov_b32 v2, v72 :: v_dual_mov_b32 v3, v73
	s_get_pc_i64 s[0:1]
	s_add_nc_u64 s[0:1], s[0:1], _ZN12_GLOBAL__N_112calc_igammacIdEET_S1_S1_@rel64+4
	s_delay_alu instid0(SALU_CYCLE_1) | instskip(SKIP_3) | instid1(SALU_CYCLE_1)
	s_swap_pc_i64 s[30:31], s[0:1]
	v_dual_mov_b32 v42, v0 :: v_dual_mov_b32 v43, v1
	s_or_b32 exec_lo, exec_lo, s24
	s_and_saveexec_b32 s0, s45
	s_xor_b32 s49, exec_lo, s0
	s_cbranch_execnz .LBB6_4
.LBB6_7:
	s_and_not1_saveexec_b32 s24, s49
	s_cbranch_execz .LBB6_9
.LBB6_8:
	s_wait_loadcnt 0x2
	v_dual_mov_b32 v0, v78 :: v_dual_mov_b32 v1, v79
	s_wait_loadcnt 0x0
	v_dual_mov_b32 v2, v74 :: v_dual_mov_b32 v3, v75
	s_get_pc_i64 s[0:1]
	s_add_nc_u64 s[0:1], s[0:1], _ZN12_GLOBAL__N_112calc_igammacIdEET_S1_S1_@rel64+4
	s_delay_alu instid0(SALU_CYCLE_1)
	s_swap_pc_i64 s[30:31], s[0:1]
	v_dual_mov_b32 v44, v0 :: v_dual_mov_b32 v45, v1
.LBB6_9:
	s_or_b32 exec_lo, exec_lo, s24
                                        ; implicit-def: $vgpr72_vgpr73
	s_and_saveexec_b32 s0, s45
	s_delay_alu instid0(SALU_CYCLE_1)
	s_xor_b32 s49, exec_lo, s0
	s_cbranch_execz .LBB6_13
; %bb.10:
	s_wait_loadcnt 0x3
	v_dual_mov_b32 v0, v60 :: v_dual_mov_b32 v1, v61
	s_wait_loadcnt 0x1
	v_dual_mov_b32 v2, v56 :: v_dual_mov_b32 v3, v57
	s_get_pc_i64 s[0:1]
	s_add_nc_u64 s[0:1], s[0:1], _ZN12_GLOBAL__N_111calc_igammaIdEET_S1_S1_@rel64+4
	s_delay_alu instid0(SALU_CYCLE_1)
	s_swap_pc_i64 s[30:31], s[0:1]
	v_dual_mov_b32 v72, v0 :: v_dual_mov_b32 v73, v1
	s_and_not1_saveexec_b32 s24, s49
	s_cbranch_execnz .LBB6_14
.LBB6_11:
	s_or_b32 exec_lo, exec_lo, s24
	s_and_saveexec_b32 s0, s45
	s_delay_alu instid0(SALU_CYCLE_1)
	s_xor_b32 s45, exec_lo, s0
	s_cbranch_execz .LBB6_15
.LBB6_12:
	s_wait_loadcnt 0x3
	v_dual_mov_b32 v0, v62 :: v_dual_mov_b32 v1, v63
	s_wait_loadcnt 0x1
	v_dual_mov_b32 v2, v58 :: v_dual_mov_b32 v3, v59
	s_get_pc_i64 s[0:1]
	s_add_nc_u64 s[0:1], s[0:1], _ZN12_GLOBAL__N_111calc_igammaIdEET_S1_S1_@rel64+4
	s_delay_alu instid0(SALU_CYCLE_1)
	s_swap_pc_i64 s[30:31], s[0:1]
	v_dual_mov_b32 v74, v0 :: v_dual_mov_b32 v75, v1
                                        ; implicit-def: $vgpr60_vgpr61_vgpr62_vgpr63
                                        ; implicit-def: $vgpr56_vgpr57_vgpr58_vgpr59
	s_and_not1_saveexec_b32 s24, s45
	s_cbranch_execnz .LBB6_16
	s_branch .LBB6_17
.LBB6_13:
	s_and_not1_saveexec_b32 s24, s49
	s_cbranch_execz .LBB6_11
.LBB6_14:
	s_wait_loadcnt 0x3
	v_dual_mov_b32 v0, v60 :: v_dual_mov_b32 v1, v61
	s_wait_loadcnt 0x1
	v_dual_mov_b32 v2, v56 :: v_dual_mov_b32 v3, v57
	s_get_pc_i64 s[0:1]
	s_add_nc_u64 s[0:1], s[0:1], _ZN12_GLOBAL__N_112calc_igammacIdEET_S1_S1_@rel64+4
	s_delay_alu instid0(SALU_CYCLE_1) | instskip(SKIP_3) | instid1(SALU_CYCLE_1)
	s_swap_pc_i64 s[30:31], s[0:1]
	v_dual_mov_b32 v72, v0 :: v_dual_mov_b32 v73, v1
	s_or_b32 exec_lo, exec_lo, s24
	s_and_saveexec_b32 s0, s45
	s_xor_b32 s45, exec_lo, s0
	s_cbranch_execnz .LBB6_12
.LBB6_15:
	s_and_not1_saveexec_b32 s24, s45
	s_cbranch_execz .LBB6_17
.LBB6_16:
	s_wait_loadcnt 0x3
	v_dual_mov_b32 v0, v62 :: v_dual_mov_b32 v1, v63
	s_wait_loadcnt 0x1
	v_dual_mov_b32 v2, v58 :: v_dual_mov_b32 v3, v59
	s_get_pc_i64 s[0:1]
	s_add_nc_u64 s[0:1], s[0:1], _ZN12_GLOBAL__N_112calc_igammacIdEET_S1_S1_@rel64+4
	s_delay_alu instid0(SALU_CYCLE_1)
	s_swap_pc_i64 s[30:31], s[0:1]
	v_dual_mov_b32 v74, v0 :: v_dual_mov_b32 v75, v1
.LBB6_17:
	s_or_b32 exec_lo, exec_lo, s24
	s_add_nc_u64 s[2:3], s[36:37], s[34:35]
	s_mov_b32 s0, 0
	global_store_b128 v89, v[42:45], s[2:3]
	s_wait_loadcnt 0x0
	global_store_b128 v89, v[72:75], s[2:3] offset:16
.LBB6_18:
	s_and_b32 vcc_lo, exec_lo, s0
	s_cbranch_vccz .LBB6_55
; %bb.19:
	v_mov_b64_e32 v[62:63], 0
	v_mov_b64_e32 v[0:1], 0
	;; [unrolled: 1-line block ×3, first 2 shown]
	v_cmp_gt_i32_e64 s34, s48, v88
	s_wait_xcnt 0x0
	v_dual_mov_b32 v4, v88 :: v_dual_bitop2_b32 v74, s44, v88 bitop3:0x54
	v_add_nc_u32_e32 v75, 0x100, v88
	ds_store_b8 v46, v47 offset:768
	s_and_saveexec_b32 s0, s34
	s_cbranch_execz .LBB6_21
; %bb.20:
	s_clause 0x1
	global_load_b64 v[0:1], v74, s[38:39] scale_offset
	global_load_b64 v[2:3], v74, s[46:47] scale_offset
	v_add_nc_u32_e32 v4, 0x100, v88
.LBB6_21:
	s_wait_xcnt 0x0
	s_or_b32 exec_lo, exec_lo, s0
	v_mov_b64_e32 v[72:73], 0
	s_mov_b32 s0, exec_lo
	v_cmpx_gt_i32_e64 s48, v4
	s_cbranch_execz .LBB6_23
; %bb.22:
	v_add_nc_u32_e32 v5, s44, v4
	v_add_nc_u32_e32 v4, 0x100, v4
	s_clause 0x1
	global_load_b64 v[62:63], v5, s[38:39] scale_offset
	global_load_b64 v[72:73], v5, s[46:47] scale_offset
.LBB6_23:
	s_wait_xcnt 0x0
	s_or_b32 exec_lo, exec_lo, s0
	v_mov_b64_e32 v[42:43], 0
	v_mov_b64_e32 v[58:59], 0
	;; [unrolled: 1-line block ×3, first 2 shown]
	s_mov_b32 s0, exec_lo
	v_cmpx_gt_i32_e64 s48, v4
	s_cbranch_execz .LBB6_25
; %bb.24:
	v_add_nc_u32_e32 v5, s44, v4
	v_add_nc_u32_e32 v4, 0x100, v4
	s_clause 0x1
	global_load_b64 v[58:59], v5, s[38:39] scale_offset
	global_load_b64 v[56:57], v5, s[46:47] scale_offset
.LBB6_25:
	s_wait_xcnt 0x0
	s_or_b32 exec_lo, exec_lo, s0
	v_mov_b64_e32 v[44:45], 0
	s_mov_b32 s0, exec_lo
	v_cmpx_gt_i32_e64 s48, v4
	s_cbranch_execz .LBB6_27
; %bb.26:
	v_add_nc_u32_e32 v4, s44, v4
	s_clause 0x1
	global_load_b64 v[42:43], v4, s[38:39] scale_offset
	global_load_b64 v[44:45], v4, s[46:47] scale_offset
.LBB6_27:
	s_wait_xcnt 0x0
	s_or_b32 exec_lo, exec_lo, s0
	ds_load_u8 v4, v46 offset:768
                                        ; implicit-def: $vgpr46_vgpr47
	s_wait_dscnt 0x0
	v_and_b32_e32 v4, 1, v4
	s_delay_alu instid0(VALU_DEP_1)
	v_cmp_eq_u32_e32 vcc_lo, 1, v4
	s_xor_b32 s35, vcc_lo, -1
	s_and_saveexec_b32 s38, s34
	s_cbranch_execz .LBB6_33
; %bb.28:
                                        ; implicit-def: $vgpr46_vgpr47
	s_and_saveexec_b32 s0, s35
	s_delay_alu instid0(SALU_CYCLE_1)
	s_xor_b32 s39, exec_lo, s0
	s_cbranch_execz .LBB6_30
; %bb.29:
	s_get_pc_i64 s[0:1]
	s_add_nc_u64 s[0:1], s[0:1], _ZN12_GLOBAL__N_111calc_igammaIdEET_S1_S1_@rel64+4
	s_delay_alu instid0(SALU_CYCLE_1)
	s_swap_pc_i64 s[30:31], s[0:1]
	v_dual_mov_b32 v46, v0 :: v_dual_mov_b32 v47, v1
                                        ; implicit-def: $vgpr0_vgpr1
                                        ; implicit-def: $vgpr2_vgpr3
.LBB6_30:
	s_and_not1_saveexec_b32 s24, s39
	s_cbranch_execz .LBB6_32
; %bb.31:
	s_get_pc_i64 s[0:1]
	s_add_nc_u64 s[0:1], s[0:1], _ZN12_GLOBAL__N_112calc_igammacIdEET_S1_S1_@rel64+4
	s_delay_alu instid0(SALU_CYCLE_1)
	s_swap_pc_i64 s[30:31], s[0:1]
	v_dual_mov_b32 v46, v0 :: v_dual_mov_b32 v47, v1
.LBB6_32:
	s_or_b32 exec_lo, exec_lo, s24
.LBB6_33:
	s_delay_alu instid0(SALU_CYCLE_1) | instskip(NEXT) | instid1(SALU_CYCLE_1)
	s_or_b32 exec_lo, exec_lo, s38
	s_mov_b32 s38, exec_lo
                                        ; implicit-def: $vgpr60_vgpr61
	v_cmpx_gt_i32_e64 s48, v75
	s_cbranch_execz .LBB6_39
; %bb.34:
                                        ; implicit-def: $vgpr60_vgpr61
	s_and_saveexec_b32 s0, s35
	s_delay_alu instid0(SALU_CYCLE_1)
	s_xor_b32 s39, exec_lo, s0
	s_cbranch_execz .LBB6_36
; %bb.35:
	s_wait_loadcnt 0x1
	v_dual_mov_b32 v0, v62 :: v_dual_mov_b32 v1, v63
	s_wait_loadcnt 0x0
	v_dual_mov_b32 v2, v72 :: v_dual_mov_b32 v3, v73
	s_get_pc_i64 s[0:1]
	s_add_nc_u64 s[0:1], s[0:1], _ZN12_GLOBAL__N_111calc_igammaIdEET_S1_S1_@rel64+4
	s_delay_alu instid0(SALU_CYCLE_1)
	s_swap_pc_i64 s[30:31], s[0:1]
	v_dual_mov_b32 v60, v0 :: v_dual_mov_b32 v61, v1
                                        ; implicit-def: $vgpr62_vgpr63
                                        ; implicit-def: $vgpr72_vgpr73
.LBB6_36:
	s_and_not1_saveexec_b32 s24, s39
	s_cbranch_execz .LBB6_38
; %bb.37:
	s_wait_loadcnt 0x1
	v_dual_mov_b32 v0, v62 :: v_dual_mov_b32 v1, v63
	s_wait_loadcnt 0x0
	v_dual_mov_b32 v2, v72 :: v_dual_mov_b32 v3, v73
	s_get_pc_i64 s[0:1]
	s_add_nc_u64 s[0:1], s[0:1], _ZN12_GLOBAL__N_112calc_igammacIdEET_S1_S1_@rel64+4
	s_delay_alu instid0(SALU_CYCLE_1)
	s_swap_pc_i64 s[30:31], s[0:1]
	v_dual_mov_b32 v60, v0 :: v_dual_mov_b32 v61, v1
.LBB6_38:
	s_or_b32 exec_lo, exec_lo, s24
.LBB6_39:
	s_delay_alu instid0(SALU_CYCLE_1) | instskip(SKIP_3) | instid1(VALU_DEP_1)
	s_or_b32 exec_lo, exec_lo, s38
	s_wait_loadcnt 0x1
	v_add_nc_u32_e32 v0, 0x200, v88
	s_mov_b32 s38, exec_lo
                                        ; implicit-def: $vgpr62_vgpr63
	v_cmpx_gt_i32_e64 s48, v0
	s_cbranch_execz .LBB6_45
; %bb.40:
                                        ; implicit-def: $vgpr62_vgpr63
	s_and_saveexec_b32 s0, s35
	s_delay_alu instid0(SALU_CYCLE_1)
	s_xor_b32 s39, exec_lo, s0
	s_cbranch_execz .LBB6_42
; %bb.41:
	v_dual_mov_b32 v0, v58 :: v_dual_mov_b32 v1, v59
	s_wait_loadcnt 0x0
	v_dual_mov_b32 v2, v56 :: v_dual_mov_b32 v3, v57
	s_get_pc_i64 s[0:1]
	s_add_nc_u64 s[0:1], s[0:1], _ZN12_GLOBAL__N_111calc_igammaIdEET_S1_S1_@rel64+4
	s_delay_alu instid0(SALU_CYCLE_1)
	s_swap_pc_i64 s[30:31], s[0:1]
	v_dual_mov_b32 v62, v0 :: v_dual_mov_b32 v63, v1
                                        ; implicit-def: $vgpr58_vgpr59
                                        ; implicit-def: $vgpr56_vgpr57
.LBB6_42:
	s_and_not1_saveexec_b32 s24, s39
	s_cbranch_execz .LBB6_44
; %bb.43:
	v_dual_mov_b32 v0, v58 :: v_dual_mov_b32 v1, v59
	s_wait_loadcnt 0x0
	v_dual_mov_b32 v2, v56 :: v_dual_mov_b32 v3, v57
	s_get_pc_i64 s[0:1]
	s_add_nc_u64 s[0:1], s[0:1], _ZN12_GLOBAL__N_112calc_igammacIdEET_S1_S1_@rel64+4
	s_delay_alu instid0(SALU_CYCLE_1)
	s_swap_pc_i64 s[30:31], s[0:1]
	v_dual_mov_b32 v62, v0 :: v_dual_mov_b32 v63, v1
.LBB6_44:
	s_or_b32 exec_lo, exec_lo, s24
.LBB6_45:
	s_delay_alu instid0(SALU_CYCLE_1) | instskip(SKIP_1) | instid1(VALU_DEP_1)
	s_or_b32 exec_lo, exec_lo, s38
	v_add_nc_u32_e32 v0, 0x300, v88
	v_cmp_gt_i32_e32 vcc_lo, s48, v0
                                        ; implicit-def: $vgpr0_vgpr1
	s_and_saveexec_b32 s38, vcc_lo
	s_cbranch_execz .LBB6_56
; %bb.46:
                                        ; implicit-def: $vgpr0_vgpr1
	s_and_saveexec_b32 s0, s35
	s_delay_alu instid0(SALU_CYCLE_1)
	s_xor_b32 s35, exec_lo, s0
	s_cbranch_execz .LBB6_48
; %bb.47:
	v_dual_mov_b32 v0, v42 :: v_dual_mov_b32 v1, v43
	s_wait_loadcnt 0x0
	v_dual_mov_b32 v2, v44 :: v_dual_mov_b32 v3, v45
	s_get_pc_i64 s[0:1]
	s_add_nc_u64 s[0:1], s[0:1], _ZN12_GLOBAL__N_111calc_igammaIdEET_S1_S1_@rel64+4
	s_delay_alu instid0(SALU_CYCLE_1)
	s_swap_pc_i64 s[30:31], s[0:1]
                                        ; implicit-def: $vgpr42_vgpr43
                                        ; implicit-def: $vgpr44_vgpr45
.LBB6_48:
	s_and_not1_saveexec_b32 s24, s35
	s_cbranch_execz .LBB6_50
; %bb.49:
	v_dual_mov_b32 v0, v42 :: v_dual_mov_b32 v1, v43
	s_wait_loadcnt 0x0
	v_dual_mov_b32 v2, v44 :: v_dual_mov_b32 v3, v45
	s_get_pc_i64 s[0:1]
	s_add_nc_u64 s[0:1], s[0:1], _ZN12_GLOBAL__N_112calc_igammacIdEET_S1_S1_@rel64+4
	s_delay_alu instid0(SALU_CYCLE_1)
	s_swap_pc_i64 s[30:31], s[0:1]
.LBB6_50:
	s_or_b32 exec_lo, exec_lo, s24
	s_delay_alu instid0(SALU_CYCLE_1) | instskip(SKIP_1) | instid1(SALU_CYCLE_1)
	s_or_b32 exec_lo, exec_lo, s38
	s_and_saveexec_b32 s0, s34
	s_xor_b32 s0, exec_lo, s0
	s_cbranch_execnz .LBB6_57
.LBB6_51:
	s_or_b32 exec_lo, exec_lo, s0
	s_delay_alu instid0(SALU_CYCLE_1)
	s_mov_b32 s0, exec_lo
	v_cmpx_gt_i32_e64 s48, v88
	s_cbranch_execz .LBB6_58
.LBB6_52:
	s_wait_loadcnt 0x0
	v_add_nc_u32_e32 v2, s44, v88
	v_add_nc_u32_e32 v88, 0x100, v88
	global_store_b64 v2, v[60:61], s[36:37] scale_offset
	s_wait_xcnt 0x0
	s_or_b32 exec_lo, exec_lo, s0
	s_delay_alu instid0(SALU_CYCLE_1)
	s_mov_b32 s0, exec_lo
	v_cmpx_gt_i32_e64 s48, v88
	s_cbranch_execnz .LBB6_59
.LBB6_53:
	s_or_b32 exec_lo, exec_lo, s0
	s_delay_alu instid0(SALU_CYCLE_1)
	s_mov_b32 s0, exec_lo
	v_cmpx_gt_i32_e64 s48, v88
	s_cbranch_execz .LBB6_55
.LBB6_54:
	s_wait_loadcnt 0x0
	v_add_nc_u32_e32 v2, s44, v88
	global_store_b64 v2, v[0:1], s[36:37] scale_offset
.LBB6_55:
	s_endpgm
.LBB6_56:
	s_or_b32 exec_lo, exec_lo, s38
	s_and_saveexec_b32 s0, s34
	s_delay_alu instid0(SALU_CYCLE_1)
	s_xor_b32 s0, exec_lo, s0
	s_cbranch_execz .LBB6_51
.LBB6_57:
	v_mov_b32_e32 v88, v75
	global_store_b64 v74, v[46:47], s[36:37] scale_offset
	s_wait_xcnt 0x0
	s_or_b32 exec_lo, exec_lo, s0
	s_delay_alu instid0(SALU_CYCLE_1)
	s_mov_b32 s0, exec_lo
	v_cmpx_gt_i32_e64 s48, v88
	s_cbranch_execnz .LBB6_52
.LBB6_58:
	s_or_b32 exec_lo, exec_lo, s0
	s_delay_alu instid0(SALU_CYCLE_1)
	s_mov_b32 s0, exec_lo
	v_cmpx_gt_i32_e64 s48, v88
	s_cbranch_execz .LBB6_53
.LBB6_59:
	s_wait_loadcnt 0x0
	v_add_nc_u32_e32 v2, s44, v88
	v_add_nc_u32_e32 v88, 0x100, v88
	global_store_b64 v2, v[62:63], s[36:37] scale_offset
	s_wait_xcnt 0x0
	s_or_b32 exec_lo, exec_lo, s0
	s_delay_alu instid0(SALU_CYCLE_1)
	s_mov_b32 s0, exec_lo
	v_cmpx_gt_i32_e64 s48, v88
	s_cbranch_execnz .LBB6_54
	s_branch .LBB6_55
	.section	.rodata,"a",@progbits
	.p2align	6, 0x0
	.amdhsa_kernel _ZN2at6native29vectorized_elementwise_kernelILi8EN12_GLOBAL__N_110CalcIgammaIdEESt5arrayIPcLm3EEEEviT0_T1_
		.amdhsa_group_segment_fixed_size 1024
		.amdhsa_private_segment_fixed_size 240
		.amdhsa_kernarg_size 32
		.amdhsa_user_sgpr_count 4
		.amdhsa_user_sgpr_dispatch_ptr 1
		.amdhsa_user_sgpr_queue_ptr 0
		.amdhsa_user_sgpr_kernarg_segment_ptr 1
		.amdhsa_user_sgpr_dispatch_id 0
		.amdhsa_user_sgpr_kernarg_preload_length 0
		.amdhsa_user_sgpr_kernarg_preload_offset 0
		.amdhsa_user_sgpr_private_segment_size 0
		.amdhsa_wavefront_size32 1
		.amdhsa_uses_dynamic_stack 0
		.amdhsa_enable_private_segment 1
		.amdhsa_system_sgpr_workgroup_id_x 1
		.amdhsa_system_sgpr_workgroup_id_y 0
		.amdhsa_system_sgpr_workgroup_id_z 0
		.amdhsa_system_sgpr_workgroup_info 0
		.amdhsa_system_vgpr_workitem_id 2
		.amdhsa_next_free_vgpr 120
		.amdhsa_next_free_sgpr 50
		.amdhsa_named_barrier_count 0
		.amdhsa_reserve_vcc 1
		.amdhsa_float_round_mode_32 0
		.amdhsa_float_round_mode_16_64 0
		.amdhsa_float_denorm_mode_32 3
		.amdhsa_float_denorm_mode_16_64 3
		.amdhsa_fp16_overflow 0
		.amdhsa_memory_ordered 1
		.amdhsa_forward_progress 1
		.amdhsa_inst_pref_size 18
		.amdhsa_round_robin_scheduling 0
		.amdhsa_exception_fp_ieee_invalid_op 0
		.amdhsa_exception_fp_denorm_src 0
		.amdhsa_exception_fp_ieee_div_zero 0
		.amdhsa_exception_fp_ieee_overflow 0
		.amdhsa_exception_fp_ieee_underflow 0
		.amdhsa_exception_fp_ieee_inexact 0
		.amdhsa_exception_int_div_zero 0
	.end_amdhsa_kernel
	.section	.text._ZN2at6native29vectorized_elementwise_kernelILi8EN12_GLOBAL__N_110CalcIgammaIdEESt5arrayIPcLm3EEEEviT0_T1_,"axG",@progbits,_ZN2at6native29vectorized_elementwise_kernelILi8EN12_GLOBAL__N_110CalcIgammaIdEESt5arrayIPcLm3EEEEviT0_T1_,comdat
.Lfunc_end6:
	.size	_ZN2at6native29vectorized_elementwise_kernelILi8EN12_GLOBAL__N_110CalcIgammaIdEESt5arrayIPcLm3EEEEviT0_T1_, .Lfunc_end6-_ZN2at6native29vectorized_elementwise_kernelILi8EN12_GLOBAL__N_110CalcIgammaIdEESt5arrayIPcLm3EEEEviT0_T1_
                                        ; -- End function
	.set _ZN2at6native29vectorized_elementwise_kernelILi8EN12_GLOBAL__N_110CalcIgammaIdEESt5arrayIPcLm3EEEEviT0_T1_.num_vgpr, max(90, .L_ZN12_GLOBAL__N_111calc_igammaIdEET_S1_S1_.num_vgpr, .L_ZN12_GLOBAL__N_112calc_igammacIdEET_S1_S1_.num_vgpr)
	.set _ZN2at6native29vectorized_elementwise_kernelILi8EN12_GLOBAL__N_110CalcIgammaIdEESt5arrayIPcLm3EEEEviT0_T1_.num_agpr, max(0, .L_ZN12_GLOBAL__N_111calc_igammaIdEET_S1_S1_.num_agpr, .L_ZN12_GLOBAL__N_112calc_igammacIdEET_S1_S1_.num_agpr)
	.set _ZN2at6native29vectorized_elementwise_kernelILi8EN12_GLOBAL__N_110CalcIgammaIdEESt5arrayIPcLm3EEEEviT0_T1_.numbered_sgpr, max(50, .L_ZN12_GLOBAL__N_111calc_igammaIdEET_S1_S1_.numbered_sgpr, .L_ZN12_GLOBAL__N_112calc_igammacIdEET_S1_S1_.numbered_sgpr)
	.set _ZN2at6native29vectorized_elementwise_kernelILi8EN12_GLOBAL__N_110CalcIgammaIdEESt5arrayIPcLm3EEEEviT0_T1_.num_named_barrier, max(0, .L_ZN12_GLOBAL__N_111calc_igammaIdEET_S1_S1_.num_named_barrier, .L_ZN12_GLOBAL__N_112calc_igammacIdEET_S1_S1_.num_named_barrier)
	.set _ZN2at6native29vectorized_elementwise_kernelILi8EN12_GLOBAL__N_110CalcIgammaIdEESt5arrayIPcLm3EEEEviT0_T1_.private_seg_size, 0+max(.L_ZN12_GLOBAL__N_111calc_igammaIdEET_S1_S1_.private_seg_size, .L_ZN12_GLOBAL__N_112calc_igammacIdEET_S1_S1_.private_seg_size)
	.set _ZN2at6native29vectorized_elementwise_kernelILi8EN12_GLOBAL__N_110CalcIgammaIdEESt5arrayIPcLm3EEEEviT0_T1_.uses_vcc, or(1, .L_ZN12_GLOBAL__N_111calc_igammaIdEET_S1_S1_.uses_vcc, .L_ZN12_GLOBAL__N_112calc_igammacIdEET_S1_S1_.uses_vcc)
	.set _ZN2at6native29vectorized_elementwise_kernelILi8EN12_GLOBAL__N_110CalcIgammaIdEESt5arrayIPcLm3EEEEviT0_T1_.uses_flat_scratch, or(0, .L_ZN12_GLOBAL__N_111calc_igammaIdEET_S1_S1_.uses_flat_scratch, .L_ZN12_GLOBAL__N_112calc_igammacIdEET_S1_S1_.uses_flat_scratch)
	.set _ZN2at6native29vectorized_elementwise_kernelILi8EN12_GLOBAL__N_110CalcIgammaIdEESt5arrayIPcLm3EEEEviT0_T1_.has_dyn_sized_stack, or(0, .L_ZN12_GLOBAL__N_111calc_igammaIdEET_S1_S1_.has_dyn_sized_stack, .L_ZN12_GLOBAL__N_112calc_igammacIdEET_S1_S1_.has_dyn_sized_stack)
	.set _ZN2at6native29vectorized_elementwise_kernelILi8EN12_GLOBAL__N_110CalcIgammaIdEESt5arrayIPcLm3EEEEviT0_T1_.has_recursion, or(0, .L_ZN12_GLOBAL__N_111calc_igammaIdEET_S1_S1_.has_recursion, .L_ZN12_GLOBAL__N_112calc_igammacIdEET_S1_S1_.has_recursion)
	.set _ZN2at6native29vectorized_elementwise_kernelILi8EN12_GLOBAL__N_110CalcIgammaIdEESt5arrayIPcLm3EEEEviT0_T1_.has_indirect_call, or(0, .L_ZN12_GLOBAL__N_111calc_igammaIdEET_S1_S1_.has_indirect_call, .L_ZN12_GLOBAL__N_112calc_igammacIdEET_S1_S1_.has_indirect_call)
	.section	.AMDGPU.csdata,"",@progbits
; Kernel info:
; codeLenInByte = 2228
; TotalNumSgprs: 52
; NumVgprs: 120
; ScratchSize: 240
; MemoryBound: 1
; FloatMode: 240
; IeeeMode: 1
; LDSByteSize: 1024 bytes/workgroup (compile time only)
; SGPRBlocks: 0
; VGPRBlocks: 7
; NumSGPRsForWavesPerEU: 52
; NumVGPRsForWavesPerEU: 120
; NamedBarCnt: 0
; Occupancy: 8
; WaveLimiterHint : 0
; COMPUTE_PGM_RSRC2:SCRATCH_EN: 1
; COMPUTE_PGM_RSRC2:USER_SGPR: 4
; COMPUTE_PGM_RSRC2:TRAP_HANDLER: 0
; COMPUTE_PGM_RSRC2:TGID_X_EN: 1
; COMPUTE_PGM_RSRC2:TGID_Y_EN: 0
; COMPUTE_PGM_RSRC2:TGID_Z_EN: 0
; COMPUTE_PGM_RSRC2:TIDIG_COMP_CNT: 2
	.section	.text._ZN2at6native29vectorized_elementwise_kernelILi4EN12_GLOBAL__N_110CalcIgammaIdEESt5arrayIPcLm3EEEEviT0_T1_,"axG",@progbits,_ZN2at6native29vectorized_elementwise_kernelILi4EN12_GLOBAL__N_110CalcIgammaIdEESt5arrayIPcLm3EEEEviT0_T1_,comdat
	.globl	_ZN2at6native29vectorized_elementwise_kernelILi4EN12_GLOBAL__N_110CalcIgammaIdEESt5arrayIPcLm3EEEEviT0_T1_ ; -- Begin function _ZN2at6native29vectorized_elementwise_kernelILi4EN12_GLOBAL__N_110CalcIgammaIdEESt5arrayIPcLm3EEEEviT0_T1_
	.p2align	8
	.type	_ZN2at6native29vectorized_elementwise_kernelILi4EN12_GLOBAL__N_110CalcIgammaIdEESt5arrayIPcLm3EEEEviT0_T1_,@function
_ZN2at6native29vectorized_elementwise_kernelILi4EN12_GLOBAL__N_110CalcIgammaIdEESt5arrayIPcLm3EEEEviT0_T1_: ; @_ZN2at6native29vectorized_elementwise_kernelILi4EN12_GLOBAL__N_110CalcIgammaIdEESt5arrayIPcLm3EEEEviT0_T1_
; %bb.0:
	s_load_b64 s[4:5], s[0:1], 0x4
	s_load_b64 s[6:7], s[2:3], 0x0
	v_and_b32_e32 v88, 0x3ff, v0
	v_bfe_u32 v2, v0, 10, 10
	v_bfe_u32 v0, v0, 20, 10
	s_clause 0x1
	s_load_b128 s[36:39], s[2:3], 0x8
	s_load_b64 s[46:47], s[2:3], 0x18
	s_wait_xcnt 0x0
	s_and_b32 s1, ttmp6, 15
	s_getreg_b32 s2, hwreg(HW_REG_IB_STS2, 6, 4)
	s_mov_b32 s32, 0
	s_wait_kmcnt 0x0
	s_lshr_b32 s0, s4, 16
	v_mul_u32_u24_e32 v2, s5, v2
	s_mul_i32 s0, s0, s5
	s_delay_alu instid0(SALU_CYCLE_1) | instskip(SKIP_1) | instid1(SALU_CYCLE_1)
	v_mul_lo_u32 v1, s0, v88
	s_and_b32 s0, s7, 1
	v_mov_b32_e32 v3, s0
	s_bfe_u32 s0, ttmp6, 0x4000c
	s_delay_alu instid0(SALU_CYCLE_1) | instskip(NEXT) | instid1(SALU_CYCLE_1)
	s_add_co_i32 s0, s0, 1
	s_mul_i32 s0, ttmp9, s0
	s_delay_alu instid0(SALU_CYCLE_1) | instskip(NEXT) | instid1(VALU_DEP_2)
	s_add_co_i32 s1, s1, s0
	v_add3_u32 v46, v1, v2, v0
	s_cmp_eq_u32 s2, 0
	s_cselect_b32 s0, ttmp9, s1
	s_delay_alu instid0(SALU_CYCLE_1)
	s_lshl_b32 s44, s0, 10
	ds_store_b8 v46, v3
	ds_load_u8 v0, v46
	s_sub_co_i32 s48, s6, s44
	s_mov_b32 s0, -1
	s_cmp_gt_i32 s48, 0x3ff
	s_wait_dscnt 0x0
	v_and_b32_e32 v0, 1, v0
	s_delay_alu instid0(VALU_DEP_1)
	v_cmp_eq_u32_e32 vcc_lo, 1, v0
	ds_store_b8 v46, v0 offset:256
	v_cndmask_b32_e64 v47, 0, 1, vcc_lo
	s_cbranch_scc0 .LBB7_18
; %bb.1:
	s_ashr_i32 s45, s44, 31
	v_lshlrev_b32_e32 v89, 5, v88
	s_lshl_b64 s[34:35], s[44:45], 3
                                        ; implicit-def: $vgpr42_vgpr43
	s_delay_alu instid0(SALU_CYCLE_1)
	s_add_nc_u64 s[0:1], s[38:39], s[34:35]
	s_add_nc_u64 s[2:3], s[46:47], s[34:35]
	s_clause 0x3
	global_load_b128 v[60:63], v89, s[0:1] offset:16
	global_load_b128 v[76:79], v89, s[0:1]
	global_load_b128 v[56:59], v89, s[2:3] offset:16
	global_load_b128 v[72:75], v89, s[2:3]
	ds_store_b8 v46, v47 offset:512
	ds_load_u8 v0, v46 offset:512
	s_wait_dscnt 0x0
	v_and_b32_e32 v0, 1, v0
	s_delay_alu instid0(VALU_DEP_1) | instskip(SKIP_3) | instid1(SALU_CYCLE_1)
	v_cmp_eq_u32_e32 vcc_lo, 1, v0
	s_xor_b32 s45, vcc_lo, -1
	s_wait_xcnt 0x0
	s_and_saveexec_b32 s0, s45
	s_xor_b32 s49, exec_lo, s0
	s_cbranch_execz .LBB7_5
; %bb.2:
	s_wait_loadcnt 0x2
	v_dual_mov_b32 v0, v76 :: v_dual_mov_b32 v1, v77
	s_wait_loadcnt 0x0
	v_dual_mov_b32 v2, v72 :: v_dual_mov_b32 v3, v73
	s_get_pc_i64 s[0:1]
	s_add_nc_u64 s[0:1], s[0:1], _ZN12_GLOBAL__N_111calc_igammaIdEET_S1_S1_@rel64+4
	s_delay_alu instid0(SALU_CYCLE_1)
	s_swap_pc_i64 s[30:31], s[0:1]
	v_dual_mov_b32 v42, v0 :: v_dual_mov_b32 v43, v1
	s_and_not1_saveexec_b32 s24, s49
	s_cbranch_execnz .LBB7_6
.LBB7_3:
	s_or_b32 exec_lo, exec_lo, s24
	s_and_saveexec_b32 s0, s45
	s_delay_alu instid0(SALU_CYCLE_1)
	s_xor_b32 s49, exec_lo, s0
	s_cbranch_execz .LBB7_7
.LBB7_4:
	s_wait_loadcnt 0x2
	v_dual_mov_b32 v0, v78 :: v_dual_mov_b32 v1, v79
	s_wait_loadcnt 0x0
	v_dual_mov_b32 v2, v74 :: v_dual_mov_b32 v3, v75
	s_get_pc_i64 s[0:1]
	s_add_nc_u64 s[0:1], s[0:1], _ZN12_GLOBAL__N_111calc_igammaIdEET_S1_S1_@rel64+4
	s_delay_alu instid0(SALU_CYCLE_1)
	s_swap_pc_i64 s[30:31], s[0:1]
	v_dual_mov_b32 v44, v0 :: v_dual_mov_b32 v45, v1
                                        ; implicit-def: $vgpr76_vgpr77_vgpr78_vgpr79
                                        ; implicit-def: $vgpr72_vgpr73_vgpr74_vgpr75
	s_and_not1_saveexec_b32 s24, s49
	s_cbranch_execz .LBB7_9
	s_branch .LBB7_8
.LBB7_5:
	s_and_not1_saveexec_b32 s24, s49
	s_cbranch_execz .LBB7_3
.LBB7_6:
	s_wait_loadcnt 0x2
	v_dual_mov_b32 v0, v76 :: v_dual_mov_b32 v1, v77
	s_wait_loadcnt 0x0
	v_dual_mov_b32 v2, v72 :: v_dual_mov_b32 v3, v73
	s_get_pc_i64 s[0:1]
	s_add_nc_u64 s[0:1], s[0:1], _ZN12_GLOBAL__N_112calc_igammacIdEET_S1_S1_@rel64+4
	s_delay_alu instid0(SALU_CYCLE_1) | instskip(SKIP_3) | instid1(SALU_CYCLE_1)
	s_swap_pc_i64 s[30:31], s[0:1]
	v_dual_mov_b32 v42, v0 :: v_dual_mov_b32 v43, v1
	s_or_b32 exec_lo, exec_lo, s24
	s_and_saveexec_b32 s0, s45
	s_xor_b32 s49, exec_lo, s0
	s_cbranch_execnz .LBB7_4
.LBB7_7:
	s_and_not1_saveexec_b32 s24, s49
	s_cbranch_execz .LBB7_9
.LBB7_8:
	s_wait_loadcnt 0x2
	v_dual_mov_b32 v0, v78 :: v_dual_mov_b32 v1, v79
	s_wait_loadcnt 0x0
	v_dual_mov_b32 v2, v74 :: v_dual_mov_b32 v3, v75
	s_get_pc_i64 s[0:1]
	s_add_nc_u64 s[0:1], s[0:1], _ZN12_GLOBAL__N_112calc_igammacIdEET_S1_S1_@rel64+4
	s_delay_alu instid0(SALU_CYCLE_1)
	s_swap_pc_i64 s[30:31], s[0:1]
	v_dual_mov_b32 v44, v0 :: v_dual_mov_b32 v45, v1
.LBB7_9:
	s_or_b32 exec_lo, exec_lo, s24
                                        ; implicit-def: $vgpr72_vgpr73
	s_and_saveexec_b32 s0, s45
	s_delay_alu instid0(SALU_CYCLE_1)
	s_xor_b32 s49, exec_lo, s0
	s_cbranch_execz .LBB7_13
; %bb.10:
	s_wait_loadcnt 0x3
	v_dual_mov_b32 v0, v60 :: v_dual_mov_b32 v1, v61
	s_wait_loadcnt 0x1
	v_dual_mov_b32 v2, v56 :: v_dual_mov_b32 v3, v57
	s_get_pc_i64 s[0:1]
	s_add_nc_u64 s[0:1], s[0:1], _ZN12_GLOBAL__N_111calc_igammaIdEET_S1_S1_@rel64+4
	s_delay_alu instid0(SALU_CYCLE_1)
	s_swap_pc_i64 s[30:31], s[0:1]
	v_dual_mov_b32 v72, v0 :: v_dual_mov_b32 v73, v1
	s_and_not1_saveexec_b32 s24, s49
	s_cbranch_execnz .LBB7_14
.LBB7_11:
	s_or_b32 exec_lo, exec_lo, s24
	s_and_saveexec_b32 s0, s45
	s_delay_alu instid0(SALU_CYCLE_1)
	s_xor_b32 s45, exec_lo, s0
	s_cbranch_execz .LBB7_15
.LBB7_12:
	s_wait_loadcnt 0x3
	v_dual_mov_b32 v0, v62 :: v_dual_mov_b32 v1, v63
	s_wait_loadcnt 0x1
	v_dual_mov_b32 v2, v58 :: v_dual_mov_b32 v3, v59
	s_get_pc_i64 s[0:1]
	s_add_nc_u64 s[0:1], s[0:1], _ZN12_GLOBAL__N_111calc_igammaIdEET_S1_S1_@rel64+4
	s_delay_alu instid0(SALU_CYCLE_1)
	s_swap_pc_i64 s[30:31], s[0:1]
	v_dual_mov_b32 v74, v0 :: v_dual_mov_b32 v75, v1
                                        ; implicit-def: $vgpr60_vgpr61_vgpr62_vgpr63
                                        ; implicit-def: $vgpr56_vgpr57_vgpr58_vgpr59
	s_and_not1_saveexec_b32 s24, s45
	s_cbranch_execnz .LBB7_16
	s_branch .LBB7_17
.LBB7_13:
	s_and_not1_saveexec_b32 s24, s49
	s_cbranch_execz .LBB7_11
.LBB7_14:
	s_wait_loadcnt 0x3
	v_dual_mov_b32 v0, v60 :: v_dual_mov_b32 v1, v61
	s_wait_loadcnt 0x1
	v_dual_mov_b32 v2, v56 :: v_dual_mov_b32 v3, v57
	s_get_pc_i64 s[0:1]
	s_add_nc_u64 s[0:1], s[0:1], _ZN12_GLOBAL__N_112calc_igammacIdEET_S1_S1_@rel64+4
	s_delay_alu instid0(SALU_CYCLE_1) | instskip(SKIP_3) | instid1(SALU_CYCLE_1)
	s_swap_pc_i64 s[30:31], s[0:1]
	v_dual_mov_b32 v72, v0 :: v_dual_mov_b32 v73, v1
	s_or_b32 exec_lo, exec_lo, s24
	s_and_saveexec_b32 s0, s45
	s_xor_b32 s45, exec_lo, s0
	s_cbranch_execnz .LBB7_12
.LBB7_15:
	s_and_not1_saveexec_b32 s24, s45
	s_cbranch_execz .LBB7_17
.LBB7_16:
	s_wait_loadcnt 0x3
	v_dual_mov_b32 v0, v62 :: v_dual_mov_b32 v1, v63
	s_wait_loadcnt 0x1
	v_dual_mov_b32 v2, v58 :: v_dual_mov_b32 v3, v59
	s_get_pc_i64 s[0:1]
	s_add_nc_u64 s[0:1], s[0:1], _ZN12_GLOBAL__N_112calc_igammacIdEET_S1_S1_@rel64+4
	s_delay_alu instid0(SALU_CYCLE_1)
	s_swap_pc_i64 s[30:31], s[0:1]
	v_dual_mov_b32 v74, v0 :: v_dual_mov_b32 v75, v1
.LBB7_17:
	s_or_b32 exec_lo, exec_lo, s24
	s_add_nc_u64 s[2:3], s[36:37], s[34:35]
	s_mov_b32 s0, 0
	global_store_b128 v89, v[42:45], s[2:3]
	s_wait_loadcnt 0x0
	global_store_b128 v89, v[72:75], s[2:3] offset:16
.LBB7_18:
	s_and_b32 vcc_lo, exec_lo, s0
	s_cbranch_vccz .LBB7_55
; %bb.19:
	v_mov_b64_e32 v[62:63], 0
	v_mov_b64_e32 v[0:1], 0
	;; [unrolled: 1-line block ×3, first 2 shown]
	v_cmp_gt_i32_e64 s34, s48, v88
	s_wait_xcnt 0x0
	v_dual_mov_b32 v4, v88 :: v_dual_bitop2_b32 v74, s44, v88 bitop3:0x54
	v_add_nc_u32_e32 v75, 0x100, v88
	ds_store_b8 v46, v47 offset:768
	s_and_saveexec_b32 s0, s34
	s_cbranch_execz .LBB7_21
; %bb.20:
	s_clause 0x1
	global_load_b64 v[0:1], v74, s[38:39] scale_offset
	global_load_b64 v[2:3], v74, s[46:47] scale_offset
	v_add_nc_u32_e32 v4, 0x100, v88
.LBB7_21:
	s_wait_xcnt 0x0
	s_or_b32 exec_lo, exec_lo, s0
	v_mov_b64_e32 v[72:73], 0
	s_mov_b32 s0, exec_lo
	v_cmpx_gt_i32_e64 s48, v4
	s_cbranch_execz .LBB7_23
; %bb.22:
	v_add_nc_u32_e32 v5, s44, v4
	v_add_nc_u32_e32 v4, 0x100, v4
	s_clause 0x1
	global_load_b64 v[62:63], v5, s[38:39] scale_offset
	global_load_b64 v[72:73], v5, s[46:47] scale_offset
.LBB7_23:
	s_wait_xcnt 0x0
	s_or_b32 exec_lo, exec_lo, s0
	v_mov_b64_e32 v[42:43], 0
	v_mov_b64_e32 v[58:59], 0
	;; [unrolled: 1-line block ×3, first 2 shown]
	s_mov_b32 s0, exec_lo
	v_cmpx_gt_i32_e64 s48, v4
	s_cbranch_execz .LBB7_25
; %bb.24:
	v_add_nc_u32_e32 v5, s44, v4
	v_add_nc_u32_e32 v4, 0x100, v4
	s_clause 0x1
	global_load_b64 v[58:59], v5, s[38:39] scale_offset
	global_load_b64 v[56:57], v5, s[46:47] scale_offset
.LBB7_25:
	s_wait_xcnt 0x0
	s_or_b32 exec_lo, exec_lo, s0
	v_mov_b64_e32 v[44:45], 0
	s_mov_b32 s0, exec_lo
	v_cmpx_gt_i32_e64 s48, v4
	s_cbranch_execz .LBB7_27
; %bb.26:
	v_add_nc_u32_e32 v4, s44, v4
	s_clause 0x1
	global_load_b64 v[42:43], v4, s[38:39] scale_offset
	global_load_b64 v[44:45], v4, s[46:47] scale_offset
.LBB7_27:
	s_wait_xcnt 0x0
	s_or_b32 exec_lo, exec_lo, s0
	ds_load_u8 v4, v46 offset:768
                                        ; implicit-def: $vgpr46_vgpr47
	s_wait_dscnt 0x0
	v_and_b32_e32 v4, 1, v4
	s_delay_alu instid0(VALU_DEP_1)
	v_cmp_eq_u32_e32 vcc_lo, 1, v4
	s_xor_b32 s35, vcc_lo, -1
	s_and_saveexec_b32 s38, s34
	s_cbranch_execz .LBB7_33
; %bb.28:
                                        ; implicit-def: $vgpr46_vgpr47
	s_and_saveexec_b32 s0, s35
	s_delay_alu instid0(SALU_CYCLE_1)
	s_xor_b32 s39, exec_lo, s0
	s_cbranch_execz .LBB7_30
; %bb.29:
	s_get_pc_i64 s[0:1]
	s_add_nc_u64 s[0:1], s[0:1], _ZN12_GLOBAL__N_111calc_igammaIdEET_S1_S1_@rel64+4
	s_delay_alu instid0(SALU_CYCLE_1)
	s_swap_pc_i64 s[30:31], s[0:1]
	v_dual_mov_b32 v46, v0 :: v_dual_mov_b32 v47, v1
                                        ; implicit-def: $vgpr0_vgpr1
                                        ; implicit-def: $vgpr2_vgpr3
.LBB7_30:
	s_and_not1_saveexec_b32 s24, s39
	s_cbranch_execz .LBB7_32
; %bb.31:
	s_get_pc_i64 s[0:1]
	s_add_nc_u64 s[0:1], s[0:1], _ZN12_GLOBAL__N_112calc_igammacIdEET_S1_S1_@rel64+4
	s_delay_alu instid0(SALU_CYCLE_1)
	s_swap_pc_i64 s[30:31], s[0:1]
	v_dual_mov_b32 v46, v0 :: v_dual_mov_b32 v47, v1
.LBB7_32:
	s_or_b32 exec_lo, exec_lo, s24
.LBB7_33:
	s_delay_alu instid0(SALU_CYCLE_1) | instskip(NEXT) | instid1(SALU_CYCLE_1)
	s_or_b32 exec_lo, exec_lo, s38
	s_mov_b32 s38, exec_lo
                                        ; implicit-def: $vgpr60_vgpr61
	v_cmpx_gt_i32_e64 s48, v75
	s_cbranch_execz .LBB7_39
; %bb.34:
                                        ; implicit-def: $vgpr60_vgpr61
	s_and_saveexec_b32 s0, s35
	s_delay_alu instid0(SALU_CYCLE_1)
	s_xor_b32 s39, exec_lo, s0
	s_cbranch_execz .LBB7_36
; %bb.35:
	s_wait_loadcnt 0x1
	v_dual_mov_b32 v0, v62 :: v_dual_mov_b32 v1, v63
	s_wait_loadcnt 0x0
	v_dual_mov_b32 v2, v72 :: v_dual_mov_b32 v3, v73
	s_get_pc_i64 s[0:1]
	s_add_nc_u64 s[0:1], s[0:1], _ZN12_GLOBAL__N_111calc_igammaIdEET_S1_S1_@rel64+4
	s_delay_alu instid0(SALU_CYCLE_1)
	s_swap_pc_i64 s[30:31], s[0:1]
	v_dual_mov_b32 v60, v0 :: v_dual_mov_b32 v61, v1
                                        ; implicit-def: $vgpr62_vgpr63
                                        ; implicit-def: $vgpr72_vgpr73
.LBB7_36:
	s_and_not1_saveexec_b32 s24, s39
	s_cbranch_execz .LBB7_38
; %bb.37:
	s_wait_loadcnt 0x1
	v_dual_mov_b32 v0, v62 :: v_dual_mov_b32 v1, v63
	s_wait_loadcnt 0x0
	v_dual_mov_b32 v2, v72 :: v_dual_mov_b32 v3, v73
	s_get_pc_i64 s[0:1]
	s_add_nc_u64 s[0:1], s[0:1], _ZN12_GLOBAL__N_112calc_igammacIdEET_S1_S1_@rel64+4
	s_delay_alu instid0(SALU_CYCLE_1)
	s_swap_pc_i64 s[30:31], s[0:1]
	v_dual_mov_b32 v60, v0 :: v_dual_mov_b32 v61, v1
.LBB7_38:
	s_or_b32 exec_lo, exec_lo, s24
.LBB7_39:
	s_delay_alu instid0(SALU_CYCLE_1) | instskip(SKIP_3) | instid1(VALU_DEP_1)
	s_or_b32 exec_lo, exec_lo, s38
	s_wait_loadcnt 0x1
	v_add_nc_u32_e32 v0, 0x200, v88
	s_mov_b32 s38, exec_lo
                                        ; implicit-def: $vgpr62_vgpr63
	v_cmpx_gt_i32_e64 s48, v0
	s_cbranch_execz .LBB7_45
; %bb.40:
                                        ; implicit-def: $vgpr62_vgpr63
	s_and_saveexec_b32 s0, s35
	s_delay_alu instid0(SALU_CYCLE_1)
	s_xor_b32 s39, exec_lo, s0
	s_cbranch_execz .LBB7_42
; %bb.41:
	v_dual_mov_b32 v0, v58 :: v_dual_mov_b32 v1, v59
	s_wait_loadcnt 0x0
	v_dual_mov_b32 v2, v56 :: v_dual_mov_b32 v3, v57
	s_get_pc_i64 s[0:1]
	s_add_nc_u64 s[0:1], s[0:1], _ZN12_GLOBAL__N_111calc_igammaIdEET_S1_S1_@rel64+4
	s_delay_alu instid0(SALU_CYCLE_1)
	s_swap_pc_i64 s[30:31], s[0:1]
	v_dual_mov_b32 v62, v0 :: v_dual_mov_b32 v63, v1
                                        ; implicit-def: $vgpr58_vgpr59
                                        ; implicit-def: $vgpr56_vgpr57
.LBB7_42:
	s_and_not1_saveexec_b32 s24, s39
	s_cbranch_execz .LBB7_44
; %bb.43:
	v_dual_mov_b32 v0, v58 :: v_dual_mov_b32 v1, v59
	s_wait_loadcnt 0x0
	v_dual_mov_b32 v2, v56 :: v_dual_mov_b32 v3, v57
	s_get_pc_i64 s[0:1]
	s_add_nc_u64 s[0:1], s[0:1], _ZN12_GLOBAL__N_112calc_igammacIdEET_S1_S1_@rel64+4
	s_delay_alu instid0(SALU_CYCLE_1)
	s_swap_pc_i64 s[30:31], s[0:1]
	v_dual_mov_b32 v62, v0 :: v_dual_mov_b32 v63, v1
.LBB7_44:
	s_or_b32 exec_lo, exec_lo, s24
.LBB7_45:
	s_delay_alu instid0(SALU_CYCLE_1) | instskip(SKIP_1) | instid1(VALU_DEP_1)
	s_or_b32 exec_lo, exec_lo, s38
	v_add_nc_u32_e32 v0, 0x300, v88
	v_cmp_gt_i32_e32 vcc_lo, s48, v0
                                        ; implicit-def: $vgpr0_vgpr1
	s_and_saveexec_b32 s38, vcc_lo
	s_cbranch_execz .LBB7_56
; %bb.46:
                                        ; implicit-def: $vgpr0_vgpr1
	s_and_saveexec_b32 s0, s35
	s_delay_alu instid0(SALU_CYCLE_1)
	s_xor_b32 s35, exec_lo, s0
	s_cbranch_execz .LBB7_48
; %bb.47:
	v_dual_mov_b32 v0, v42 :: v_dual_mov_b32 v1, v43
	s_wait_loadcnt 0x0
	v_dual_mov_b32 v2, v44 :: v_dual_mov_b32 v3, v45
	s_get_pc_i64 s[0:1]
	s_add_nc_u64 s[0:1], s[0:1], _ZN12_GLOBAL__N_111calc_igammaIdEET_S1_S1_@rel64+4
	s_delay_alu instid0(SALU_CYCLE_1)
	s_swap_pc_i64 s[30:31], s[0:1]
                                        ; implicit-def: $vgpr42_vgpr43
                                        ; implicit-def: $vgpr44_vgpr45
.LBB7_48:
	s_and_not1_saveexec_b32 s24, s35
	s_cbranch_execz .LBB7_50
; %bb.49:
	v_dual_mov_b32 v0, v42 :: v_dual_mov_b32 v1, v43
	s_wait_loadcnt 0x0
	v_dual_mov_b32 v2, v44 :: v_dual_mov_b32 v3, v45
	s_get_pc_i64 s[0:1]
	s_add_nc_u64 s[0:1], s[0:1], _ZN12_GLOBAL__N_112calc_igammacIdEET_S1_S1_@rel64+4
	s_delay_alu instid0(SALU_CYCLE_1)
	s_swap_pc_i64 s[30:31], s[0:1]
.LBB7_50:
	s_or_b32 exec_lo, exec_lo, s24
	s_delay_alu instid0(SALU_CYCLE_1) | instskip(SKIP_1) | instid1(SALU_CYCLE_1)
	s_or_b32 exec_lo, exec_lo, s38
	s_and_saveexec_b32 s0, s34
	s_xor_b32 s0, exec_lo, s0
	s_cbranch_execnz .LBB7_57
.LBB7_51:
	s_or_b32 exec_lo, exec_lo, s0
	s_delay_alu instid0(SALU_CYCLE_1)
	s_mov_b32 s0, exec_lo
	v_cmpx_gt_i32_e64 s48, v88
	s_cbranch_execz .LBB7_58
.LBB7_52:
	s_wait_loadcnt 0x0
	v_add_nc_u32_e32 v2, s44, v88
	v_add_nc_u32_e32 v88, 0x100, v88
	global_store_b64 v2, v[60:61], s[36:37] scale_offset
	s_wait_xcnt 0x0
	s_or_b32 exec_lo, exec_lo, s0
	s_delay_alu instid0(SALU_CYCLE_1)
	s_mov_b32 s0, exec_lo
	v_cmpx_gt_i32_e64 s48, v88
	s_cbranch_execnz .LBB7_59
.LBB7_53:
	s_or_b32 exec_lo, exec_lo, s0
	s_delay_alu instid0(SALU_CYCLE_1)
	s_mov_b32 s0, exec_lo
	v_cmpx_gt_i32_e64 s48, v88
	s_cbranch_execz .LBB7_55
.LBB7_54:
	s_wait_loadcnt 0x0
	v_add_nc_u32_e32 v2, s44, v88
	global_store_b64 v2, v[0:1], s[36:37] scale_offset
.LBB7_55:
	s_endpgm
.LBB7_56:
	s_or_b32 exec_lo, exec_lo, s38
	s_and_saveexec_b32 s0, s34
	s_delay_alu instid0(SALU_CYCLE_1)
	s_xor_b32 s0, exec_lo, s0
	s_cbranch_execz .LBB7_51
.LBB7_57:
	v_mov_b32_e32 v88, v75
	global_store_b64 v74, v[46:47], s[36:37] scale_offset
	s_wait_xcnt 0x0
	s_or_b32 exec_lo, exec_lo, s0
	s_delay_alu instid0(SALU_CYCLE_1)
	s_mov_b32 s0, exec_lo
	v_cmpx_gt_i32_e64 s48, v88
	s_cbranch_execnz .LBB7_52
.LBB7_58:
	s_or_b32 exec_lo, exec_lo, s0
	s_delay_alu instid0(SALU_CYCLE_1)
	s_mov_b32 s0, exec_lo
	v_cmpx_gt_i32_e64 s48, v88
	s_cbranch_execz .LBB7_53
.LBB7_59:
	s_wait_loadcnt 0x0
	v_add_nc_u32_e32 v2, s44, v88
	v_add_nc_u32_e32 v88, 0x100, v88
	global_store_b64 v2, v[62:63], s[36:37] scale_offset
	s_wait_xcnt 0x0
	s_or_b32 exec_lo, exec_lo, s0
	s_delay_alu instid0(SALU_CYCLE_1)
	s_mov_b32 s0, exec_lo
	v_cmpx_gt_i32_e64 s48, v88
	s_cbranch_execnz .LBB7_54
	s_branch .LBB7_55
	.section	.rodata,"a",@progbits
	.p2align	6, 0x0
	.amdhsa_kernel _ZN2at6native29vectorized_elementwise_kernelILi4EN12_GLOBAL__N_110CalcIgammaIdEESt5arrayIPcLm3EEEEviT0_T1_
		.amdhsa_group_segment_fixed_size 1024
		.amdhsa_private_segment_fixed_size 240
		.amdhsa_kernarg_size 32
		.amdhsa_user_sgpr_count 4
		.amdhsa_user_sgpr_dispatch_ptr 1
		.amdhsa_user_sgpr_queue_ptr 0
		.amdhsa_user_sgpr_kernarg_segment_ptr 1
		.amdhsa_user_sgpr_dispatch_id 0
		.amdhsa_user_sgpr_kernarg_preload_length 0
		.amdhsa_user_sgpr_kernarg_preload_offset 0
		.amdhsa_user_sgpr_private_segment_size 0
		.amdhsa_wavefront_size32 1
		.amdhsa_uses_dynamic_stack 0
		.amdhsa_enable_private_segment 1
		.amdhsa_system_sgpr_workgroup_id_x 1
		.amdhsa_system_sgpr_workgroup_id_y 0
		.amdhsa_system_sgpr_workgroup_id_z 0
		.amdhsa_system_sgpr_workgroup_info 0
		.amdhsa_system_vgpr_workitem_id 2
		.amdhsa_next_free_vgpr 120
		.amdhsa_next_free_sgpr 50
		.amdhsa_named_barrier_count 0
		.amdhsa_reserve_vcc 1
		.amdhsa_float_round_mode_32 0
		.amdhsa_float_round_mode_16_64 0
		.amdhsa_float_denorm_mode_32 3
		.amdhsa_float_denorm_mode_16_64 3
		.amdhsa_fp16_overflow 0
		.amdhsa_memory_ordered 1
		.amdhsa_forward_progress 1
		.amdhsa_inst_pref_size 18
		.amdhsa_round_robin_scheduling 0
		.amdhsa_exception_fp_ieee_invalid_op 0
		.amdhsa_exception_fp_denorm_src 0
		.amdhsa_exception_fp_ieee_div_zero 0
		.amdhsa_exception_fp_ieee_overflow 0
		.amdhsa_exception_fp_ieee_underflow 0
		.amdhsa_exception_fp_ieee_inexact 0
		.amdhsa_exception_int_div_zero 0
	.end_amdhsa_kernel
	.section	.text._ZN2at6native29vectorized_elementwise_kernelILi4EN12_GLOBAL__N_110CalcIgammaIdEESt5arrayIPcLm3EEEEviT0_T1_,"axG",@progbits,_ZN2at6native29vectorized_elementwise_kernelILi4EN12_GLOBAL__N_110CalcIgammaIdEESt5arrayIPcLm3EEEEviT0_T1_,comdat
.Lfunc_end7:
	.size	_ZN2at6native29vectorized_elementwise_kernelILi4EN12_GLOBAL__N_110CalcIgammaIdEESt5arrayIPcLm3EEEEviT0_T1_, .Lfunc_end7-_ZN2at6native29vectorized_elementwise_kernelILi4EN12_GLOBAL__N_110CalcIgammaIdEESt5arrayIPcLm3EEEEviT0_T1_
                                        ; -- End function
	.set _ZN2at6native29vectorized_elementwise_kernelILi4EN12_GLOBAL__N_110CalcIgammaIdEESt5arrayIPcLm3EEEEviT0_T1_.num_vgpr, max(90, .L_ZN12_GLOBAL__N_111calc_igammaIdEET_S1_S1_.num_vgpr, .L_ZN12_GLOBAL__N_112calc_igammacIdEET_S1_S1_.num_vgpr)
	.set _ZN2at6native29vectorized_elementwise_kernelILi4EN12_GLOBAL__N_110CalcIgammaIdEESt5arrayIPcLm3EEEEviT0_T1_.num_agpr, max(0, .L_ZN12_GLOBAL__N_111calc_igammaIdEET_S1_S1_.num_agpr, .L_ZN12_GLOBAL__N_112calc_igammacIdEET_S1_S1_.num_agpr)
	.set _ZN2at6native29vectorized_elementwise_kernelILi4EN12_GLOBAL__N_110CalcIgammaIdEESt5arrayIPcLm3EEEEviT0_T1_.numbered_sgpr, max(50, .L_ZN12_GLOBAL__N_111calc_igammaIdEET_S1_S1_.numbered_sgpr, .L_ZN12_GLOBAL__N_112calc_igammacIdEET_S1_S1_.numbered_sgpr)
	.set _ZN2at6native29vectorized_elementwise_kernelILi4EN12_GLOBAL__N_110CalcIgammaIdEESt5arrayIPcLm3EEEEviT0_T1_.num_named_barrier, max(0, .L_ZN12_GLOBAL__N_111calc_igammaIdEET_S1_S1_.num_named_barrier, .L_ZN12_GLOBAL__N_112calc_igammacIdEET_S1_S1_.num_named_barrier)
	.set _ZN2at6native29vectorized_elementwise_kernelILi4EN12_GLOBAL__N_110CalcIgammaIdEESt5arrayIPcLm3EEEEviT0_T1_.private_seg_size, 0+max(.L_ZN12_GLOBAL__N_111calc_igammaIdEET_S1_S1_.private_seg_size, .L_ZN12_GLOBAL__N_112calc_igammacIdEET_S1_S1_.private_seg_size)
	.set _ZN2at6native29vectorized_elementwise_kernelILi4EN12_GLOBAL__N_110CalcIgammaIdEESt5arrayIPcLm3EEEEviT0_T1_.uses_vcc, or(1, .L_ZN12_GLOBAL__N_111calc_igammaIdEET_S1_S1_.uses_vcc, .L_ZN12_GLOBAL__N_112calc_igammacIdEET_S1_S1_.uses_vcc)
	.set _ZN2at6native29vectorized_elementwise_kernelILi4EN12_GLOBAL__N_110CalcIgammaIdEESt5arrayIPcLm3EEEEviT0_T1_.uses_flat_scratch, or(0, .L_ZN12_GLOBAL__N_111calc_igammaIdEET_S1_S1_.uses_flat_scratch, .L_ZN12_GLOBAL__N_112calc_igammacIdEET_S1_S1_.uses_flat_scratch)
	.set _ZN2at6native29vectorized_elementwise_kernelILi4EN12_GLOBAL__N_110CalcIgammaIdEESt5arrayIPcLm3EEEEviT0_T1_.has_dyn_sized_stack, or(0, .L_ZN12_GLOBAL__N_111calc_igammaIdEET_S1_S1_.has_dyn_sized_stack, .L_ZN12_GLOBAL__N_112calc_igammacIdEET_S1_S1_.has_dyn_sized_stack)
	.set _ZN2at6native29vectorized_elementwise_kernelILi4EN12_GLOBAL__N_110CalcIgammaIdEESt5arrayIPcLm3EEEEviT0_T1_.has_recursion, or(0, .L_ZN12_GLOBAL__N_111calc_igammaIdEET_S1_S1_.has_recursion, .L_ZN12_GLOBAL__N_112calc_igammacIdEET_S1_S1_.has_recursion)
	.set _ZN2at6native29vectorized_elementwise_kernelILi4EN12_GLOBAL__N_110CalcIgammaIdEESt5arrayIPcLm3EEEEviT0_T1_.has_indirect_call, or(0, .L_ZN12_GLOBAL__N_111calc_igammaIdEET_S1_S1_.has_indirect_call, .L_ZN12_GLOBAL__N_112calc_igammacIdEET_S1_S1_.has_indirect_call)
	.section	.AMDGPU.csdata,"",@progbits
; Kernel info:
; codeLenInByte = 2228
; TotalNumSgprs: 52
; NumVgprs: 120
; ScratchSize: 240
; MemoryBound: 1
; FloatMode: 240
; IeeeMode: 1
; LDSByteSize: 1024 bytes/workgroup (compile time only)
; SGPRBlocks: 0
; VGPRBlocks: 7
; NumSGPRsForWavesPerEU: 52
; NumVGPRsForWavesPerEU: 120
; NamedBarCnt: 0
; Occupancy: 8
; WaveLimiterHint : 0
; COMPUTE_PGM_RSRC2:SCRATCH_EN: 1
; COMPUTE_PGM_RSRC2:USER_SGPR: 4
; COMPUTE_PGM_RSRC2:TRAP_HANDLER: 0
; COMPUTE_PGM_RSRC2:TGID_X_EN: 1
; COMPUTE_PGM_RSRC2:TGID_Y_EN: 0
; COMPUTE_PGM_RSRC2:TGID_Z_EN: 0
; COMPUTE_PGM_RSRC2:TIDIG_COMP_CNT: 2
	.section	.text._ZN2at6native29vectorized_elementwise_kernelILi2EN12_GLOBAL__N_110CalcIgammaIdEESt5arrayIPcLm3EEEEviT0_T1_,"axG",@progbits,_ZN2at6native29vectorized_elementwise_kernelILi2EN12_GLOBAL__N_110CalcIgammaIdEESt5arrayIPcLm3EEEEviT0_T1_,comdat
	.globl	_ZN2at6native29vectorized_elementwise_kernelILi2EN12_GLOBAL__N_110CalcIgammaIdEESt5arrayIPcLm3EEEEviT0_T1_ ; -- Begin function _ZN2at6native29vectorized_elementwise_kernelILi2EN12_GLOBAL__N_110CalcIgammaIdEESt5arrayIPcLm3EEEEviT0_T1_
	.p2align	8
	.type	_ZN2at6native29vectorized_elementwise_kernelILi2EN12_GLOBAL__N_110CalcIgammaIdEESt5arrayIPcLm3EEEEviT0_T1_,@function
_ZN2at6native29vectorized_elementwise_kernelILi2EN12_GLOBAL__N_110CalcIgammaIdEESt5arrayIPcLm3EEEEviT0_T1_: ; @_ZN2at6native29vectorized_elementwise_kernelILi2EN12_GLOBAL__N_110CalcIgammaIdEESt5arrayIPcLm3EEEEviT0_T1_
; %bb.0:
	s_load_b64 s[4:5], s[0:1], 0x4
	s_load_b64 s[6:7], s[2:3], 0x0
	v_and_b32_e32 v88, 0x3ff, v0
	v_bfe_u32 v2, v0, 10, 10
	v_bfe_u32 v0, v0, 20, 10
	s_clause 0x1
	s_load_b128 s[36:39], s[2:3], 0x8
	s_load_b64 s[46:47], s[2:3], 0x18
	s_wait_xcnt 0x0
	s_and_b32 s1, ttmp6, 15
	s_getreg_b32 s2, hwreg(HW_REG_IB_STS2, 6, 4)
	s_mov_b32 s32, 0
	s_wait_kmcnt 0x0
	s_lshr_b32 s0, s4, 16
	v_mul_u32_u24_e32 v2, s5, v2
	s_mul_i32 s0, s0, s5
	s_delay_alu instid0(SALU_CYCLE_1) | instskip(SKIP_1) | instid1(SALU_CYCLE_1)
	v_mul_lo_u32 v1, s0, v88
	s_and_b32 s0, s7, 1
	v_mov_b32_e32 v3, s0
	s_bfe_u32 s0, ttmp6, 0x4000c
	s_delay_alu instid0(SALU_CYCLE_1) | instskip(NEXT) | instid1(SALU_CYCLE_1)
	s_add_co_i32 s0, s0, 1
	s_mul_i32 s0, ttmp9, s0
	s_delay_alu instid0(SALU_CYCLE_1) | instskip(NEXT) | instid1(VALU_DEP_2)
	s_add_co_i32 s1, s1, s0
	v_add3_u32 v46, v1, v2, v0
	s_cmp_eq_u32 s2, 0
	s_cselect_b32 s0, ttmp9, s1
	s_delay_alu instid0(SALU_CYCLE_1)
	s_lshl_b32 s44, s0, 10
	ds_store_b8 v46, v3
	ds_load_u8 v0, v46
	s_sub_co_i32 s48, s6, s44
	s_mov_b32 s0, -1
	s_cmp_gt_i32 s48, 0x3ff
	s_wait_dscnt 0x0
	v_and_b32_e32 v0, 1, v0
	s_delay_alu instid0(VALU_DEP_1)
	v_cmp_eq_u32_e32 vcc_lo, 1, v0
	ds_store_b8 v46, v0 offset:256
	v_cndmask_b32_e64 v47, 0, 1, vcc_lo
	s_cbranch_scc0 .LBB8_18
; %bb.1:
	s_ashr_i32 s45, s44, 31
                                        ; implicit-def: $vgpr42_vgpr43
	s_delay_alu instid0(SALU_CYCLE_1) | instskip(NEXT) | instid1(SALU_CYCLE_1)
	s_lshl_b64 s[34:35], s[44:45], 3
	s_add_nc_u64 s[0:1], s[38:39], s[34:35]
	s_add_nc_u64 s[2:3], s[46:47], s[34:35]
	s_clause 0x3
	global_load_b128 v[76:79], v88, s[0:1] scale_offset
	global_load_b128 v[60:63], v88, s[0:1] offset:4096 scale_offset
	global_load_b128 v[72:75], v88, s[2:3] scale_offset
	global_load_b128 v[56:59], v88, s[2:3] offset:4096 scale_offset
	ds_store_b8 v46, v47 offset:512
	ds_load_u8 v0, v46 offset:512
	s_wait_dscnt 0x0
	v_and_b32_e32 v0, 1, v0
	s_delay_alu instid0(VALU_DEP_1) | instskip(SKIP_3) | instid1(SALU_CYCLE_1)
	v_cmp_eq_u32_e32 vcc_lo, 1, v0
	s_xor_b32 s45, vcc_lo, -1
	s_wait_xcnt 0x0
	s_and_saveexec_b32 s0, s45
	s_xor_b32 s49, exec_lo, s0
	s_cbranch_execz .LBB8_5
; %bb.2:
	s_wait_loadcnt 0x3
	v_dual_mov_b32 v0, v76 :: v_dual_mov_b32 v1, v77
	s_wait_loadcnt 0x1
	v_dual_mov_b32 v2, v72 :: v_dual_mov_b32 v3, v73
	s_get_pc_i64 s[0:1]
	s_add_nc_u64 s[0:1], s[0:1], _ZN12_GLOBAL__N_111calc_igammaIdEET_S1_S1_@rel64+4
	s_delay_alu instid0(SALU_CYCLE_1)
	s_swap_pc_i64 s[30:31], s[0:1]
	v_dual_mov_b32 v42, v0 :: v_dual_mov_b32 v43, v1
	s_and_not1_saveexec_b32 s24, s49
	s_cbranch_execnz .LBB8_6
.LBB8_3:
	s_or_b32 exec_lo, exec_lo, s24
	s_and_saveexec_b32 s0, s45
	s_delay_alu instid0(SALU_CYCLE_1)
	s_xor_b32 s49, exec_lo, s0
	s_cbranch_execz .LBB8_7
.LBB8_4:
	s_wait_loadcnt 0x3
	v_dual_mov_b32 v0, v78 :: v_dual_mov_b32 v1, v79
	s_wait_loadcnt 0x1
	v_dual_mov_b32 v2, v74 :: v_dual_mov_b32 v3, v75
	s_get_pc_i64 s[0:1]
	s_add_nc_u64 s[0:1], s[0:1], _ZN12_GLOBAL__N_111calc_igammaIdEET_S1_S1_@rel64+4
	s_delay_alu instid0(SALU_CYCLE_1)
	s_swap_pc_i64 s[30:31], s[0:1]
	v_dual_mov_b32 v44, v0 :: v_dual_mov_b32 v45, v1
                                        ; implicit-def: $vgpr76_vgpr77_vgpr78_vgpr79
                                        ; implicit-def: $vgpr72_vgpr73_vgpr74_vgpr75
	s_and_not1_saveexec_b32 s24, s49
	s_cbranch_execz .LBB8_9
	s_branch .LBB8_8
.LBB8_5:
	s_and_not1_saveexec_b32 s24, s49
	s_cbranch_execz .LBB8_3
.LBB8_6:
	s_wait_loadcnt 0x3
	v_dual_mov_b32 v0, v76 :: v_dual_mov_b32 v1, v77
	s_wait_loadcnt 0x1
	v_dual_mov_b32 v2, v72 :: v_dual_mov_b32 v3, v73
	s_get_pc_i64 s[0:1]
	s_add_nc_u64 s[0:1], s[0:1], _ZN12_GLOBAL__N_112calc_igammacIdEET_S1_S1_@rel64+4
	s_delay_alu instid0(SALU_CYCLE_1) | instskip(SKIP_3) | instid1(SALU_CYCLE_1)
	s_swap_pc_i64 s[30:31], s[0:1]
	v_dual_mov_b32 v42, v0 :: v_dual_mov_b32 v43, v1
	s_or_b32 exec_lo, exec_lo, s24
	s_and_saveexec_b32 s0, s45
	s_xor_b32 s49, exec_lo, s0
	s_cbranch_execnz .LBB8_4
.LBB8_7:
	s_and_not1_saveexec_b32 s24, s49
	s_cbranch_execz .LBB8_9
.LBB8_8:
	s_wait_loadcnt 0x3
	v_dual_mov_b32 v0, v78 :: v_dual_mov_b32 v1, v79
	s_wait_loadcnt 0x1
	v_dual_mov_b32 v2, v74 :: v_dual_mov_b32 v3, v75
	s_get_pc_i64 s[0:1]
	s_add_nc_u64 s[0:1], s[0:1], _ZN12_GLOBAL__N_112calc_igammacIdEET_S1_S1_@rel64+4
	s_delay_alu instid0(SALU_CYCLE_1)
	s_swap_pc_i64 s[30:31], s[0:1]
	v_dual_mov_b32 v44, v0 :: v_dual_mov_b32 v45, v1
.LBB8_9:
	s_or_b32 exec_lo, exec_lo, s24
                                        ; implicit-def: $vgpr72_vgpr73
	s_and_saveexec_b32 s0, s45
	s_delay_alu instid0(SALU_CYCLE_1)
	s_xor_b32 s49, exec_lo, s0
	s_cbranch_execz .LBB8_13
; %bb.10:
	s_wait_loadcnt 0x2
	v_dual_mov_b32 v0, v60 :: v_dual_mov_b32 v1, v61
	s_wait_loadcnt 0x0
	v_dual_mov_b32 v2, v56 :: v_dual_mov_b32 v3, v57
	s_get_pc_i64 s[0:1]
	s_add_nc_u64 s[0:1], s[0:1], _ZN12_GLOBAL__N_111calc_igammaIdEET_S1_S1_@rel64+4
	s_delay_alu instid0(SALU_CYCLE_1)
	s_swap_pc_i64 s[30:31], s[0:1]
	v_dual_mov_b32 v72, v0 :: v_dual_mov_b32 v73, v1
	s_and_not1_saveexec_b32 s24, s49
	s_cbranch_execnz .LBB8_14
.LBB8_11:
	s_or_b32 exec_lo, exec_lo, s24
	s_and_saveexec_b32 s0, s45
	s_delay_alu instid0(SALU_CYCLE_1)
	s_xor_b32 s45, exec_lo, s0
	s_cbranch_execz .LBB8_15
.LBB8_12:
	s_wait_loadcnt 0x2
	v_dual_mov_b32 v0, v62 :: v_dual_mov_b32 v1, v63
	s_wait_loadcnt 0x0
	v_dual_mov_b32 v2, v58 :: v_dual_mov_b32 v3, v59
	s_get_pc_i64 s[0:1]
	s_add_nc_u64 s[0:1], s[0:1], _ZN12_GLOBAL__N_111calc_igammaIdEET_S1_S1_@rel64+4
	s_delay_alu instid0(SALU_CYCLE_1)
	s_swap_pc_i64 s[30:31], s[0:1]
	v_dual_mov_b32 v74, v0 :: v_dual_mov_b32 v75, v1
                                        ; implicit-def: $vgpr60_vgpr61_vgpr62_vgpr63
                                        ; implicit-def: $vgpr56_vgpr57_vgpr58_vgpr59
	s_and_not1_saveexec_b32 s24, s45
	s_cbranch_execnz .LBB8_16
	s_branch .LBB8_17
.LBB8_13:
	s_and_not1_saveexec_b32 s24, s49
	s_cbranch_execz .LBB8_11
.LBB8_14:
	s_wait_loadcnt 0x2
	v_dual_mov_b32 v0, v60 :: v_dual_mov_b32 v1, v61
	s_wait_loadcnt 0x0
	v_dual_mov_b32 v2, v56 :: v_dual_mov_b32 v3, v57
	s_get_pc_i64 s[0:1]
	s_add_nc_u64 s[0:1], s[0:1], _ZN12_GLOBAL__N_112calc_igammacIdEET_S1_S1_@rel64+4
	s_delay_alu instid0(SALU_CYCLE_1) | instskip(SKIP_3) | instid1(SALU_CYCLE_1)
	s_swap_pc_i64 s[30:31], s[0:1]
	v_dual_mov_b32 v72, v0 :: v_dual_mov_b32 v73, v1
	s_or_b32 exec_lo, exec_lo, s24
	s_and_saveexec_b32 s0, s45
	s_xor_b32 s45, exec_lo, s0
	s_cbranch_execnz .LBB8_12
.LBB8_15:
	s_and_not1_saveexec_b32 s24, s45
	s_cbranch_execz .LBB8_17
.LBB8_16:
	s_wait_loadcnt 0x2
	v_dual_mov_b32 v0, v62 :: v_dual_mov_b32 v1, v63
	s_wait_loadcnt 0x0
	v_dual_mov_b32 v2, v58 :: v_dual_mov_b32 v3, v59
	s_get_pc_i64 s[0:1]
	s_add_nc_u64 s[0:1], s[0:1], _ZN12_GLOBAL__N_112calc_igammacIdEET_S1_S1_@rel64+4
	s_delay_alu instid0(SALU_CYCLE_1)
	s_swap_pc_i64 s[30:31], s[0:1]
	v_dual_mov_b32 v74, v0 :: v_dual_mov_b32 v75, v1
.LBB8_17:
	s_or_b32 exec_lo, exec_lo, s24
	s_add_nc_u64 s[2:3], s[36:37], s[34:35]
	s_mov_b32 s0, 0
	global_store_b128 v88, v[42:45], s[2:3] scale_offset
	s_wait_loadcnt 0x1
	global_store_b128 v88, v[72:75], s[2:3] offset:4096 scale_offset
.LBB8_18:
	s_and_b32 vcc_lo, exec_lo, s0
	s_cbranch_vccz .LBB8_55
; %bb.19:
	v_mov_b64_e32 v[62:63], 0
	v_mov_b64_e32 v[0:1], 0
	v_mov_b64_e32 v[2:3], 0
	v_cmp_gt_i32_e64 s34, s48, v88
	s_wait_xcnt 0x0
	v_dual_mov_b32 v4, v88 :: v_dual_bitop2_b32 v74, s44, v88 bitop3:0x54
	v_add_nc_u32_e32 v75, 0x100, v88
	ds_store_b8 v46, v47 offset:768
	s_and_saveexec_b32 s0, s34
	s_cbranch_execz .LBB8_21
; %bb.20:
	s_clause 0x1
	global_load_b64 v[0:1], v74, s[38:39] scale_offset
	global_load_b64 v[2:3], v74, s[46:47] scale_offset
	v_add_nc_u32_e32 v4, 0x100, v88
.LBB8_21:
	s_wait_xcnt 0x0
	s_or_b32 exec_lo, exec_lo, s0
	v_mov_b64_e32 v[72:73], 0
	s_mov_b32 s0, exec_lo
	v_cmpx_gt_i32_e64 s48, v4
	s_cbranch_execz .LBB8_23
; %bb.22:
	v_add_nc_u32_e32 v5, s44, v4
	v_add_nc_u32_e32 v4, 0x100, v4
	s_clause 0x1
	global_load_b64 v[62:63], v5, s[38:39] scale_offset
	global_load_b64 v[72:73], v5, s[46:47] scale_offset
.LBB8_23:
	s_wait_xcnt 0x0
	s_or_b32 exec_lo, exec_lo, s0
	v_mov_b64_e32 v[42:43], 0
	s_wait_loadcnt 0x0
	v_mov_b64_e32 v[58:59], 0
	v_mov_b64_e32 v[56:57], 0
	s_mov_b32 s0, exec_lo
	v_cmpx_gt_i32_e64 s48, v4
	s_cbranch_execz .LBB8_25
; %bb.24:
	v_add_nc_u32_e32 v5, s44, v4
	v_add_nc_u32_e32 v4, 0x100, v4
	s_clause 0x1
	global_load_b64 v[58:59], v5, s[38:39] scale_offset
	global_load_b64 v[56:57], v5, s[46:47] scale_offset
.LBB8_25:
	s_wait_xcnt 0x0
	s_or_b32 exec_lo, exec_lo, s0
	v_mov_b64_e32 v[44:45], 0
	s_mov_b32 s0, exec_lo
	v_cmpx_gt_i32_e64 s48, v4
	s_cbranch_execz .LBB8_27
; %bb.26:
	v_add_nc_u32_e32 v4, s44, v4
	s_clause 0x1
	global_load_b64 v[42:43], v4, s[38:39] scale_offset
	global_load_b64 v[44:45], v4, s[46:47] scale_offset
.LBB8_27:
	s_wait_xcnt 0x0
	s_or_b32 exec_lo, exec_lo, s0
	ds_load_u8 v4, v46 offset:768
                                        ; implicit-def: $vgpr46_vgpr47
	s_wait_dscnt 0x0
	v_and_b32_e32 v4, 1, v4
	s_delay_alu instid0(VALU_DEP_1)
	v_cmp_eq_u32_e32 vcc_lo, 1, v4
	s_xor_b32 s35, vcc_lo, -1
	s_and_saveexec_b32 s38, s34
	s_cbranch_execz .LBB8_33
; %bb.28:
                                        ; implicit-def: $vgpr46_vgpr47
	s_and_saveexec_b32 s0, s35
	s_delay_alu instid0(SALU_CYCLE_1)
	s_xor_b32 s39, exec_lo, s0
	s_cbranch_execz .LBB8_30
; %bb.29:
	s_get_pc_i64 s[0:1]
	s_add_nc_u64 s[0:1], s[0:1], _ZN12_GLOBAL__N_111calc_igammaIdEET_S1_S1_@rel64+4
	s_delay_alu instid0(SALU_CYCLE_1)
	s_swap_pc_i64 s[30:31], s[0:1]
	v_dual_mov_b32 v46, v0 :: v_dual_mov_b32 v47, v1
                                        ; implicit-def: $vgpr0_vgpr1
                                        ; implicit-def: $vgpr2_vgpr3
.LBB8_30:
	s_and_not1_saveexec_b32 s24, s39
	s_cbranch_execz .LBB8_32
; %bb.31:
	s_get_pc_i64 s[0:1]
	s_add_nc_u64 s[0:1], s[0:1], _ZN12_GLOBAL__N_112calc_igammacIdEET_S1_S1_@rel64+4
	s_delay_alu instid0(SALU_CYCLE_1)
	s_swap_pc_i64 s[30:31], s[0:1]
	v_dual_mov_b32 v46, v0 :: v_dual_mov_b32 v47, v1
.LBB8_32:
	s_or_b32 exec_lo, exec_lo, s24
.LBB8_33:
	s_delay_alu instid0(SALU_CYCLE_1) | instskip(NEXT) | instid1(SALU_CYCLE_1)
	s_or_b32 exec_lo, exec_lo, s38
	s_mov_b32 s38, exec_lo
                                        ; implicit-def: $vgpr60_vgpr61
	v_cmpx_gt_i32_e64 s48, v75
	s_cbranch_execz .LBB8_39
; %bb.34:
                                        ; implicit-def: $vgpr60_vgpr61
	s_and_saveexec_b32 s0, s35
	s_delay_alu instid0(SALU_CYCLE_1)
	s_xor_b32 s39, exec_lo, s0
	s_cbranch_execz .LBB8_36
; %bb.35:
	v_dual_mov_b32 v0, v62 :: v_dual_mov_b32 v1, v63
	v_dual_mov_b32 v2, v72 :: v_dual_mov_b32 v3, v73
	s_get_pc_i64 s[0:1]
	s_add_nc_u64 s[0:1], s[0:1], _ZN12_GLOBAL__N_111calc_igammaIdEET_S1_S1_@rel64+4
	s_delay_alu instid0(SALU_CYCLE_1)
	s_swap_pc_i64 s[30:31], s[0:1]
	v_dual_mov_b32 v60, v0 :: v_dual_mov_b32 v61, v1
                                        ; implicit-def: $vgpr62_vgpr63
                                        ; implicit-def: $vgpr72_vgpr73
.LBB8_36:
	s_and_not1_saveexec_b32 s24, s39
	s_cbranch_execz .LBB8_38
; %bb.37:
	v_dual_mov_b32 v0, v62 :: v_dual_mov_b32 v1, v63
	v_dual_mov_b32 v2, v72 :: v_dual_mov_b32 v3, v73
	s_get_pc_i64 s[0:1]
	s_add_nc_u64 s[0:1], s[0:1], _ZN12_GLOBAL__N_112calc_igammacIdEET_S1_S1_@rel64+4
	s_delay_alu instid0(SALU_CYCLE_1)
	s_swap_pc_i64 s[30:31], s[0:1]
	v_dual_mov_b32 v60, v0 :: v_dual_mov_b32 v61, v1
.LBB8_38:
	s_or_b32 exec_lo, exec_lo, s24
.LBB8_39:
	s_delay_alu instid0(SALU_CYCLE_1) | instskip(SKIP_2) | instid1(VALU_DEP_1)
	s_or_b32 exec_lo, exec_lo, s38
	v_add_nc_u32_e32 v0, 0x200, v88
	s_mov_b32 s38, exec_lo
                                        ; implicit-def: $vgpr62_vgpr63
	v_cmpx_gt_i32_e64 s48, v0
	s_cbranch_execz .LBB8_45
; %bb.40:
                                        ; implicit-def: $vgpr62_vgpr63
	s_and_saveexec_b32 s0, s35
	s_delay_alu instid0(SALU_CYCLE_1)
	s_xor_b32 s39, exec_lo, s0
	s_cbranch_execz .LBB8_42
; %bb.41:
	s_wait_loadcnt 0x1
	v_dual_mov_b32 v0, v58 :: v_dual_mov_b32 v1, v59
	s_wait_loadcnt 0x0
	v_dual_mov_b32 v2, v56 :: v_dual_mov_b32 v3, v57
	s_get_pc_i64 s[0:1]
	s_add_nc_u64 s[0:1], s[0:1], _ZN12_GLOBAL__N_111calc_igammaIdEET_S1_S1_@rel64+4
	s_delay_alu instid0(SALU_CYCLE_1)
	s_swap_pc_i64 s[30:31], s[0:1]
	v_dual_mov_b32 v62, v0 :: v_dual_mov_b32 v63, v1
                                        ; implicit-def: $vgpr58_vgpr59
                                        ; implicit-def: $vgpr56_vgpr57
.LBB8_42:
	s_and_not1_saveexec_b32 s24, s39
	s_cbranch_execz .LBB8_44
; %bb.43:
	s_wait_loadcnt 0x1
	v_dual_mov_b32 v0, v58 :: v_dual_mov_b32 v1, v59
	s_wait_loadcnt 0x0
	v_dual_mov_b32 v2, v56 :: v_dual_mov_b32 v3, v57
	s_get_pc_i64 s[0:1]
	s_add_nc_u64 s[0:1], s[0:1], _ZN12_GLOBAL__N_112calc_igammacIdEET_S1_S1_@rel64+4
	s_delay_alu instid0(SALU_CYCLE_1)
	s_swap_pc_i64 s[30:31], s[0:1]
	v_dual_mov_b32 v62, v0 :: v_dual_mov_b32 v63, v1
.LBB8_44:
	s_or_b32 exec_lo, exec_lo, s24
.LBB8_45:
	s_delay_alu instid0(SALU_CYCLE_1) | instskip(SKIP_1) | instid1(VALU_DEP_1)
	s_or_b32 exec_lo, exec_lo, s38
	v_add_nc_u32_e32 v0, 0x300, v88
	v_cmp_gt_i32_e32 vcc_lo, s48, v0
                                        ; implicit-def: $vgpr0_vgpr1
	s_and_saveexec_b32 s38, vcc_lo
	s_cbranch_execz .LBB8_56
; %bb.46:
                                        ; implicit-def: $vgpr0_vgpr1
	s_and_saveexec_b32 s0, s35
	s_delay_alu instid0(SALU_CYCLE_1)
	s_xor_b32 s35, exec_lo, s0
	s_cbranch_execz .LBB8_48
; %bb.47:
	s_wait_loadcnt 0x1
	v_dual_mov_b32 v0, v42 :: v_dual_mov_b32 v1, v43
	s_wait_loadcnt 0x0
	v_dual_mov_b32 v2, v44 :: v_dual_mov_b32 v3, v45
	s_get_pc_i64 s[0:1]
	s_add_nc_u64 s[0:1], s[0:1], _ZN12_GLOBAL__N_111calc_igammaIdEET_S1_S1_@rel64+4
	s_delay_alu instid0(SALU_CYCLE_1)
	s_swap_pc_i64 s[30:31], s[0:1]
                                        ; implicit-def: $vgpr42_vgpr43
                                        ; implicit-def: $vgpr44_vgpr45
.LBB8_48:
	s_and_not1_saveexec_b32 s24, s35
	s_cbranch_execz .LBB8_50
; %bb.49:
	s_wait_loadcnt 0x1
	v_dual_mov_b32 v0, v42 :: v_dual_mov_b32 v1, v43
	s_wait_loadcnt 0x0
	v_dual_mov_b32 v2, v44 :: v_dual_mov_b32 v3, v45
	s_get_pc_i64 s[0:1]
	s_add_nc_u64 s[0:1], s[0:1], _ZN12_GLOBAL__N_112calc_igammacIdEET_S1_S1_@rel64+4
	s_delay_alu instid0(SALU_CYCLE_1)
	s_swap_pc_i64 s[30:31], s[0:1]
.LBB8_50:
	s_or_b32 exec_lo, exec_lo, s24
	s_delay_alu instid0(SALU_CYCLE_1) | instskip(SKIP_1) | instid1(SALU_CYCLE_1)
	s_or_b32 exec_lo, exec_lo, s38
	s_and_saveexec_b32 s0, s34
	s_xor_b32 s0, exec_lo, s0
	s_cbranch_execnz .LBB8_57
.LBB8_51:
	s_or_b32 exec_lo, exec_lo, s0
	s_delay_alu instid0(SALU_CYCLE_1)
	s_mov_b32 s0, exec_lo
	v_cmpx_gt_i32_e64 s48, v88
	s_cbranch_execz .LBB8_58
.LBB8_52:
	v_add_nc_u32_e32 v2, s44, v88
	v_add_nc_u32_e32 v88, 0x100, v88
	global_store_b64 v2, v[60:61], s[36:37] scale_offset
	s_wait_xcnt 0x0
	s_or_b32 exec_lo, exec_lo, s0
	s_delay_alu instid0(SALU_CYCLE_1)
	s_mov_b32 s0, exec_lo
	v_cmpx_gt_i32_e64 s48, v88
	s_cbranch_execnz .LBB8_59
.LBB8_53:
	s_or_b32 exec_lo, exec_lo, s0
	s_delay_alu instid0(SALU_CYCLE_1)
	s_mov_b32 s0, exec_lo
	v_cmpx_gt_i32_e64 s48, v88
	s_cbranch_execz .LBB8_55
.LBB8_54:
	v_add_nc_u32_e32 v2, s44, v88
	global_store_b64 v2, v[0:1], s[36:37] scale_offset
.LBB8_55:
	s_endpgm
.LBB8_56:
	s_or_b32 exec_lo, exec_lo, s38
	s_and_saveexec_b32 s0, s34
	s_delay_alu instid0(SALU_CYCLE_1)
	s_xor_b32 s0, exec_lo, s0
	s_cbranch_execz .LBB8_51
.LBB8_57:
	v_mov_b32_e32 v88, v75
	global_store_b64 v74, v[46:47], s[36:37] scale_offset
	s_wait_xcnt 0x0
	s_or_b32 exec_lo, exec_lo, s0
	s_delay_alu instid0(SALU_CYCLE_1)
	s_mov_b32 s0, exec_lo
	v_cmpx_gt_i32_e64 s48, v88
	s_cbranch_execnz .LBB8_52
.LBB8_58:
	s_or_b32 exec_lo, exec_lo, s0
	s_delay_alu instid0(SALU_CYCLE_1)
	s_mov_b32 s0, exec_lo
	v_cmpx_gt_i32_e64 s48, v88
	s_cbranch_execz .LBB8_53
.LBB8_59:
	v_add_nc_u32_e32 v2, s44, v88
	v_add_nc_u32_e32 v88, 0x100, v88
	global_store_b64 v2, v[62:63], s[36:37] scale_offset
	s_wait_xcnt 0x0
	s_or_b32 exec_lo, exec_lo, s0
	s_delay_alu instid0(SALU_CYCLE_1)
	s_mov_b32 s0, exec_lo
	v_cmpx_gt_i32_e64 s48, v88
	s_cbranch_execnz .LBB8_54
	s_branch .LBB8_55
	.section	.rodata,"a",@progbits
	.p2align	6, 0x0
	.amdhsa_kernel _ZN2at6native29vectorized_elementwise_kernelILi2EN12_GLOBAL__N_110CalcIgammaIdEESt5arrayIPcLm3EEEEviT0_T1_
		.amdhsa_group_segment_fixed_size 1024
		.amdhsa_private_segment_fixed_size 240
		.amdhsa_kernarg_size 32
		.amdhsa_user_sgpr_count 4
		.amdhsa_user_sgpr_dispatch_ptr 1
		.amdhsa_user_sgpr_queue_ptr 0
		.amdhsa_user_sgpr_kernarg_segment_ptr 1
		.amdhsa_user_sgpr_dispatch_id 0
		.amdhsa_user_sgpr_kernarg_preload_length 0
		.amdhsa_user_sgpr_kernarg_preload_offset 0
		.amdhsa_user_sgpr_private_segment_size 0
		.amdhsa_wavefront_size32 1
		.amdhsa_uses_dynamic_stack 0
		.amdhsa_enable_private_segment 1
		.amdhsa_system_sgpr_workgroup_id_x 1
		.amdhsa_system_sgpr_workgroup_id_y 0
		.amdhsa_system_sgpr_workgroup_id_z 0
		.amdhsa_system_sgpr_workgroup_info 0
		.amdhsa_system_vgpr_workitem_id 2
		.amdhsa_next_free_vgpr 120
		.amdhsa_next_free_sgpr 50
		.amdhsa_named_barrier_count 0
		.amdhsa_reserve_vcc 1
		.amdhsa_float_round_mode_32 0
		.amdhsa_float_round_mode_16_64 0
		.amdhsa_float_denorm_mode_32 3
		.amdhsa_float_denorm_mode_16_64 3
		.amdhsa_fp16_overflow 0
		.amdhsa_memory_ordered 1
		.amdhsa_forward_progress 1
		.amdhsa_inst_pref_size 18
		.amdhsa_round_robin_scheduling 0
		.amdhsa_exception_fp_ieee_invalid_op 0
		.amdhsa_exception_fp_denorm_src 0
		.amdhsa_exception_fp_ieee_div_zero 0
		.amdhsa_exception_fp_ieee_overflow 0
		.amdhsa_exception_fp_ieee_underflow 0
		.amdhsa_exception_fp_ieee_inexact 0
		.amdhsa_exception_int_div_zero 0
	.end_amdhsa_kernel
	.section	.text._ZN2at6native29vectorized_elementwise_kernelILi2EN12_GLOBAL__N_110CalcIgammaIdEESt5arrayIPcLm3EEEEviT0_T1_,"axG",@progbits,_ZN2at6native29vectorized_elementwise_kernelILi2EN12_GLOBAL__N_110CalcIgammaIdEESt5arrayIPcLm3EEEEviT0_T1_,comdat
.Lfunc_end8:
	.size	_ZN2at6native29vectorized_elementwise_kernelILi2EN12_GLOBAL__N_110CalcIgammaIdEESt5arrayIPcLm3EEEEviT0_T1_, .Lfunc_end8-_ZN2at6native29vectorized_elementwise_kernelILi2EN12_GLOBAL__N_110CalcIgammaIdEESt5arrayIPcLm3EEEEviT0_T1_
                                        ; -- End function
	.set _ZN2at6native29vectorized_elementwise_kernelILi2EN12_GLOBAL__N_110CalcIgammaIdEESt5arrayIPcLm3EEEEviT0_T1_.num_vgpr, max(89, .L_ZN12_GLOBAL__N_111calc_igammaIdEET_S1_S1_.num_vgpr, .L_ZN12_GLOBAL__N_112calc_igammacIdEET_S1_S1_.num_vgpr)
	.set _ZN2at6native29vectorized_elementwise_kernelILi2EN12_GLOBAL__N_110CalcIgammaIdEESt5arrayIPcLm3EEEEviT0_T1_.num_agpr, max(0, .L_ZN12_GLOBAL__N_111calc_igammaIdEET_S1_S1_.num_agpr, .L_ZN12_GLOBAL__N_112calc_igammacIdEET_S1_S1_.num_agpr)
	.set _ZN2at6native29vectorized_elementwise_kernelILi2EN12_GLOBAL__N_110CalcIgammaIdEESt5arrayIPcLm3EEEEviT0_T1_.numbered_sgpr, max(50, .L_ZN12_GLOBAL__N_111calc_igammaIdEET_S1_S1_.numbered_sgpr, .L_ZN12_GLOBAL__N_112calc_igammacIdEET_S1_S1_.numbered_sgpr)
	.set _ZN2at6native29vectorized_elementwise_kernelILi2EN12_GLOBAL__N_110CalcIgammaIdEESt5arrayIPcLm3EEEEviT0_T1_.num_named_barrier, max(0, .L_ZN12_GLOBAL__N_111calc_igammaIdEET_S1_S1_.num_named_barrier, .L_ZN12_GLOBAL__N_112calc_igammacIdEET_S1_S1_.num_named_barrier)
	.set _ZN2at6native29vectorized_elementwise_kernelILi2EN12_GLOBAL__N_110CalcIgammaIdEESt5arrayIPcLm3EEEEviT0_T1_.private_seg_size, 0+max(.L_ZN12_GLOBAL__N_111calc_igammaIdEET_S1_S1_.private_seg_size, .L_ZN12_GLOBAL__N_112calc_igammacIdEET_S1_S1_.private_seg_size)
	.set _ZN2at6native29vectorized_elementwise_kernelILi2EN12_GLOBAL__N_110CalcIgammaIdEESt5arrayIPcLm3EEEEviT0_T1_.uses_vcc, or(1, .L_ZN12_GLOBAL__N_111calc_igammaIdEET_S1_S1_.uses_vcc, .L_ZN12_GLOBAL__N_112calc_igammacIdEET_S1_S1_.uses_vcc)
	.set _ZN2at6native29vectorized_elementwise_kernelILi2EN12_GLOBAL__N_110CalcIgammaIdEESt5arrayIPcLm3EEEEviT0_T1_.uses_flat_scratch, or(0, .L_ZN12_GLOBAL__N_111calc_igammaIdEET_S1_S1_.uses_flat_scratch, .L_ZN12_GLOBAL__N_112calc_igammacIdEET_S1_S1_.uses_flat_scratch)
	.set _ZN2at6native29vectorized_elementwise_kernelILi2EN12_GLOBAL__N_110CalcIgammaIdEESt5arrayIPcLm3EEEEviT0_T1_.has_dyn_sized_stack, or(0, .L_ZN12_GLOBAL__N_111calc_igammaIdEET_S1_S1_.has_dyn_sized_stack, .L_ZN12_GLOBAL__N_112calc_igammacIdEET_S1_S1_.has_dyn_sized_stack)
	.set _ZN2at6native29vectorized_elementwise_kernelILi2EN12_GLOBAL__N_110CalcIgammaIdEESt5arrayIPcLm3EEEEviT0_T1_.has_recursion, or(0, .L_ZN12_GLOBAL__N_111calc_igammaIdEET_S1_S1_.has_recursion, .L_ZN12_GLOBAL__N_112calc_igammacIdEET_S1_S1_.has_recursion)
	.set _ZN2at6native29vectorized_elementwise_kernelILi2EN12_GLOBAL__N_110CalcIgammaIdEESt5arrayIPcLm3EEEEviT0_T1_.has_indirect_call, or(0, .L_ZN12_GLOBAL__N_111calc_igammaIdEET_S1_S1_.has_indirect_call, .L_ZN12_GLOBAL__N_112calc_igammacIdEET_S1_S1_.has_indirect_call)
	.section	.AMDGPU.csdata,"",@progbits
; Kernel info:
; codeLenInByte = 2212
; TotalNumSgprs: 52
; NumVgprs: 120
; ScratchSize: 240
; MemoryBound: 0
; FloatMode: 240
; IeeeMode: 1
; LDSByteSize: 1024 bytes/workgroup (compile time only)
; SGPRBlocks: 0
; VGPRBlocks: 7
; NumSGPRsForWavesPerEU: 52
; NumVGPRsForWavesPerEU: 120
; NamedBarCnt: 0
; Occupancy: 8
; WaveLimiterHint : 0
; COMPUTE_PGM_RSRC2:SCRATCH_EN: 1
; COMPUTE_PGM_RSRC2:USER_SGPR: 4
; COMPUTE_PGM_RSRC2:TRAP_HANDLER: 0
; COMPUTE_PGM_RSRC2:TGID_X_EN: 1
; COMPUTE_PGM_RSRC2:TGID_Y_EN: 0
; COMPUTE_PGM_RSRC2:TGID_Z_EN: 0
; COMPUTE_PGM_RSRC2:TIDIG_COMP_CNT: 2
	.section	.text._ZN2at6native27unrolled_elementwise_kernelIN12_GLOBAL__N_110CalcIgammaIdEESt5arrayIPcLm3EELi4E23TrivialOffsetCalculatorILi2EjES8_ILi1EjENS0_6memory15LoadWithoutCastENSB_16StoreWithoutCastEEEviT_T0_T2_T3_T4_T5_,"axG",@progbits,_ZN2at6native27unrolled_elementwise_kernelIN12_GLOBAL__N_110CalcIgammaIdEESt5arrayIPcLm3EELi4E23TrivialOffsetCalculatorILi2EjES8_ILi1EjENS0_6memory15LoadWithoutCastENSB_16StoreWithoutCastEEEviT_T0_T2_T3_T4_T5_,comdat
	.globl	_ZN2at6native27unrolled_elementwise_kernelIN12_GLOBAL__N_110CalcIgammaIdEESt5arrayIPcLm3EELi4E23TrivialOffsetCalculatorILi2EjES8_ILi1EjENS0_6memory15LoadWithoutCastENSB_16StoreWithoutCastEEEviT_T0_T2_T3_T4_T5_ ; -- Begin function _ZN2at6native27unrolled_elementwise_kernelIN12_GLOBAL__N_110CalcIgammaIdEESt5arrayIPcLm3EELi4E23TrivialOffsetCalculatorILi2EjES8_ILi1EjENS0_6memory15LoadWithoutCastENSB_16StoreWithoutCastEEEviT_T0_T2_T3_T4_T5_
	.p2align	8
	.type	_ZN2at6native27unrolled_elementwise_kernelIN12_GLOBAL__N_110CalcIgammaIdEESt5arrayIPcLm3EELi4E23TrivialOffsetCalculatorILi2EjES8_ILi1EjENS0_6memory15LoadWithoutCastENSB_16StoreWithoutCastEEEviT_T0_T2_T3_T4_T5_,@function
_ZN2at6native27unrolled_elementwise_kernelIN12_GLOBAL__N_110CalcIgammaIdEESt5arrayIPcLm3EELi4E23TrivialOffsetCalculatorILi2EjES8_ILi1EjENS0_6memory15LoadWithoutCastENSB_16StoreWithoutCastEEEviT_T0_T2_T3_T4_T5_: ; @_ZN2at6native27unrolled_elementwise_kernelIN12_GLOBAL__N_110CalcIgammaIdEESt5arrayIPcLm3EELi4E23TrivialOffsetCalculatorILi2EjES8_ILi1EjENS0_6memory15LoadWithoutCastENSB_16StoreWithoutCastEEEviT_T0_T2_T3_T4_T5_
; %bb.0:
	s_load_b64 s[4:5], s[0:1], 0x4
	s_load_b64 s[6:7], s[2:3], 0x0
	v_and_b32_e32 v74, 0x3ff, v0
	v_bfe_u32 v2, v0, 10, 10
	v_bfe_u32 v0, v0, 20, 10
	s_load_b128 s[36:39], s[2:3], 0x8
	v_mov_b64_e32 v[62:63], 0
	v_add_nc_u32_e32 v76, 0x100, v74
	s_mov_b32 s32, 0
	s_wait_kmcnt 0x0
	s_lshr_b32 s0, s4, 16
	v_mul_u32_u24_e32 v2, s5, v2
	s_mul_i32 s0, s0, s5
	s_and_b32 s4, ttmp6, 15
	v_mul_lo_u32 v1, s0, v74
	s_and_b32 s0, s7, 1
	s_delay_alu instid0(SALU_CYCLE_1) | instskip(SKIP_1) | instid1(SALU_CYCLE_1)
	v_mov_b32_e32 v3, s0
	s_bfe_u32 s0, ttmp6, 0x4000c
	s_add_co_i32 s5, s0, 1
	s_load_b64 s[0:1], s[2:3], 0x18
	s_wait_xcnt 0x0
	s_mul_i32 s2, ttmp9, s5
	s_getreg_b32 s3, hwreg(HW_REG_IB_STS2, 6, 4)
	s_add_co_i32 s4, s4, s2
	s_cmp_eq_u32 s3, 0
	v_add3_u32 v4, v1, v2, v0
	s_cselect_b32 s2, ttmp9, s4
	v_mov_b64_e32 v[0:1], 0
	s_lshl_b32 s35, s2, 10
	s_delay_alu instid0(SALU_CYCLE_1) | instskip(SKIP_4) | instid1(SALU_CYCLE_1)
	v_or_b32_e32 v75, s35, v74
	ds_store_b8 v4, v3
	ds_load_u8 v5, v4
	v_mov_b64_e32 v[2:3], 0
	s_sub_co_i32 s44, s6, s35
	v_cmp_gt_i32_e64 s34, s44, v74
	s_wait_dscnt 0x0
	v_dual_mov_b32 v5, v74 :: v_dual_bitop2_b32 v6, 1, v5 bitop3:0x40
	ds_store_b8 v4, v6 offset:256
	s_and_saveexec_b32 s2, s34
	s_cbranch_execz .LBB9_2
; %bb.1:
	global_load_b64 v[0:1], v75, s[38:39] scale_offset
	s_wait_kmcnt 0x0
	global_load_b64 v[2:3], v75, s[0:1] scale_offset
	v_add_nc_u32_e32 v5, 0x100, v74
.LBB9_2:
	s_wait_xcnt 0x0
	s_or_b32 exec_lo, exec_lo, s2
	v_mov_b64_e32 v[72:73], 0
	s_mov_b32 s2, exec_lo
	v_cmpx_gt_i32_e64 s44, v5
	s_cbranch_execz .LBB9_4
; %bb.3:
	v_add_nc_u32_e32 v6, s35, v5
	v_add_nc_u32_e32 v5, 0x100, v5
	global_load_b64 v[62:63], v6, s[38:39] scale_offset
	s_wait_kmcnt 0x0
	global_load_b64 v[72:73], v6, s[0:1] scale_offset
.LBB9_4:
	s_wait_xcnt 0x0
	s_or_b32 exec_lo, exec_lo, s2
	v_mov_b64_e32 v[42:43], 0
	v_mov_b64_e32 v[58:59], 0
	;; [unrolled: 1-line block ×3, first 2 shown]
	s_mov_b32 s2, exec_lo
	v_cmpx_gt_i32_e64 s44, v5
	s_cbranch_execz .LBB9_6
; %bb.5:
	v_add_nc_u32_e32 v6, s35, v5
	v_add_nc_u32_e32 v5, 0x100, v5
	global_load_b64 v[58:59], v6, s[38:39] scale_offset
	s_wait_kmcnt 0x0
	global_load_b64 v[56:57], v6, s[0:1] scale_offset
.LBB9_6:
	s_wait_xcnt 0x0
	s_or_b32 exec_lo, exec_lo, s2
	v_mov_b64_e32 v[44:45], 0
	s_mov_b32 s2, exec_lo
	v_cmpx_gt_i32_e64 s44, v5
	s_cbranch_execz .LBB9_8
; %bb.7:
	v_add_nc_u32_e32 v5, s35, v5
	global_load_b64 v[42:43], v5, s[38:39] scale_offset
	s_wait_kmcnt 0x0
	global_load_b64 v[44:45], v5, s[0:1] scale_offset
.LBB9_8:
	s_wait_xcnt 0x0
	s_or_b32 exec_lo, exec_lo, s2
	ds_load_u8 v4, v4 offset:256
                                        ; implicit-def: $vgpr46_vgpr47
	s_wait_dscnt 0x0
	v_and_b32_e32 v4, 1, v4
	s_delay_alu instid0(VALU_DEP_1)
	v_cmp_eq_u32_e32 vcc_lo, 1, v4
	s_xor_b32 s38, vcc_lo, -1
	s_and_saveexec_b32 s39, s34
	s_cbranch_execz .LBB9_14
; %bb.9:
                                        ; implicit-def: $vgpr46_vgpr47
	s_wait_kmcnt 0x0
	s_and_saveexec_b32 s0, s38
	s_delay_alu instid0(SALU_CYCLE_1)
	s_xor_b32 s45, exec_lo, s0
	s_cbranch_execz .LBB9_11
; %bb.10:
	s_get_pc_i64 s[0:1]
	s_add_nc_u64 s[0:1], s[0:1], _ZN12_GLOBAL__N_111calc_igammaIdEET_S1_S1_@rel64+4
	s_delay_alu instid0(SALU_CYCLE_1)
	s_swap_pc_i64 s[30:31], s[0:1]
	v_dual_mov_b32 v46, v0 :: v_dual_mov_b32 v47, v1
                                        ; implicit-def: $vgpr0_vgpr1
                                        ; implicit-def: $vgpr2_vgpr3
.LBB9_11:
	s_and_not1_saveexec_b32 s24, s45
	s_cbranch_execz .LBB9_13
; %bb.12:
	s_get_pc_i64 s[0:1]
	s_add_nc_u64 s[0:1], s[0:1], _ZN12_GLOBAL__N_112calc_igammacIdEET_S1_S1_@rel64+4
	s_delay_alu instid0(SALU_CYCLE_1)
	s_swap_pc_i64 s[30:31], s[0:1]
	v_dual_mov_b32 v46, v0 :: v_dual_mov_b32 v47, v1
.LBB9_13:
	s_or_b32 exec_lo, exec_lo, s24
.LBB9_14:
	s_delay_alu instid0(SALU_CYCLE_1) | instskip(NEXT) | instid1(SALU_CYCLE_1)
	s_or_b32 exec_lo, exec_lo, s39
	s_mov_b32 s39, exec_lo
                                        ; implicit-def: $vgpr60_vgpr61
	v_cmpx_gt_i32_e64 s44, v76
	s_cbranch_execz .LBB9_20
; %bb.15:
                                        ; implicit-def: $vgpr60_vgpr61
	s_wait_kmcnt 0x0
	s_and_saveexec_b32 s0, s38
	s_delay_alu instid0(SALU_CYCLE_1)
	s_xor_b32 s45, exec_lo, s0
	s_cbranch_execz .LBB9_17
; %bb.16:
	s_wait_loadcnt 0x1
	v_dual_mov_b32 v0, v62 :: v_dual_mov_b32 v1, v63
	s_wait_loadcnt 0x0
	v_dual_mov_b32 v2, v72 :: v_dual_mov_b32 v3, v73
	s_get_pc_i64 s[0:1]
	s_add_nc_u64 s[0:1], s[0:1], _ZN12_GLOBAL__N_111calc_igammaIdEET_S1_S1_@rel64+4
	s_delay_alu instid0(SALU_CYCLE_1)
	s_swap_pc_i64 s[30:31], s[0:1]
	v_dual_mov_b32 v60, v0 :: v_dual_mov_b32 v61, v1
                                        ; implicit-def: $vgpr62_vgpr63
                                        ; implicit-def: $vgpr72_vgpr73
.LBB9_17:
	s_and_not1_saveexec_b32 s24, s45
	s_cbranch_execz .LBB9_19
; %bb.18:
	s_wait_loadcnt 0x1
	v_dual_mov_b32 v0, v62 :: v_dual_mov_b32 v1, v63
	s_wait_loadcnt 0x0
	v_dual_mov_b32 v2, v72 :: v_dual_mov_b32 v3, v73
	s_get_pc_i64 s[0:1]
	s_add_nc_u64 s[0:1], s[0:1], _ZN12_GLOBAL__N_112calc_igammacIdEET_S1_S1_@rel64+4
	s_delay_alu instid0(SALU_CYCLE_1)
	s_swap_pc_i64 s[30:31], s[0:1]
	v_dual_mov_b32 v60, v0 :: v_dual_mov_b32 v61, v1
.LBB9_19:
	s_or_b32 exec_lo, exec_lo, s24
.LBB9_20:
	s_delay_alu instid0(SALU_CYCLE_1) | instskip(SKIP_3) | instid1(VALU_DEP_1)
	s_or_b32 exec_lo, exec_lo, s39
	s_wait_loadcnt 0x1
	v_add_nc_u32_e32 v0, 0x200, v74
	s_mov_b32 s39, exec_lo
                                        ; implicit-def: $vgpr62_vgpr63
	v_cmpx_gt_i32_e64 s44, v0
	s_cbranch_execz .LBB9_26
; %bb.21:
                                        ; implicit-def: $vgpr62_vgpr63
	s_wait_kmcnt 0x0
	s_and_saveexec_b32 s0, s38
	s_delay_alu instid0(SALU_CYCLE_1)
	s_xor_b32 s45, exec_lo, s0
	s_cbranch_execz .LBB9_23
; %bb.22:
	v_dual_mov_b32 v0, v58 :: v_dual_mov_b32 v1, v59
	s_wait_loadcnt 0x0
	v_dual_mov_b32 v2, v56 :: v_dual_mov_b32 v3, v57
	s_get_pc_i64 s[0:1]
	s_add_nc_u64 s[0:1], s[0:1], _ZN12_GLOBAL__N_111calc_igammaIdEET_S1_S1_@rel64+4
	s_delay_alu instid0(SALU_CYCLE_1)
	s_swap_pc_i64 s[30:31], s[0:1]
	v_dual_mov_b32 v62, v0 :: v_dual_mov_b32 v63, v1
                                        ; implicit-def: $vgpr58_vgpr59
                                        ; implicit-def: $vgpr56_vgpr57
.LBB9_23:
	s_and_not1_saveexec_b32 s24, s45
	s_cbranch_execz .LBB9_25
; %bb.24:
	v_dual_mov_b32 v0, v58 :: v_dual_mov_b32 v1, v59
	s_wait_loadcnt 0x0
	v_dual_mov_b32 v2, v56 :: v_dual_mov_b32 v3, v57
	s_get_pc_i64 s[0:1]
	s_add_nc_u64 s[0:1], s[0:1], _ZN12_GLOBAL__N_112calc_igammacIdEET_S1_S1_@rel64+4
	s_delay_alu instid0(SALU_CYCLE_1)
	s_swap_pc_i64 s[30:31], s[0:1]
	v_dual_mov_b32 v62, v0 :: v_dual_mov_b32 v63, v1
.LBB9_25:
	s_or_b32 exec_lo, exec_lo, s24
.LBB9_26:
	s_delay_alu instid0(SALU_CYCLE_1) | instskip(SKIP_1) | instid1(VALU_DEP_1)
	s_or_b32 exec_lo, exec_lo, s39
	v_add_nc_u32_e32 v0, 0x300, v74
	v_cmp_gt_i32_e32 vcc_lo, s44, v0
                                        ; implicit-def: $vgpr0_vgpr1
	s_and_saveexec_b32 s39, vcc_lo
	s_cbranch_execnz .LBB9_32
; %bb.27:
	s_or_b32 exec_lo, exec_lo, s39
	s_wait_kmcnt 0x0
	s_and_saveexec_b32 s0, s34
	s_delay_alu instid0(SALU_CYCLE_1)
	s_xor_b32 s0, exec_lo, s0
	s_cbranch_execnz .LBB9_37
.LBB9_28:
	s_or_b32 exec_lo, exec_lo, s0
	s_delay_alu instid0(SALU_CYCLE_1)
	s_mov_b32 s0, exec_lo
	v_cmpx_gt_i32_e64 s44, v74
	s_cbranch_execnz .LBB9_38
.LBB9_29:
	s_or_b32 exec_lo, exec_lo, s0
	s_delay_alu instid0(SALU_CYCLE_1)
	s_mov_b32 s0, exec_lo
	v_cmpx_gt_i32_e64 s44, v74
	s_cbranch_execnz .LBB9_39
.LBB9_30:
	s_or_b32 exec_lo, exec_lo, s0
	s_delay_alu instid0(SALU_CYCLE_1)
	s_mov_b32 s0, exec_lo
	v_cmpx_gt_i32_e64 s44, v74
	s_cbranch_execnz .LBB9_40
.LBB9_31:
	s_endpgm
.LBB9_32:
                                        ; implicit-def: $vgpr0_vgpr1
	s_wait_kmcnt 0x0
	s_and_saveexec_b32 s0, s38
	s_delay_alu instid0(SALU_CYCLE_1)
	s_xor_b32 s38, exec_lo, s0
	s_cbranch_execz .LBB9_34
; %bb.33:
	v_dual_mov_b32 v0, v42 :: v_dual_mov_b32 v1, v43
	s_wait_loadcnt 0x0
	v_dual_mov_b32 v2, v44 :: v_dual_mov_b32 v3, v45
	s_get_pc_i64 s[0:1]
	s_add_nc_u64 s[0:1], s[0:1], _ZN12_GLOBAL__N_111calc_igammaIdEET_S1_S1_@rel64+4
	s_delay_alu instid0(SALU_CYCLE_1)
	s_swap_pc_i64 s[30:31], s[0:1]
                                        ; implicit-def: $vgpr42_vgpr43
                                        ; implicit-def: $vgpr44_vgpr45
.LBB9_34:
	s_and_not1_saveexec_b32 s24, s38
	s_cbranch_execz .LBB9_36
; %bb.35:
	v_dual_mov_b32 v0, v42 :: v_dual_mov_b32 v1, v43
	s_wait_loadcnt 0x0
	v_dual_mov_b32 v2, v44 :: v_dual_mov_b32 v3, v45
	s_get_pc_i64 s[0:1]
	s_add_nc_u64 s[0:1], s[0:1], _ZN12_GLOBAL__N_112calc_igammacIdEET_S1_S1_@rel64+4
	s_delay_alu instid0(SALU_CYCLE_1)
	s_swap_pc_i64 s[30:31], s[0:1]
.LBB9_36:
	s_or_b32 exec_lo, exec_lo, s24
	s_delay_alu instid0(SALU_CYCLE_1) | instskip(SKIP_1) | instid1(SALU_CYCLE_1)
	s_or_b32 exec_lo, exec_lo, s39
	s_and_saveexec_b32 s0, s34
	s_xor_b32 s0, exec_lo, s0
	s_cbranch_execz .LBB9_28
.LBB9_37:
	v_mov_b32_e32 v74, v76
	global_store_b64 v75, v[46:47], s[36:37] scale_offset
	s_wait_xcnt 0x0
	s_or_b32 exec_lo, exec_lo, s0
	s_delay_alu instid0(SALU_CYCLE_1)
	s_mov_b32 s0, exec_lo
	v_cmpx_gt_i32_e64 s44, v74
	s_cbranch_execz .LBB9_29
.LBB9_38:
	s_wait_loadcnt 0x0
	v_add_nc_u32_e32 v2, 0x100, v74
	s_delay_alu instid0(VALU_DEP_1) | instskip(SKIP_3) | instid1(SALU_CYCLE_1)
	v_dual_mov_b32 v74, v2 :: v_dual_add_nc_u32 v3, s35, v74
	global_store_b64 v3, v[60:61], s[36:37] scale_offset
	s_wait_xcnt 0x0
	s_or_b32 exec_lo, exec_lo, s0
	s_mov_b32 s0, exec_lo
	v_cmpx_gt_i32_e64 s44, v74
	s_cbranch_execz .LBB9_30
.LBB9_39:
	s_wait_loadcnt 0x0
	v_add_nc_u32_e32 v2, 0x100, v74
	s_delay_alu instid0(VALU_DEP_1) | instskip(SKIP_3) | instid1(SALU_CYCLE_1)
	v_dual_mov_b32 v74, v2 :: v_dual_add_nc_u32 v3, s35, v74
	global_store_b64 v3, v[62:63], s[36:37] scale_offset
	s_wait_xcnt 0x0
	s_or_b32 exec_lo, exec_lo, s0
	s_mov_b32 s0, exec_lo
	v_cmpx_gt_i32_e64 s44, v74
	s_cbranch_execz .LBB9_31
.LBB9_40:
	s_wait_loadcnt 0x0
	v_add_nc_u32_e32 v2, s35, v74
	global_store_b64 v2, v[0:1], s[36:37] scale_offset
	s_endpgm
	.section	.rodata,"a",@progbits
	.p2align	6, 0x0
	.amdhsa_kernel _ZN2at6native27unrolled_elementwise_kernelIN12_GLOBAL__N_110CalcIgammaIdEESt5arrayIPcLm3EELi4E23TrivialOffsetCalculatorILi2EjES8_ILi1EjENS0_6memory15LoadWithoutCastENSB_16StoreWithoutCastEEEviT_T0_T2_T3_T4_T5_
		.amdhsa_group_segment_fixed_size 512
		.amdhsa_private_segment_fixed_size 240
		.amdhsa_kernarg_size 36
		.amdhsa_user_sgpr_count 4
		.amdhsa_user_sgpr_dispatch_ptr 1
		.amdhsa_user_sgpr_queue_ptr 0
		.amdhsa_user_sgpr_kernarg_segment_ptr 1
		.amdhsa_user_sgpr_dispatch_id 0
		.amdhsa_user_sgpr_kernarg_preload_length 0
		.amdhsa_user_sgpr_kernarg_preload_offset 0
		.amdhsa_user_sgpr_private_segment_size 0
		.amdhsa_wavefront_size32 1
		.amdhsa_uses_dynamic_stack 0
		.amdhsa_enable_private_segment 1
		.amdhsa_system_sgpr_workgroup_id_x 1
		.amdhsa_system_sgpr_workgroup_id_y 0
		.amdhsa_system_sgpr_workgroup_id_z 0
		.amdhsa_system_sgpr_workgroup_info 0
		.amdhsa_system_vgpr_workitem_id 2
		.amdhsa_next_free_vgpr 120
		.amdhsa_next_free_sgpr 46
		.amdhsa_named_barrier_count 0
		.amdhsa_reserve_vcc 1
		.amdhsa_float_round_mode_32 0
		.amdhsa_float_round_mode_16_64 0
		.amdhsa_float_denorm_mode_32 3
		.amdhsa_float_denorm_mode_16_64 3
		.amdhsa_fp16_overflow 0
		.amdhsa_memory_ordered 1
		.amdhsa_forward_progress 1
		.amdhsa_inst_pref_size 12
		.amdhsa_round_robin_scheduling 0
		.amdhsa_exception_fp_ieee_invalid_op 0
		.amdhsa_exception_fp_denorm_src 0
		.amdhsa_exception_fp_ieee_div_zero 0
		.amdhsa_exception_fp_ieee_overflow 0
		.amdhsa_exception_fp_ieee_underflow 0
		.amdhsa_exception_fp_ieee_inexact 0
		.amdhsa_exception_int_div_zero 0
	.end_amdhsa_kernel
	.section	.text._ZN2at6native27unrolled_elementwise_kernelIN12_GLOBAL__N_110CalcIgammaIdEESt5arrayIPcLm3EELi4E23TrivialOffsetCalculatorILi2EjES8_ILi1EjENS0_6memory15LoadWithoutCastENSB_16StoreWithoutCastEEEviT_T0_T2_T3_T4_T5_,"axG",@progbits,_ZN2at6native27unrolled_elementwise_kernelIN12_GLOBAL__N_110CalcIgammaIdEESt5arrayIPcLm3EELi4E23TrivialOffsetCalculatorILi2EjES8_ILi1EjENS0_6memory15LoadWithoutCastENSB_16StoreWithoutCastEEEviT_T0_T2_T3_T4_T5_,comdat
.Lfunc_end9:
	.size	_ZN2at6native27unrolled_elementwise_kernelIN12_GLOBAL__N_110CalcIgammaIdEESt5arrayIPcLm3EELi4E23TrivialOffsetCalculatorILi2EjES8_ILi1EjENS0_6memory15LoadWithoutCastENSB_16StoreWithoutCastEEEviT_T0_T2_T3_T4_T5_, .Lfunc_end9-_ZN2at6native27unrolled_elementwise_kernelIN12_GLOBAL__N_110CalcIgammaIdEESt5arrayIPcLm3EELi4E23TrivialOffsetCalculatorILi2EjES8_ILi1EjENS0_6memory15LoadWithoutCastENSB_16StoreWithoutCastEEEviT_T0_T2_T3_T4_T5_
                                        ; -- End function
	.set _ZN2at6native27unrolled_elementwise_kernelIN12_GLOBAL__N_110CalcIgammaIdEESt5arrayIPcLm3EELi4E23TrivialOffsetCalculatorILi2EjES8_ILi1EjENS0_6memory15LoadWithoutCastENSB_16StoreWithoutCastEEEviT_T0_T2_T3_T4_T5_.num_vgpr, max(77, .L_ZN12_GLOBAL__N_111calc_igammaIdEET_S1_S1_.num_vgpr, .L_ZN12_GLOBAL__N_112calc_igammacIdEET_S1_S1_.num_vgpr)
	.set _ZN2at6native27unrolled_elementwise_kernelIN12_GLOBAL__N_110CalcIgammaIdEESt5arrayIPcLm3EELi4E23TrivialOffsetCalculatorILi2EjES8_ILi1EjENS0_6memory15LoadWithoutCastENSB_16StoreWithoutCastEEEviT_T0_T2_T3_T4_T5_.num_agpr, max(0, .L_ZN12_GLOBAL__N_111calc_igammaIdEET_S1_S1_.num_agpr, .L_ZN12_GLOBAL__N_112calc_igammacIdEET_S1_S1_.num_agpr)
	.set _ZN2at6native27unrolled_elementwise_kernelIN12_GLOBAL__N_110CalcIgammaIdEESt5arrayIPcLm3EELi4E23TrivialOffsetCalculatorILi2EjES8_ILi1EjENS0_6memory15LoadWithoutCastENSB_16StoreWithoutCastEEEviT_T0_T2_T3_T4_T5_.numbered_sgpr, max(46, .L_ZN12_GLOBAL__N_111calc_igammaIdEET_S1_S1_.numbered_sgpr, .L_ZN12_GLOBAL__N_112calc_igammacIdEET_S1_S1_.numbered_sgpr)
	.set _ZN2at6native27unrolled_elementwise_kernelIN12_GLOBAL__N_110CalcIgammaIdEESt5arrayIPcLm3EELi4E23TrivialOffsetCalculatorILi2EjES8_ILi1EjENS0_6memory15LoadWithoutCastENSB_16StoreWithoutCastEEEviT_T0_T2_T3_T4_T5_.num_named_barrier, max(0, .L_ZN12_GLOBAL__N_111calc_igammaIdEET_S1_S1_.num_named_barrier, .L_ZN12_GLOBAL__N_112calc_igammacIdEET_S1_S1_.num_named_barrier)
	.set _ZN2at6native27unrolled_elementwise_kernelIN12_GLOBAL__N_110CalcIgammaIdEESt5arrayIPcLm3EELi4E23TrivialOffsetCalculatorILi2EjES8_ILi1EjENS0_6memory15LoadWithoutCastENSB_16StoreWithoutCastEEEviT_T0_T2_T3_T4_T5_.private_seg_size, 0+max(.L_ZN12_GLOBAL__N_111calc_igammaIdEET_S1_S1_.private_seg_size, .L_ZN12_GLOBAL__N_112calc_igammacIdEET_S1_S1_.private_seg_size)
	.set _ZN2at6native27unrolled_elementwise_kernelIN12_GLOBAL__N_110CalcIgammaIdEESt5arrayIPcLm3EELi4E23TrivialOffsetCalculatorILi2EjES8_ILi1EjENS0_6memory15LoadWithoutCastENSB_16StoreWithoutCastEEEviT_T0_T2_T3_T4_T5_.uses_vcc, or(1, .L_ZN12_GLOBAL__N_111calc_igammaIdEET_S1_S1_.uses_vcc, .L_ZN12_GLOBAL__N_112calc_igammacIdEET_S1_S1_.uses_vcc)
	.set _ZN2at6native27unrolled_elementwise_kernelIN12_GLOBAL__N_110CalcIgammaIdEESt5arrayIPcLm3EELi4E23TrivialOffsetCalculatorILi2EjES8_ILi1EjENS0_6memory15LoadWithoutCastENSB_16StoreWithoutCastEEEviT_T0_T2_T3_T4_T5_.uses_flat_scratch, or(0, .L_ZN12_GLOBAL__N_111calc_igammaIdEET_S1_S1_.uses_flat_scratch, .L_ZN12_GLOBAL__N_112calc_igammacIdEET_S1_S1_.uses_flat_scratch)
	.set _ZN2at6native27unrolled_elementwise_kernelIN12_GLOBAL__N_110CalcIgammaIdEESt5arrayIPcLm3EELi4E23TrivialOffsetCalculatorILi2EjES8_ILi1EjENS0_6memory15LoadWithoutCastENSB_16StoreWithoutCastEEEviT_T0_T2_T3_T4_T5_.has_dyn_sized_stack, or(0, .L_ZN12_GLOBAL__N_111calc_igammaIdEET_S1_S1_.has_dyn_sized_stack, .L_ZN12_GLOBAL__N_112calc_igammacIdEET_S1_S1_.has_dyn_sized_stack)
	.set _ZN2at6native27unrolled_elementwise_kernelIN12_GLOBAL__N_110CalcIgammaIdEESt5arrayIPcLm3EELi4E23TrivialOffsetCalculatorILi2EjES8_ILi1EjENS0_6memory15LoadWithoutCastENSB_16StoreWithoutCastEEEviT_T0_T2_T3_T4_T5_.has_recursion, or(0, .L_ZN12_GLOBAL__N_111calc_igammaIdEET_S1_S1_.has_recursion, .L_ZN12_GLOBAL__N_112calc_igammacIdEET_S1_S1_.has_recursion)
	.set _ZN2at6native27unrolled_elementwise_kernelIN12_GLOBAL__N_110CalcIgammaIdEESt5arrayIPcLm3EELi4E23TrivialOffsetCalculatorILi2EjES8_ILi1EjENS0_6memory15LoadWithoutCastENSB_16StoreWithoutCastEEEviT_T0_T2_T3_T4_T5_.has_indirect_call, or(0, .L_ZN12_GLOBAL__N_111calc_igammaIdEET_S1_S1_.has_indirect_call, .L_ZN12_GLOBAL__N_112calc_igammacIdEET_S1_S1_.has_indirect_call)
	.section	.AMDGPU.csdata,"",@progbits
; Kernel info:
; codeLenInByte = 1412
; TotalNumSgprs: 48
; NumVgprs: 120
; ScratchSize: 240
; MemoryBound: 0
; FloatMode: 240
; IeeeMode: 1
; LDSByteSize: 512 bytes/workgroup (compile time only)
; SGPRBlocks: 0
; VGPRBlocks: 7
; NumSGPRsForWavesPerEU: 48
; NumVGPRsForWavesPerEU: 120
; NamedBarCnt: 0
; Occupancy: 8
; WaveLimiterHint : 0
; COMPUTE_PGM_RSRC2:SCRATCH_EN: 1
; COMPUTE_PGM_RSRC2:USER_SGPR: 4
; COMPUTE_PGM_RSRC2:TRAP_HANDLER: 0
; COMPUTE_PGM_RSRC2:TGID_X_EN: 1
; COMPUTE_PGM_RSRC2:TGID_Y_EN: 0
; COMPUTE_PGM_RSRC2:TGID_Z_EN: 0
; COMPUTE_PGM_RSRC2:TIDIG_COMP_CNT: 2
	.section	.text._ZN2at6native32elementwise_kernel_manual_unrollILi128ELi4EZNS0_22gpu_kernel_impl_nocastIN12_GLOBAL__N_110CalcIgammaIdEEEEvRNS_18TensorIteratorBaseERKT_EUlibE_EEviT1_,"axG",@progbits,_ZN2at6native32elementwise_kernel_manual_unrollILi128ELi4EZNS0_22gpu_kernel_impl_nocastIN12_GLOBAL__N_110CalcIgammaIdEEEEvRNS_18TensorIteratorBaseERKT_EUlibE_EEviT1_,comdat
	.globl	_ZN2at6native32elementwise_kernel_manual_unrollILi128ELi4EZNS0_22gpu_kernel_impl_nocastIN12_GLOBAL__N_110CalcIgammaIdEEEEvRNS_18TensorIteratorBaseERKT_EUlibE_EEviT1_ ; -- Begin function _ZN2at6native32elementwise_kernel_manual_unrollILi128ELi4EZNS0_22gpu_kernel_impl_nocastIN12_GLOBAL__N_110CalcIgammaIdEEEEvRNS_18TensorIteratorBaseERKT_EUlibE_EEviT1_
	.p2align	8
	.type	_ZN2at6native32elementwise_kernel_manual_unrollILi128ELi4EZNS0_22gpu_kernel_impl_nocastIN12_GLOBAL__N_110CalcIgammaIdEEEEvRNS_18TensorIteratorBaseERKT_EUlibE_EEviT1_,@function
_ZN2at6native32elementwise_kernel_manual_unrollILi128ELi4EZNS0_22gpu_kernel_impl_nocastIN12_GLOBAL__N_110CalcIgammaIdEEEEvRNS_18TensorIteratorBaseERKT_EUlibE_EEviT1_: ; @_ZN2at6native32elementwise_kernel_manual_unrollILi128ELi4EZNS0_22gpu_kernel_impl_nocastIN12_GLOBAL__N_110CalcIgammaIdEEEEvRNS_18TensorIteratorBaseERKT_EUlibE_EEviT1_
; %bb.0:
	s_clause 0x1
	s_load_b32 s55, s[0:1], 0x8
	s_load_b32 s69, s[0:1], 0x0
	s_bfe_u32 s2, ttmp6, 0x4000c
	s_and_b32 s3, ttmp6, 15
	s_add_co_i32 s2, s2, 1
	s_getreg_b32 s4, hwreg(HW_REG_IB_STS2, 6, 4)
	s_mul_i32 s2, ttmp9, s2
	s_add_nc_u64 s[34:35], s[0:1], 8
	s_add_co_i32 s3, s3, s2
	s_cmp_eq_u32 s4, 0
	s_mov_b32 s59, 0
	s_cselect_b32 s2, ttmp9, s3
	s_mov_b32 s32, 0
	v_lshl_or_b32 v46, s2, 9, v0
	s_wait_xcnt 0x0
	s_mov_b32 s0, exec_lo
	s_delay_alu instid0(VALU_DEP_1) | instskip(SKIP_2) | instid1(SALU_CYCLE_1)
	v_or_b32_e32 v0, 0x180, v46
	s_wait_kmcnt 0x0
	s_add_co_i32 s64, s55, -1
	s_cmp_gt_u32 s64, 1
	s_cselect_b32 s65, -1, 0
	v_cmpx_le_i32_e64 s69, v0
	s_xor_b32 s66, exec_lo, s0
	s_cbranch_execz .LBB10_70
; %bb.1:
	s_clause 0x5
	s_load_b128 s[44:47], s[34:35], 0x4
	s_load_b64 s[56:57], s[34:35], 0x14
	s_load_b96 s[52:54], s[34:35], 0x198
	s_load_b128 s[48:51], s[34:35], 0xc4
	s_load_b64 s[60:61], s[34:35], 0xd4
	s_load_b128 s[36:39], s[34:35], 0x188
	s_cmp_lg_u32 s55, 0
	s_mov_b32 s63, s59
	s_cselect_b32 s70, -1, 0
	s_min_u32 s68, s64, 15
	s_cmp_gt_u32 s55, 1
	s_cselect_b32 s67, -1, 0
	s_wait_kmcnt 0x0
	s_mov_b32 s58, s45
	s_mov_b32 s62, s56
	s_bitcmp1_b32 s54, 0
	s_mov_b32 s54, exec_lo
	s_cselect_b32 s0, -1, 0
	s_delay_alu instid0(SALU_CYCLE_1)
	s_xor_b32 s45, s0, -1
	v_cmpx_gt_i32_e64 s69, v46
	s_cbranch_execnz .LBB10_5
; %bb.2:
	s_or_b32 exec_lo, exec_lo, s54
	s_delay_alu instid0(SALU_CYCLE_1)
	s_mov_b32 s54, exec_lo
	v_cmpx_gt_i32_e64 s69, v46
	s_cbranch_execnz .LBB10_21
.LBB10_3:
	s_or_b32 exec_lo, exec_lo, s54
	s_delay_alu instid0(SALU_CYCLE_1)
	s_mov_b32 s54, exec_lo
	v_cmpx_gt_i32_e64 s69, v46
	s_cbranch_execnz .LBB10_37
.LBB10_4:
	s_or_b32 exec_lo, exec_lo, s54
	s_delay_alu instid0(SALU_CYCLE_1)
	s_mov_b32 s54, exec_lo
	v_cmpx_gt_i32_e64 s69, v46
	s_cbranch_execnz .LBB10_53
	s_branch .LBB10_69
.LBB10_5:
	s_and_not1_b32 vcc_lo, exec_lo, s65
	s_cbranch_vccnz .LBB10_11
; %bb.6:
	s_and_not1_b32 vcc_lo, exec_lo, s70
	s_cbranch_vccnz .LBB10_12
; %bb.7:
	v_dual_mov_b32 v56, 0 :: v_dual_mov_b32 v0, v46
	v_dual_mov_b32 v3, 0 :: v_dual_mov_b32 v2, 0
	s_add_co_i32 s2, s68, 1
	s_mov_b64 s[0:1], 0xffffffffffffffe8
	s_and_b32 s2, s2, 30
	s_add_nc_u64 s[0:1], s[34:35], s[0:1]
.LBB10_8:                               ; =>This Inner Loop Header: Depth=1
	s_clause 0x1
	s_load_b128 s[4:7], s[0:1], 0x1c
	s_load_b64 s[12:13], s[0:1], 0x2c
	s_add_co_i32 s2, s2, -2
	s_delay_alu instid0(SALU_CYCLE_1) | instskip(SKIP_2) | instid1(VALU_DEP_1)
	s_cmp_lg_u32 s2, 0
	s_wait_kmcnt 0x0
	v_mul_hi_u32 v1, s5, v0
	v_add_nc_u32_e32 v1, v0, v1
	s_delay_alu instid0(VALU_DEP_1) | instskip(NEXT) | instid1(VALU_DEP_1)
	v_lshrrev_b32_e32 v1, s6, v1
	v_mul_hi_u32 v4, s12, v1
	v_mul_lo_u32 v5, v1, s4
	s_clause 0x1
	s_load_b128 s[8:11], s[0:1], 0xdc
	s_load_b64 s[4:5], s[0:1], 0xec
	s_wait_xcnt 0x0
	s_add_nc_u64 s[0:1], s[0:1], 24
	s_delay_alu instid0(VALU_DEP_1) | instskip(NEXT) | instid1(VALU_DEP_1)
	v_dual_add_nc_u32 v4, v1, v4 :: v_dual_sub_nc_u32 v5, v0, v5
	v_lshrrev_b32_e32 v0, s13, v4
	s_wait_kmcnt 0x0
	s_delay_alu instid0(VALU_DEP_2) | instskip(NEXT) | instid1(VALU_DEP_2)
	v_mad_u32 v6, v5, s8, v56
	v_mul_lo_u32 v4, v0, s7
	v_mad_u32 v2, v5, s10, v2
	v_mad_u32 v3, v5, s9, v3
	s_delay_alu instid0(VALU_DEP_3) | instskip(NEXT) | instid1(VALU_DEP_1)
	v_sub_nc_u32_e32 v1, v1, v4
	v_mad_u32 v56, v1, s11, v6
	s_delay_alu instid0(VALU_DEP_4) | instskip(NEXT) | instid1(VALU_DEP_4)
	v_mad_u32 v2, v1, s5, v2
	v_mad_u32 v3, v1, s4, v3
	s_cbranch_scc1 .LBB10_8
; %bb.9:
	s_bitcmp1_b32 s68, 0
	s_cselect_b32 s2, -1, 0
	s_delay_alu instid0(SALU_CYCLE_1)
	s_and_b32 vcc_lo, exec_lo, s2
	s_cbranch_vccnz .LBB10_13
; %bb.10:
	s_clause 0x1
	s_load_b96 s[4:6], s[0:1], 0x1c
	s_load_b96 s[8:10], s[0:1], 0xdc
	s_wait_xcnt 0x0
	s_wait_kmcnt 0x0
	v_mul_hi_u32 v1, s5, v0
	s_delay_alu instid0(VALU_DEP_1) | instskip(NEXT) | instid1(VALU_DEP_1)
	v_add_nc_u32_e32 v1, v0, v1
	v_lshrrev_b32_e32 v1, s6, v1
	s_delay_alu instid0(VALU_DEP_1) | instskip(NEXT) | instid1(VALU_DEP_1)
	v_mul_lo_u32 v1, v1, s4
	v_sub_nc_u32_e32 v0, v0, v1
	s_delay_alu instid0(VALU_DEP_1)
	v_mad_u32 v56, v0, s8, v56
	v_mad_u32 v3, v0, s9, v3
	;; [unrolled: 1-line block ×3, first 2 shown]
	s_cbranch_execz .LBB10_14
	s_branch .LBB10_16
.LBB10_11:
                                        ; implicit-def: $vgpr2
                                        ; implicit-def: $vgpr3
                                        ; implicit-def: $vgpr56
	s_branch .LBB10_14
.LBB10_12:
	v_dual_mov_b32 v2, 0 :: v_dual_mov_b32 v3, 0
	v_mov_b32_e32 v56, 0
.LBB10_13:
	s_cbranch_execnz .LBB10_16
.LBB10_14:
	v_mov_b32_e32 v47, 0
	s_and_not1_b32 vcc_lo, exec_lo, s67
	s_delay_alu instid0(VALU_DEP_1) | instskip(NEXT) | instid1(VALU_DEP_1)
	v_mul_u64_e32 v[0:1], s[58:59], v[46:47]
	v_add_nc_u32_e32 v0, v46, v1
	s_delay_alu instid0(VALU_DEP_1) | instskip(NEXT) | instid1(VALU_DEP_1)
	v_lshrrev_b32_e32 v0, s46, v0
	v_mul_lo_u32 v1, v0, s44
	s_delay_alu instid0(VALU_DEP_1) | instskip(NEXT) | instid1(VALU_DEP_1)
	v_sub_nc_u32_e32 v1, v46, v1
	v_mul_lo_u32 v56, v1, s48
	v_mul_lo_u32 v2, v1, s50
	;; [unrolled: 1-line block ×3, first 2 shown]
	s_cbranch_vccnz .LBB10_16
; %bb.15:
	v_mov_b32_e32 v1, v47
	s_delay_alu instid0(VALU_DEP_1) | instskip(NEXT) | instid1(VALU_DEP_1)
	v_mul_u64_e32 v[4:5], s[62:63], v[0:1]
	v_add_nc_u32_e32 v1, v0, v5
	s_delay_alu instid0(VALU_DEP_1) | instskip(NEXT) | instid1(VALU_DEP_1)
	v_lshrrev_b32_e32 v1, s57, v1
	v_mul_lo_u32 v1, v1, s47
	s_delay_alu instid0(VALU_DEP_1) | instskip(NEXT) | instid1(VALU_DEP_1)
	v_sub_nc_u32_e32 v0, v0, v1
	v_mad_u32 v56, v0, s51, v56
	v_mad_u32 v3, v0, s60, v3
	;; [unrolled: 1-line block ×3, first 2 shown]
.LBB10_16:
	global_load_b64 v[42:43], v3, s[38:39]
	global_load_b64 v[44:45], v2, s[52:53]
	s_and_b32 vcc_lo, exec_lo, s45
	s_cbranch_vccz .LBB10_18
; %bb.17:
	s_wait_loadcnt 0x1
	v_dual_mov_b32 v0, v42 :: v_dual_mov_b32 v1, v43
	s_wait_loadcnt 0x0
	v_dual_mov_b32 v2, v44 :: v_dual_mov_b32 v3, v45
	s_get_pc_i64 s[0:1]
	s_add_nc_u64 s[0:1], s[0:1], _ZN12_GLOBAL__N_111calc_igammaIdEET_S1_S1_@rel64+4
	s_delay_alu instid0(SALU_CYCLE_1)
	s_swap_pc_i64 s[30:31], s[0:1]
	s_cbranch_execz .LBB10_19
	s_branch .LBB10_20
.LBB10_18:
                                        ; implicit-def: $vgpr0_vgpr1
.LBB10_19:
	s_wait_loadcnt 0x1
	v_dual_mov_b32 v0, v42 :: v_dual_mov_b32 v1, v43
	s_wait_loadcnt 0x0
	v_dual_mov_b32 v2, v44 :: v_dual_mov_b32 v3, v45
	s_get_pc_i64 s[0:1]
	s_add_nc_u64 s[0:1], s[0:1], _ZN12_GLOBAL__N_112calc_igammacIdEET_S1_S1_@rel64+4
	s_delay_alu instid0(SALU_CYCLE_1)
	s_swap_pc_i64 s[30:31], s[0:1]
.LBB10_20:
	v_add_nc_u32_e32 v46, 0x80, v46
	global_store_b64 v56, v[0:1], s[36:37]
	s_wait_xcnt 0x0
	s_or_b32 exec_lo, exec_lo, s54
	s_delay_alu instid0(SALU_CYCLE_1)
	s_mov_b32 s54, exec_lo
	v_cmpx_gt_i32_e64 s69, v46
	s_cbranch_execz .LBB10_3
.LBB10_21:
	s_and_not1_b32 vcc_lo, exec_lo, s65
	s_cbranch_vccnz .LBB10_27
; %bb.22:
	s_and_not1_b32 vcc_lo, exec_lo, s70
	s_cbranch_vccnz .LBB10_28
; %bb.23:
	v_dual_mov_b32 v56, 0 :: v_dual_mov_b32 v0, v46
	v_dual_mov_b32 v3, 0 :: v_dual_mov_b32 v2, 0
	s_add_co_i32 s2, s68, 1
	s_mov_b64 s[0:1], 0xffffffffffffffe8
	s_and_b32 s2, s2, 30
	s_add_nc_u64 s[0:1], s[34:35], s[0:1]
.LBB10_24:                              ; =>This Inner Loop Header: Depth=1
	s_clause 0x1
	s_load_b128 s[4:7], s[0:1], 0x1c
	s_load_b64 s[12:13], s[0:1], 0x2c
	s_add_co_i32 s2, s2, -2
	s_delay_alu instid0(SALU_CYCLE_1) | instskip(SKIP_2) | instid1(VALU_DEP_1)
	s_cmp_eq_u32 s2, 0
	s_wait_kmcnt 0x0
	v_mul_hi_u32 v1, s5, v0
	v_add_nc_u32_e32 v1, v0, v1
	s_delay_alu instid0(VALU_DEP_1) | instskip(NEXT) | instid1(VALU_DEP_1)
	v_lshrrev_b32_e32 v1, s6, v1
	v_mul_hi_u32 v4, s12, v1
	v_mul_lo_u32 v5, v1, s4
	s_clause 0x1
	s_load_b128 s[8:11], s[0:1], 0xdc
	s_load_b64 s[4:5], s[0:1], 0xec
	s_wait_xcnt 0x0
	s_add_nc_u64 s[0:1], s[0:1], 24
	s_delay_alu instid0(VALU_DEP_1) | instskip(NEXT) | instid1(VALU_DEP_1)
	v_dual_add_nc_u32 v4, v1, v4 :: v_dual_sub_nc_u32 v5, v0, v5
	v_lshrrev_b32_e32 v0, s13, v4
	s_wait_kmcnt 0x0
	s_delay_alu instid0(VALU_DEP_2) | instskip(NEXT) | instid1(VALU_DEP_2)
	v_mad_u32 v6, v5, s8, v56
	v_mul_lo_u32 v4, v0, s7
	v_mad_u32 v2, v5, s10, v2
	v_mad_u32 v3, v5, s9, v3
	s_delay_alu instid0(VALU_DEP_3) | instskip(NEXT) | instid1(VALU_DEP_1)
	v_sub_nc_u32_e32 v1, v1, v4
	v_mad_u32 v56, v1, s11, v6
	s_delay_alu instid0(VALU_DEP_4) | instskip(NEXT) | instid1(VALU_DEP_4)
	v_mad_u32 v2, v1, s5, v2
	v_mad_u32 v3, v1, s4, v3
	s_cbranch_scc0 .LBB10_24
; %bb.25:
	s_bitcmp1_b32 s68, 0
	s_cselect_b32 s2, -1, 0
	s_delay_alu instid0(SALU_CYCLE_1)
	s_and_b32 vcc_lo, exec_lo, s2
	s_cbranch_vccnz .LBB10_29
; %bb.26:
	s_clause 0x1
	s_load_b96 s[4:6], s[0:1], 0x1c
	s_load_b96 s[8:10], s[0:1], 0xdc
	s_wait_kmcnt 0x0
	v_mul_hi_u32 v1, s5, v0
	s_delay_alu instid0(VALU_DEP_1) | instskip(NEXT) | instid1(VALU_DEP_1)
	v_add_nc_u32_e32 v1, v0, v1
	v_lshrrev_b32_e32 v1, s6, v1
	s_delay_alu instid0(VALU_DEP_1) | instskip(NEXT) | instid1(VALU_DEP_1)
	v_mul_lo_u32 v1, v1, s4
	v_sub_nc_u32_e32 v0, v0, v1
	s_delay_alu instid0(VALU_DEP_1)
	v_mad_u32 v56, v0, s8, v56
	v_mad_u32 v3, v0, s9, v3
	v_mad_u32 v2, v0, s10, v2
	s_branch .LBB10_29
.LBB10_27:
                                        ; implicit-def: $vgpr2
                                        ; implicit-def: $vgpr3
                                        ; implicit-def: $vgpr56
	s_branch .LBB10_30
.LBB10_28:
	v_dual_mov_b32 v2, 0 :: v_dual_mov_b32 v3, 0
	v_mov_b32_e32 v56, 0
.LBB10_29:
	s_cbranch_execnz .LBB10_32
.LBB10_30:
	v_mov_b32_e32 v47, 0
	s_and_not1_b32 vcc_lo, exec_lo, s67
	s_delay_alu instid0(VALU_DEP_1) | instskip(NEXT) | instid1(VALU_DEP_1)
	v_mul_u64_e32 v[0:1], s[58:59], v[46:47]
	v_add_nc_u32_e32 v0, v46, v1
	s_delay_alu instid0(VALU_DEP_1) | instskip(NEXT) | instid1(VALU_DEP_1)
	v_lshrrev_b32_e32 v0, s46, v0
	v_mul_lo_u32 v1, v0, s44
	s_delay_alu instid0(VALU_DEP_1) | instskip(NEXT) | instid1(VALU_DEP_1)
	v_sub_nc_u32_e32 v1, v46, v1
	v_mul_lo_u32 v56, v1, s48
	v_mul_lo_u32 v2, v1, s50
	;; [unrolled: 1-line block ×3, first 2 shown]
	s_cbranch_vccnz .LBB10_32
; %bb.31:
	v_mov_b32_e32 v1, v47
	s_delay_alu instid0(VALU_DEP_1) | instskip(NEXT) | instid1(VALU_DEP_1)
	v_mul_u64_e32 v[4:5], s[62:63], v[0:1]
	v_add_nc_u32_e32 v1, v0, v5
	s_delay_alu instid0(VALU_DEP_1) | instskip(NEXT) | instid1(VALU_DEP_1)
	v_lshrrev_b32_e32 v1, s57, v1
	v_mul_lo_u32 v1, v1, s47
	s_delay_alu instid0(VALU_DEP_1) | instskip(NEXT) | instid1(VALU_DEP_1)
	v_sub_nc_u32_e32 v0, v0, v1
	v_mad_u32 v56, v0, s51, v56
	v_mad_u32 v3, v0, s60, v3
	;; [unrolled: 1-line block ×3, first 2 shown]
.LBB10_32:
	s_wait_loadcnt 0x1
	global_load_b64 v[42:43], v3, s[38:39]
	s_wait_loadcnt 0x1
	global_load_b64 v[44:45], v2, s[52:53]
	s_and_not1_b32 vcc_lo, exec_lo, s45
	s_cbranch_vccnz .LBB10_34
; %bb.33:
	s_wait_loadcnt 0x1
	v_dual_mov_b32 v0, v42 :: v_dual_mov_b32 v1, v43
	s_wait_loadcnt 0x0
	v_dual_mov_b32 v2, v44 :: v_dual_mov_b32 v3, v45
	s_get_pc_i64 s[0:1]
	s_add_nc_u64 s[0:1], s[0:1], _ZN12_GLOBAL__N_111calc_igammaIdEET_S1_S1_@rel64+4
	s_delay_alu instid0(SALU_CYCLE_1)
	s_swap_pc_i64 s[30:31], s[0:1]
	s_cbranch_execz .LBB10_35
	s_branch .LBB10_36
.LBB10_34:
                                        ; implicit-def: $vgpr0_vgpr1
.LBB10_35:
	s_wait_loadcnt 0x1
	v_dual_mov_b32 v0, v42 :: v_dual_mov_b32 v1, v43
	s_wait_loadcnt 0x0
	v_dual_mov_b32 v2, v44 :: v_dual_mov_b32 v3, v45
	s_get_pc_i64 s[0:1]
	s_add_nc_u64 s[0:1], s[0:1], _ZN12_GLOBAL__N_112calc_igammacIdEET_S1_S1_@rel64+4
	s_delay_alu instid0(SALU_CYCLE_1)
	s_swap_pc_i64 s[30:31], s[0:1]
.LBB10_36:
	v_add_nc_u32_e32 v46, 0x80, v46
	global_store_b64 v56, v[0:1], s[36:37]
	s_wait_xcnt 0x0
	s_or_b32 exec_lo, exec_lo, s54
	s_delay_alu instid0(SALU_CYCLE_1)
	s_mov_b32 s54, exec_lo
	v_cmpx_gt_i32_e64 s69, v46
	s_cbranch_execz .LBB10_4
.LBB10_37:
	s_and_not1_b32 vcc_lo, exec_lo, s65
	s_cbranch_vccnz .LBB10_43
; %bb.38:
	s_and_not1_b32 vcc_lo, exec_lo, s70
	s_cbranch_vccnz .LBB10_44
; %bb.39:
	v_dual_mov_b32 v56, 0 :: v_dual_mov_b32 v0, v46
	v_dual_mov_b32 v3, 0 :: v_dual_mov_b32 v2, 0
	s_add_co_i32 s2, s68, 1
	s_mov_b64 s[0:1], 0xffffffffffffffe8
	s_and_b32 s2, s2, 30
	s_add_nc_u64 s[0:1], s[34:35], s[0:1]
.LBB10_40:                              ; =>This Inner Loop Header: Depth=1
	s_clause 0x1
	s_load_b128 s[4:7], s[0:1], 0x1c
	s_load_b64 s[12:13], s[0:1], 0x2c
	s_add_co_i32 s2, s2, -2
	s_delay_alu instid0(SALU_CYCLE_1) | instskip(SKIP_2) | instid1(VALU_DEP_1)
	s_cmp_eq_u32 s2, 0
	s_wait_kmcnt 0x0
	v_mul_hi_u32 v1, s5, v0
	v_add_nc_u32_e32 v1, v0, v1
	s_delay_alu instid0(VALU_DEP_1) | instskip(NEXT) | instid1(VALU_DEP_1)
	v_lshrrev_b32_e32 v1, s6, v1
	v_mul_hi_u32 v4, s12, v1
	v_mul_lo_u32 v5, v1, s4
	s_clause 0x1
	s_load_b128 s[8:11], s[0:1], 0xdc
	s_load_b64 s[4:5], s[0:1], 0xec
	s_wait_xcnt 0x0
	s_add_nc_u64 s[0:1], s[0:1], 24
	s_delay_alu instid0(VALU_DEP_1) | instskip(NEXT) | instid1(VALU_DEP_1)
	v_dual_add_nc_u32 v4, v1, v4 :: v_dual_sub_nc_u32 v5, v0, v5
	v_lshrrev_b32_e32 v0, s13, v4
	s_wait_kmcnt 0x0
	s_delay_alu instid0(VALU_DEP_2) | instskip(NEXT) | instid1(VALU_DEP_2)
	v_mad_u32 v6, v5, s8, v56
	v_mul_lo_u32 v4, v0, s7
	v_mad_u32 v2, v5, s10, v2
	v_mad_u32 v3, v5, s9, v3
	s_delay_alu instid0(VALU_DEP_3) | instskip(NEXT) | instid1(VALU_DEP_1)
	v_sub_nc_u32_e32 v1, v1, v4
	v_mad_u32 v56, v1, s11, v6
	s_delay_alu instid0(VALU_DEP_4) | instskip(NEXT) | instid1(VALU_DEP_4)
	v_mad_u32 v2, v1, s5, v2
	v_mad_u32 v3, v1, s4, v3
	s_cbranch_scc0 .LBB10_40
; %bb.41:
	s_bitcmp1_b32 s68, 0
	s_cselect_b32 s2, -1, 0
	s_delay_alu instid0(SALU_CYCLE_1)
	s_and_b32 vcc_lo, exec_lo, s2
	s_cbranch_vccnz .LBB10_45
; %bb.42:
	s_clause 0x1
	s_load_b96 s[4:6], s[0:1], 0x1c
	s_load_b96 s[8:10], s[0:1], 0xdc
	s_wait_kmcnt 0x0
	v_mul_hi_u32 v1, s5, v0
	s_delay_alu instid0(VALU_DEP_1) | instskip(NEXT) | instid1(VALU_DEP_1)
	v_add_nc_u32_e32 v1, v0, v1
	v_lshrrev_b32_e32 v1, s6, v1
	s_delay_alu instid0(VALU_DEP_1) | instskip(NEXT) | instid1(VALU_DEP_1)
	v_mul_lo_u32 v1, v1, s4
	v_sub_nc_u32_e32 v0, v0, v1
	s_delay_alu instid0(VALU_DEP_1)
	v_mad_u32 v56, v0, s8, v56
	v_mad_u32 v3, v0, s9, v3
	;; [unrolled: 1-line block ×3, first 2 shown]
	s_branch .LBB10_45
.LBB10_43:
                                        ; implicit-def: $vgpr2
                                        ; implicit-def: $vgpr3
                                        ; implicit-def: $vgpr56
	s_branch .LBB10_46
.LBB10_44:
	v_dual_mov_b32 v2, 0 :: v_dual_mov_b32 v3, 0
	v_mov_b32_e32 v56, 0
.LBB10_45:
	s_cbranch_execnz .LBB10_48
.LBB10_46:
	v_mov_b32_e32 v47, 0
	s_and_not1_b32 vcc_lo, exec_lo, s67
	s_delay_alu instid0(VALU_DEP_1) | instskip(NEXT) | instid1(VALU_DEP_1)
	v_mul_u64_e32 v[0:1], s[58:59], v[46:47]
	v_add_nc_u32_e32 v0, v46, v1
	s_delay_alu instid0(VALU_DEP_1) | instskip(NEXT) | instid1(VALU_DEP_1)
	v_lshrrev_b32_e32 v0, s46, v0
	v_mul_lo_u32 v1, v0, s44
	s_delay_alu instid0(VALU_DEP_1) | instskip(NEXT) | instid1(VALU_DEP_1)
	v_sub_nc_u32_e32 v1, v46, v1
	v_mul_lo_u32 v56, v1, s48
	v_mul_lo_u32 v2, v1, s50
	;; [unrolled: 1-line block ×3, first 2 shown]
	s_cbranch_vccnz .LBB10_48
; %bb.47:
	v_mov_b32_e32 v1, v47
	s_delay_alu instid0(VALU_DEP_1) | instskip(NEXT) | instid1(VALU_DEP_1)
	v_mul_u64_e32 v[4:5], s[62:63], v[0:1]
	v_add_nc_u32_e32 v1, v0, v5
	s_delay_alu instid0(VALU_DEP_1) | instskip(NEXT) | instid1(VALU_DEP_1)
	v_lshrrev_b32_e32 v1, s57, v1
	v_mul_lo_u32 v1, v1, s47
	s_delay_alu instid0(VALU_DEP_1) | instskip(NEXT) | instid1(VALU_DEP_1)
	v_sub_nc_u32_e32 v0, v0, v1
	v_mad_u32 v56, v0, s51, v56
	v_mad_u32 v3, v0, s60, v3
	;; [unrolled: 1-line block ×3, first 2 shown]
.LBB10_48:
	s_wait_loadcnt 0x1
	global_load_b64 v[42:43], v3, s[38:39]
	s_wait_loadcnt 0x1
	global_load_b64 v[44:45], v2, s[52:53]
	s_and_not1_b32 vcc_lo, exec_lo, s45
	s_cbranch_vccnz .LBB10_50
; %bb.49:
	s_wait_loadcnt 0x1
	v_dual_mov_b32 v0, v42 :: v_dual_mov_b32 v1, v43
	s_wait_loadcnt 0x0
	v_dual_mov_b32 v2, v44 :: v_dual_mov_b32 v3, v45
	s_get_pc_i64 s[0:1]
	s_add_nc_u64 s[0:1], s[0:1], _ZN12_GLOBAL__N_111calc_igammaIdEET_S1_S1_@rel64+4
	s_delay_alu instid0(SALU_CYCLE_1)
	s_swap_pc_i64 s[30:31], s[0:1]
	s_cbranch_execz .LBB10_51
	s_branch .LBB10_52
.LBB10_50:
                                        ; implicit-def: $vgpr0_vgpr1
.LBB10_51:
	s_wait_loadcnt 0x1
	v_dual_mov_b32 v0, v42 :: v_dual_mov_b32 v1, v43
	s_wait_loadcnt 0x0
	v_dual_mov_b32 v2, v44 :: v_dual_mov_b32 v3, v45
	s_get_pc_i64 s[0:1]
	s_add_nc_u64 s[0:1], s[0:1], _ZN12_GLOBAL__N_112calc_igammacIdEET_S1_S1_@rel64+4
	s_delay_alu instid0(SALU_CYCLE_1)
	s_swap_pc_i64 s[30:31], s[0:1]
.LBB10_52:
	v_add_nc_u32_e32 v46, 0x80, v46
	global_store_b64 v56, v[0:1], s[36:37]
	s_wait_xcnt 0x0
	s_or_b32 exec_lo, exec_lo, s54
	s_delay_alu instid0(SALU_CYCLE_1)
	s_mov_b32 s54, exec_lo
	v_cmpx_gt_i32_e64 s69, v46
	s_cbranch_execz .LBB10_69
.LBB10_53:
	s_and_not1_b32 vcc_lo, exec_lo, s65
	s_cbranch_vccnz .LBB10_59
; %bb.54:
	s_and_not1_b32 vcc_lo, exec_lo, s70
	s_cbranch_vccnz .LBB10_60
; %bb.55:
	v_dual_mov_b32 v56, 0 :: v_dual_mov_b32 v0, v46
	v_dual_mov_b32 v3, 0 :: v_dual_mov_b32 v2, 0
	s_add_co_i32 s2, s68, 1
	s_mov_b64 s[0:1], 0xffffffffffffffe8
	s_and_b32 s2, s2, 30
	s_add_nc_u64 s[0:1], s[34:35], s[0:1]
.LBB10_56:                              ; =>This Inner Loop Header: Depth=1
	s_clause 0x1
	s_load_b128 s[4:7], s[0:1], 0x1c
	s_load_b64 s[12:13], s[0:1], 0x2c
	s_add_co_i32 s2, s2, -2
	s_delay_alu instid0(SALU_CYCLE_1) | instskip(SKIP_2) | instid1(VALU_DEP_1)
	s_cmp_eq_u32 s2, 0
	s_wait_kmcnt 0x0
	v_mul_hi_u32 v1, s5, v0
	v_add_nc_u32_e32 v1, v0, v1
	s_delay_alu instid0(VALU_DEP_1) | instskip(NEXT) | instid1(VALU_DEP_1)
	v_lshrrev_b32_e32 v1, s6, v1
	v_mul_hi_u32 v4, s12, v1
	v_mul_lo_u32 v5, v1, s4
	s_clause 0x1
	s_load_b128 s[8:11], s[0:1], 0xdc
	s_load_b64 s[4:5], s[0:1], 0xec
	s_wait_xcnt 0x0
	s_add_nc_u64 s[0:1], s[0:1], 24
	s_delay_alu instid0(VALU_DEP_1) | instskip(NEXT) | instid1(VALU_DEP_1)
	v_dual_add_nc_u32 v4, v1, v4 :: v_dual_sub_nc_u32 v5, v0, v5
	v_lshrrev_b32_e32 v0, s13, v4
	s_wait_kmcnt 0x0
	s_delay_alu instid0(VALU_DEP_2) | instskip(NEXT) | instid1(VALU_DEP_2)
	v_mad_u32 v6, v5, s8, v56
	v_mul_lo_u32 v4, v0, s7
	v_mad_u32 v2, v5, s10, v2
	v_mad_u32 v3, v5, s9, v3
	s_delay_alu instid0(VALU_DEP_3) | instskip(NEXT) | instid1(VALU_DEP_1)
	v_sub_nc_u32_e32 v1, v1, v4
	v_mad_u32 v56, v1, s11, v6
	s_delay_alu instid0(VALU_DEP_4) | instskip(NEXT) | instid1(VALU_DEP_4)
	v_mad_u32 v2, v1, s5, v2
	v_mad_u32 v3, v1, s4, v3
	s_cbranch_scc0 .LBB10_56
; %bb.57:
	s_bitcmp1_b32 s68, 0
	s_cselect_b32 s2, -1, 0
	s_delay_alu instid0(SALU_CYCLE_1)
	s_and_b32 vcc_lo, exec_lo, s2
	s_cbranch_vccnz .LBB10_61
; %bb.58:
	s_clause 0x1
	s_load_b96 s[4:6], s[0:1], 0x1c
	s_load_b96 s[8:10], s[0:1], 0xdc
	s_wait_kmcnt 0x0
	v_mul_hi_u32 v1, s5, v0
	s_delay_alu instid0(VALU_DEP_1) | instskip(NEXT) | instid1(VALU_DEP_1)
	v_add_nc_u32_e32 v1, v0, v1
	v_lshrrev_b32_e32 v1, s6, v1
	s_delay_alu instid0(VALU_DEP_1) | instskip(NEXT) | instid1(VALU_DEP_1)
	v_mul_lo_u32 v1, v1, s4
	v_sub_nc_u32_e32 v0, v0, v1
	s_delay_alu instid0(VALU_DEP_1)
	v_mad_u32 v56, v0, s8, v56
	v_mad_u32 v3, v0, s9, v3
	;; [unrolled: 1-line block ×3, first 2 shown]
	s_branch .LBB10_61
.LBB10_59:
                                        ; implicit-def: $vgpr2
                                        ; implicit-def: $vgpr3
                                        ; implicit-def: $vgpr56
	s_branch .LBB10_62
.LBB10_60:
	v_dual_mov_b32 v2, 0 :: v_dual_mov_b32 v3, 0
	v_mov_b32_e32 v56, 0
.LBB10_61:
	s_cbranch_execnz .LBB10_64
.LBB10_62:
	v_mov_b32_e32 v47, 0
	s_and_not1_b32 vcc_lo, exec_lo, s67
	s_delay_alu instid0(VALU_DEP_1) | instskip(NEXT) | instid1(VALU_DEP_1)
	v_mul_u64_e32 v[0:1], s[58:59], v[46:47]
	v_add_nc_u32_e32 v0, v46, v1
	s_delay_alu instid0(VALU_DEP_1) | instskip(NEXT) | instid1(VALU_DEP_1)
	v_lshrrev_b32_e32 v0, s46, v0
	v_mul_lo_u32 v1, v0, s44
	s_delay_alu instid0(VALU_DEP_1) | instskip(NEXT) | instid1(VALU_DEP_1)
	v_sub_nc_u32_e32 v1, v46, v1
	v_mul_lo_u32 v56, v1, s48
	v_mul_lo_u32 v2, v1, s50
	;; [unrolled: 1-line block ×3, first 2 shown]
	s_cbranch_vccnz .LBB10_64
; %bb.63:
	v_mov_b32_e32 v1, v47
	s_delay_alu instid0(VALU_DEP_1) | instskip(NEXT) | instid1(VALU_DEP_1)
	v_mul_u64_e32 v[4:5], s[62:63], v[0:1]
	v_add_nc_u32_e32 v1, v0, v5
	s_delay_alu instid0(VALU_DEP_1) | instskip(NEXT) | instid1(VALU_DEP_1)
	v_lshrrev_b32_e32 v1, s57, v1
	v_mul_lo_u32 v1, v1, s47
	s_delay_alu instid0(VALU_DEP_1) | instskip(NEXT) | instid1(VALU_DEP_1)
	v_sub_nc_u32_e32 v0, v0, v1
	v_mad_u32 v56, v0, s51, v56
	v_mad_u32 v3, v0, s60, v3
	;; [unrolled: 1-line block ×3, first 2 shown]
.LBB10_64:
	s_wait_loadcnt 0x1
	global_load_b64 v[42:43], v3, s[38:39]
	s_wait_loadcnt 0x1
	global_load_b64 v[44:45], v2, s[52:53]
	s_and_not1_b32 vcc_lo, exec_lo, s45
	s_cbranch_vccnz .LBB10_66
; %bb.65:
	s_wait_loadcnt 0x1
	v_dual_mov_b32 v0, v42 :: v_dual_mov_b32 v1, v43
	s_wait_loadcnt 0x0
	v_dual_mov_b32 v2, v44 :: v_dual_mov_b32 v3, v45
	s_get_pc_i64 s[0:1]
	s_add_nc_u64 s[0:1], s[0:1], _ZN12_GLOBAL__N_111calc_igammaIdEET_S1_S1_@rel64+4
	s_delay_alu instid0(SALU_CYCLE_1)
	s_swap_pc_i64 s[30:31], s[0:1]
	s_cbranch_execz .LBB10_67
	s_branch .LBB10_68
.LBB10_66:
                                        ; implicit-def: $vgpr0_vgpr1
.LBB10_67:
	s_wait_loadcnt 0x1
	v_dual_mov_b32 v0, v42 :: v_dual_mov_b32 v1, v43
	s_wait_loadcnt 0x0
	v_dual_mov_b32 v2, v44 :: v_dual_mov_b32 v3, v45
	s_get_pc_i64 s[0:1]
	s_add_nc_u64 s[0:1], s[0:1], _ZN12_GLOBAL__N_112calc_igammacIdEET_S1_S1_@rel64+4
	s_delay_alu instid0(SALU_CYCLE_1)
	s_swap_pc_i64 s[30:31], s[0:1]
.LBB10_68:
	global_store_b64 v56, v[0:1], s[36:37]
.LBB10_69:
	s_wait_xcnt 0x0
	s_or_b32 exec_lo, exec_lo, s54
                                        ; implicit-def: $vgpr0
                                        ; implicit-def: $vgpr46
.LBB10_70:
	s_and_not1_saveexec_b32 s0, s66
	s_cbranch_execz .LBB10_77
; %bb.71:
	v_cndmask_b32_e64 v3, 0, 1, s65
	s_and_not1_b32 vcc_lo, exec_lo, s65
	s_cbranch_vccnz .LBB10_78
; %bb.72:
	s_cmp_lg_u32 s55, 0
	s_mov_b32 s2, 0
	s_cbranch_scc0 .LBB10_82
; %bb.73:
	s_min_u32 s3, s64, 15
	v_dual_mov_b32 v60, 0 :: v_dual_mov_b32 v4, v46
	v_dual_mov_b32 v2, 0 :: v_dual_mov_b32 v1, 0
	s_add_co_i32 s4, s3, 1
	s_mov_b64 s[0:1], 0xffffffffffffffe8
	s_and_b32 s4, s4, 30
	s_add_nc_u64 s[0:1], s[34:35], s[0:1]
.LBB10_74:                              ; =>This Inner Loop Header: Depth=1
	s_clause 0x1
	s_load_b128 s[8:11], s[0:1], 0x1c
	s_load_b64 s[6:7], s[0:1], 0x2c
	s_add_co_i32 s4, s4, -2
	s_delay_alu instid0(SALU_CYCLE_1) | instskip(SKIP_2) | instid1(VALU_DEP_1)
	s_cmp_lg_u32 s4, 0
	s_wait_kmcnt 0x0
	v_mul_hi_u32 v5, s9, v4
	v_add_nc_u32_e32 v5, v4, v5
	s_delay_alu instid0(VALU_DEP_1) | instskip(NEXT) | instid1(VALU_DEP_1)
	v_lshrrev_b32_e32 v5, s10, v5
	v_mul_hi_u32 v6, s6, v5
	v_mul_lo_u32 v7, v5, s8
	s_clause 0x1
	s_load_b128 s[12:15], s[0:1], 0xdc
	s_load_b64 s[8:9], s[0:1], 0xec
	s_wait_xcnt 0x0
	s_add_nc_u64 s[0:1], s[0:1], 24
	s_delay_alu instid0(VALU_DEP_1) | instskip(NEXT) | instid1(VALU_DEP_1)
	v_dual_add_nc_u32 v6, v5, v6 :: v_dual_sub_nc_u32 v7, v4, v7
	v_lshrrev_b32_e32 v4, s7, v6
	s_wait_kmcnt 0x0
	s_delay_alu instid0(VALU_DEP_2) | instskip(NEXT) | instid1(VALU_DEP_2)
	v_mad_u32 v8, v7, s12, v60
	v_mul_lo_u32 v6, v4, s11
	v_mad_u32 v1, v7, s14, v1
	v_mad_u32 v2, v7, s13, v2
	s_delay_alu instid0(VALU_DEP_3) | instskip(NEXT) | instid1(VALU_DEP_1)
	v_sub_nc_u32_e32 v5, v5, v6
	v_mad_u32 v60, v5, s15, v8
	s_delay_alu instid0(VALU_DEP_4) | instskip(NEXT) | instid1(VALU_DEP_4)
	v_mad_u32 v1, v5, s9, v1
	v_mad_u32 v2, v5, s8, v2
	s_cbranch_scc1 .LBB10_74
; %bb.75:
	s_bitcmp1_b32 s3, 0
	s_cselect_b32 s3, -1, 0
	s_delay_alu instid0(SALU_CYCLE_1)
	s_and_b32 vcc_lo, exec_lo, s3
	s_cbranch_vccnz .LBB10_79
; %bb.76:
	s_clause 0x1
	s_load_b96 s[4:6], s[0:1], 0x1c
	s_load_b96 s[8:10], s[0:1], 0xdc
	s_wait_kmcnt 0x0
	v_mul_hi_u32 v5, s5, v4
	s_delay_alu instid0(VALU_DEP_1) | instskip(NEXT) | instid1(VALU_DEP_1)
	v_add_nc_u32_e32 v5, v4, v5
	v_lshrrev_b32_e32 v5, s6, v5
	s_delay_alu instid0(VALU_DEP_1) | instskip(NEXT) | instid1(VALU_DEP_1)
	v_mul_lo_u32 v5, v5, s4
	v_sub_nc_u32_e32 v4, v4, v5
	s_delay_alu instid0(VALU_DEP_1)
	v_mad_u32 v60, v4, s8, v60
	v_mad_u32 v2, v4, s9, v2
	;; [unrolled: 1-line block ×3, first 2 shown]
	s_and_not1_b32 vcc_lo, exec_lo, s2
	s_cbranch_vccz .LBB10_80
	s_branch .LBB10_83
.LBB10_77:
	s_endpgm
.LBB10_78:
	s_mov_b32 s2, -1
                                        ; implicit-def: $vgpr1
                                        ; implicit-def: $vgpr2
                                        ; implicit-def: $vgpr60
.LBB10_79:
	s_delay_alu instid0(SALU_CYCLE_1)
	s_and_not1_b32 vcc_lo, exec_lo, s2
	s_cbranch_vccnz .LBB10_83
.LBB10_80:
	s_clause 0x1
	s_load_b96 s[0:2], s[34:35], 0x4
	s_load_b96 s[4:6], s[34:35], 0xc4
	s_cmp_lt_u32 s55, 2
	s_wait_kmcnt 0x0
	v_mul_hi_u32 v1, s1, v46
	s_delay_alu instid0(VALU_DEP_1) | instskip(NEXT) | instid1(VALU_DEP_1)
	v_add_nc_u32_e32 v1, v46, v1
	v_lshrrev_b32_e32 v4, s2, v1
	s_delay_alu instid0(VALU_DEP_1) | instskip(NEXT) | instid1(VALU_DEP_1)
	v_mul_lo_u32 v1, v4, s0
	v_sub_nc_u32_e32 v2, v46, v1
	s_delay_alu instid0(VALU_DEP_1)
	v_mul_lo_u32 v60, v2, s4
	v_mul_lo_u32 v1, v2, s6
	;; [unrolled: 1-line block ×3, first 2 shown]
	s_cbranch_scc1 .LBB10_83
; %bb.81:
	s_clause 0x1
	s_load_b96 s[0:2], s[34:35], 0x10
	s_load_b96 s[4:6], s[34:35], 0xd0
	s_wait_kmcnt 0x0
	v_mul_hi_u32 v5, s1, v4
	s_delay_alu instid0(VALU_DEP_1) | instskip(NEXT) | instid1(VALU_DEP_1)
	v_add_nc_u32_e32 v5, v4, v5
	v_lshrrev_b32_e32 v5, s2, v5
	s_delay_alu instid0(VALU_DEP_1) | instskip(NEXT) | instid1(VALU_DEP_1)
	v_mul_lo_u32 v5, v5, s0
	v_sub_nc_u32_e32 v4, v4, v5
	s_delay_alu instid0(VALU_DEP_1)
	v_mad_u32 v60, v4, s4, v60
	v_mad_u32 v2, v4, s5, v2
	;; [unrolled: 1-line block ×3, first 2 shown]
	s_branch .LBB10_83
.LBB10_82:
	v_dual_mov_b32 v1, 0 :: v_dual_mov_b32 v2, 0
	v_mov_b32_e32 v60, 0
	s_and_not1_b32 vcc_lo, exec_lo, s2
	s_cbranch_vccz .LBB10_80
.LBB10_83:
	v_cmp_ne_u32_e32 vcc_lo, 1, v3
	v_add_nc_u32_e32 v4, 0x80, v46
	s_cbranch_vccnz .LBB10_89
; %bb.84:
	s_cmp_lg_u32 s55, 0
	s_mov_b32 s2, 0
	s_cbranch_scc0 .LBB10_93
; %bb.85:
	s_min_u32 s3, s64, 15
	v_dual_mov_b32 v61, 0 :: v_dual_mov_b32 v5, v4
	v_dual_mov_b32 v59, 0 :: v_dual_mov_b32 v58, 0
	s_add_co_i32 s4, s3, 1
	s_mov_b64 s[0:1], 0xffffffffffffffe8
	s_and_b32 s4, s4, 30
	s_add_nc_u64 s[0:1], s[34:35], s[0:1]
.LBB10_86:                              ; =>This Inner Loop Header: Depth=1
	s_clause 0x1
	s_load_b128 s[8:11], s[0:1], 0x1c
	s_load_b64 s[6:7], s[0:1], 0x2c
	s_add_co_i32 s4, s4, -2
	s_delay_alu instid0(SALU_CYCLE_1) | instskip(SKIP_2) | instid1(VALU_DEP_1)
	s_cmp_lg_u32 s4, 0
	s_wait_kmcnt 0x0
	v_mul_hi_u32 v6, s9, v5
	v_add_nc_u32_e32 v6, v5, v6
	s_delay_alu instid0(VALU_DEP_1) | instskip(NEXT) | instid1(VALU_DEP_1)
	v_lshrrev_b32_e32 v6, s10, v6
	v_mul_hi_u32 v7, s6, v6
	v_mul_lo_u32 v8, v6, s8
	s_clause 0x1
	s_load_b128 s[12:15], s[0:1], 0xdc
	s_load_b64 s[8:9], s[0:1], 0xec
	s_wait_xcnt 0x0
	s_add_nc_u64 s[0:1], s[0:1], 24
	s_delay_alu instid0(VALU_DEP_1) | instskip(NEXT) | instid1(VALU_DEP_1)
	v_dual_add_nc_u32 v7, v6, v7 :: v_dual_sub_nc_u32 v8, v5, v8
	v_lshrrev_b32_e32 v5, s7, v7
	s_wait_kmcnt 0x0
	s_delay_alu instid0(VALU_DEP_2) | instskip(NEXT) | instid1(VALU_DEP_2)
	v_mad_u32 v9, v8, s12, v61
	v_mul_lo_u32 v7, v5, s11
	v_mad_u32 v10, v8, s14, v58
	v_mad_u32 v8, v8, s13, v59
	s_delay_alu instid0(VALU_DEP_3) | instskip(NEXT) | instid1(VALU_DEP_1)
	v_sub_nc_u32_e32 v6, v6, v7
	v_mad_u32 v61, v6, s15, v9
	s_delay_alu instid0(VALU_DEP_4) | instskip(NEXT) | instid1(VALU_DEP_4)
	v_mad_u32 v58, v6, s9, v10
	v_mad_u32 v59, v6, s8, v8
	s_cbranch_scc1 .LBB10_86
; %bb.87:
	s_bitcmp1_b32 s3, 0
	s_cselect_b32 s3, -1, 0
	s_delay_alu instid0(SALU_CYCLE_1)
	s_and_b32 vcc_lo, exec_lo, s3
	s_cbranch_vccnz .LBB10_90
; %bb.88:
	s_clause 0x1
	s_load_b96 s[4:6], s[0:1], 0x1c
	s_load_b96 s[8:10], s[0:1], 0xdc
	s_wait_kmcnt 0x0
	v_mul_hi_u32 v6, s5, v5
	s_delay_alu instid0(VALU_DEP_1) | instskip(NEXT) | instid1(VALU_DEP_1)
	v_add_nc_u32_e32 v6, v5, v6
	v_lshrrev_b32_e32 v6, s6, v6
	s_delay_alu instid0(VALU_DEP_1) | instskip(NEXT) | instid1(VALU_DEP_1)
	v_mul_lo_u32 v6, v6, s4
	v_sub_nc_u32_e32 v5, v5, v6
	s_delay_alu instid0(VALU_DEP_1)
	v_mad_u32 v61, v5, s8, v61
	v_mad_u32 v59, v5, s9, v59
	;; [unrolled: 1-line block ×3, first 2 shown]
	s_and_not1_b32 vcc_lo, exec_lo, s2
	s_cbranch_vccz .LBB10_91
	s_branch .LBB10_94
.LBB10_89:
	s_mov_b32 s2, -1
                                        ; implicit-def: $vgpr58
                                        ; implicit-def: $vgpr59
                                        ; implicit-def: $vgpr61
.LBB10_90:
	s_delay_alu instid0(SALU_CYCLE_1)
	s_and_not1_b32 vcc_lo, exec_lo, s2
	s_cbranch_vccnz .LBB10_94
.LBB10_91:
	s_clause 0x1
	s_load_b96 s[0:2], s[34:35], 0x4
	s_load_b96 s[4:6], s[34:35], 0xc4
	s_cmp_lt_u32 s55, 2
	s_wait_kmcnt 0x0
	v_mul_hi_u32 v5, s1, v4
	s_delay_alu instid0(VALU_DEP_1) | instskip(NEXT) | instid1(VALU_DEP_1)
	v_add_nc_u32_e32 v5, v4, v5
	v_lshrrev_b32_e32 v5, s2, v5
	s_delay_alu instid0(VALU_DEP_1) | instskip(NEXT) | instid1(VALU_DEP_1)
	v_mul_lo_u32 v6, v5, s0
	v_sub_nc_u32_e32 v4, v4, v6
	s_delay_alu instid0(VALU_DEP_1)
	v_mul_lo_u32 v61, v4, s4
	v_mul_lo_u32 v58, v4, s6
	;; [unrolled: 1-line block ×3, first 2 shown]
	s_cbranch_scc1 .LBB10_94
; %bb.92:
	s_clause 0x1
	s_load_b96 s[0:2], s[34:35], 0x10
	s_load_b96 s[4:6], s[34:35], 0xd0
	s_wait_kmcnt 0x0
	v_mul_hi_u32 v4, s1, v5
	s_delay_alu instid0(VALU_DEP_1) | instskip(NEXT) | instid1(VALU_DEP_1)
	v_add_nc_u32_e32 v4, v5, v4
	v_lshrrev_b32_e32 v4, s2, v4
	s_delay_alu instid0(VALU_DEP_1) | instskip(NEXT) | instid1(VALU_DEP_1)
	v_mul_lo_u32 v4, v4, s0
	v_sub_nc_u32_e32 v4, v5, v4
	s_delay_alu instid0(VALU_DEP_1)
	v_mad_u32 v61, v4, s4, v61
	v_mad_u32 v59, v4, s5, v59
	;; [unrolled: 1-line block ×3, first 2 shown]
	s_branch .LBB10_94
.LBB10_93:
	v_dual_mov_b32 v58, 0 :: v_dual_mov_b32 v59, 0
	v_mov_b32_e32 v61, 0
	s_and_not1_b32 vcc_lo, exec_lo, s2
	s_cbranch_vccz .LBB10_91
.LBB10_94:
	v_cmp_ne_u32_e32 vcc_lo, 1, v3
	v_add_nc_u32_e32 v4, 0x100, v46
	s_cbranch_vccnz .LBB10_100
; %bb.95:
	s_cmp_lg_u32 s55, 0
	s_mov_b32 s2, 0
	s_cbranch_scc0 .LBB10_104
; %bb.96:
	s_min_u32 s3, s64, 15
	v_dual_mov_b32 v62, 0 :: v_dual_mov_b32 v5, v4
	v_dual_mov_b32 v72, 0 :: v_dual_mov_b32 v63, 0
	s_add_co_i32 s4, s3, 1
	s_mov_b64 s[0:1], 0xffffffffffffffe8
	s_and_b32 s4, s4, 30
	s_add_nc_u64 s[0:1], s[34:35], s[0:1]
.LBB10_97:                              ; =>This Inner Loop Header: Depth=1
	s_clause 0x1
	s_load_b128 s[8:11], s[0:1], 0x1c
	s_load_b64 s[6:7], s[0:1], 0x2c
	s_add_co_i32 s4, s4, -2
	s_delay_alu instid0(SALU_CYCLE_1) | instskip(SKIP_2) | instid1(VALU_DEP_1)
	s_cmp_lg_u32 s4, 0
	s_wait_kmcnt 0x0
	v_mul_hi_u32 v6, s9, v5
	v_add_nc_u32_e32 v6, v5, v6
	s_delay_alu instid0(VALU_DEP_1) | instskip(NEXT) | instid1(VALU_DEP_1)
	v_lshrrev_b32_e32 v6, s10, v6
	v_mul_hi_u32 v7, s6, v6
	v_mul_lo_u32 v8, v6, s8
	s_clause 0x1
	s_load_b128 s[12:15], s[0:1], 0xdc
	s_load_b64 s[8:9], s[0:1], 0xec
	s_wait_xcnt 0x0
	s_add_nc_u64 s[0:1], s[0:1], 24
	s_delay_alu instid0(VALU_DEP_1) | instskip(NEXT) | instid1(VALU_DEP_1)
	v_dual_add_nc_u32 v7, v6, v7 :: v_dual_sub_nc_u32 v8, v5, v8
	v_lshrrev_b32_e32 v5, s7, v7
	s_wait_kmcnt 0x0
	s_delay_alu instid0(VALU_DEP_2) | instskip(NEXT) | instid1(VALU_DEP_2)
	v_mad_u32 v9, v8, s12, v62
	v_mul_lo_u32 v7, v5, s11
	v_mad_u32 v10, v8, s14, v63
	v_mad_u32 v8, v8, s13, v72
	s_delay_alu instid0(VALU_DEP_3) | instskip(NEXT) | instid1(VALU_DEP_1)
	v_sub_nc_u32_e32 v6, v6, v7
	v_mad_u32 v62, v6, s15, v9
	s_delay_alu instid0(VALU_DEP_4) | instskip(NEXT) | instid1(VALU_DEP_4)
	v_mad_u32 v63, v6, s9, v10
	v_mad_u32 v72, v6, s8, v8
	s_cbranch_scc1 .LBB10_97
; %bb.98:
	s_bitcmp1_b32 s3, 0
	s_cselect_b32 s3, -1, 0
	s_delay_alu instid0(SALU_CYCLE_1)
	s_and_b32 vcc_lo, exec_lo, s3
	s_cbranch_vccnz .LBB10_101
; %bb.99:
	s_clause 0x1
	s_load_b96 s[4:6], s[0:1], 0x1c
	s_load_b96 s[8:10], s[0:1], 0xdc
	s_wait_kmcnt 0x0
	v_mul_hi_u32 v6, s5, v5
	s_delay_alu instid0(VALU_DEP_1) | instskip(NEXT) | instid1(VALU_DEP_1)
	v_add_nc_u32_e32 v6, v5, v6
	v_lshrrev_b32_e32 v6, s6, v6
	s_delay_alu instid0(VALU_DEP_1) | instskip(NEXT) | instid1(VALU_DEP_1)
	v_mul_lo_u32 v6, v6, s4
	v_sub_nc_u32_e32 v5, v5, v6
	s_delay_alu instid0(VALU_DEP_1)
	v_mad_u32 v62, v5, s8, v62
	v_mad_u32 v72, v5, s9, v72
	;; [unrolled: 1-line block ×3, first 2 shown]
	s_and_not1_b32 vcc_lo, exec_lo, s2
	s_cbranch_vccz .LBB10_102
	s_branch .LBB10_105
.LBB10_100:
	s_mov_b32 s2, -1
                                        ; implicit-def: $vgpr63
                                        ; implicit-def: $vgpr72
                                        ; implicit-def: $vgpr62
.LBB10_101:
	s_delay_alu instid0(SALU_CYCLE_1)
	s_and_not1_b32 vcc_lo, exec_lo, s2
	s_cbranch_vccnz .LBB10_105
.LBB10_102:
	s_clause 0x1
	s_load_b96 s[0:2], s[34:35], 0x4
	s_load_b96 s[4:6], s[34:35], 0xc4
	s_cmp_lt_u32 s55, 2
	s_wait_kmcnt 0x0
	v_mul_hi_u32 v5, s1, v4
	s_delay_alu instid0(VALU_DEP_1) | instskip(NEXT) | instid1(VALU_DEP_1)
	v_add_nc_u32_e32 v5, v4, v5
	v_lshrrev_b32_e32 v5, s2, v5
	s_delay_alu instid0(VALU_DEP_1) | instskip(NEXT) | instid1(VALU_DEP_1)
	v_mul_lo_u32 v6, v5, s0
	v_sub_nc_u32_e32 v4, v4, v6
	s_delay_alu instid0(VALU_DEP_1)
	v_mul_lo_u32 v62, v4, s4
	v_mul_lo_u32 v63, v4, s6
	;; [unrolled: 1-line block ×3, first 2 shown]
	s_cbranch_scc1 .LBB10_105
; %bb.103:
	s_clause 0x1
	s_load_b96 s[0:2], s[34:35], 0x10
	s_load_b96 s[4:6], s[34:35], 0xd0
	s_wait_kmcnt 0x0
	v_mul_hi_u32 v4, s1, v5
	s_delay_alu instid0(VALU_DEP_1) | instskip(NEXT) | instid1(VALU_DEP_1)
	v_add_nc_u32_e32 v4, v5, v4
	v_lshrrev_b32_e32 v4, s2, v4
	s_delay_alu instid0(VALU_DEP_1) | instskip(NEXT) | instid1(VALU_DEP_1)
	v_mul_lo_u32 v4, v4, s0
	v_sub_nc_u32_e32 v4, v5, v4
	s_delay_alu instid0(VALU_DEP_1)
	v_mad_u32 v62, v4, s4, v62
	v_mad_u32 v72, v4, s5, v72
	;; [unrolled: 1-line block ×3, first 2 shown]
	s_branch .LBB10_105
.LBB10_104:
	v_dual_mov_b32 v63, 0 :: v_dual_mov_b32 v72, 0
	v_mov_b32_e32 v62, 0
	s_and_not1_b32 vcc_lo, exec_lo, s2
	s_cbranch_vccz .LBB10_102
.LBB10_105:
	v_cmp_ne_u32_e32 vcc_lo, 1, v3
	s_cbranch_vccnz .LBB10_111
; %bb.106:
	s_cmp_lg_u32 s55, 0
	s_mov_b32 s2, 0
	s_cbranch_scc0 .LBB10_115
; %bb.107:
	s_min_u32 s3, s64, 15
	v_dual_mov_b32 v73, 0 :: v_dual_mov_b32 v3, v0
	v_dual_mov_b32 v75, 0 :: v_dual_mov_b32 v74, 0
	s_add_co_i32 s4, s3, 1
	s_mov_b64 s[0:1], 0xffffffffffffffe8
	s_and_b32 s4, s4, 30
	s_add_nc_u64 s[0:1], s[34:35], s[0:1]
.LBB10_108:                             ; =>This Inner Loop Header: Depth=1
	s_clause 0x1
	s_load_b128 s[8:11], s[0:1], 0x1c
	s_load_b64 s[6:7], s[0:1], 0x2c
	s_add_co_i32 s4, s4, -2
	s_delay_alu instid0(SALU_CYCLE_1) | instskip(SKIP_2) | instid1(VALU_DEP_1)
	s_cmp_lg_u32 s4, 0
	s_wait_kmcnt 0x0
	v_mul_hi_u32 v4, s9, v3
	v_add_nc_u32_e32 v4, v3, v4
	s_delay_alu instid0(VALU_DEP_1) | instskip(NEXT) | instid1(VALU_DEP_1)
	v_lshrrev_b32_e32 v4, s10, v4
	v_mul_hi_u32 v5, s6, v4
	v_mul_lo_u32 v6, v4, s8
	s_clause 0x1
	s_load_b128 s[12:15], s[0:1], 0xdc
	s_load_b64 s[8:9], s[0:1], 0xec
	s_wait_xcnt 0x0
	s_add_nc_u64 s[0:1], s[0:1], 24
	s_delay_alu instid0(VALU_DEP_1) | instskip(NEXT) | instid1(VALU_DEP_1)
	v_dual_add_nc_u32 v5, v4, v5 :: v_dual_sub_nc_u32 v6, v3, v6
	v_lshrrev_b32_e32 v3, s7, v5
	s_wait_kmcnt 0x0
	s_delay_alu instid0(VALU_DEP_2) | instskip(NEXT) | instid1(VALU_DEP_2)
	v_mad_u32 v7, v6, s12, v73
	v_mul_lo_u32 v5, v3, s11
	v_mad_u32 v8, v6, s14, v74
	v_mad_u32 v6, v6, s13, v75
	s_delay_alu instid0(VALU_DEP_3) | instskip(NEXT) | instid1(VALU_DEP_1)
	v_sub_nc_u32_e32 v4, v4, v5
	v_mad_u32 v73, v4, s15, v7
	s_delay_alu instid0(VALU_DEP_4) | instskip(NEXT) | instid1(VALU_DEP_4)
	v_mad_u32 v74, v4, s9, v8
	v_mad_u32 v75, v4, s8, v6
	s_cbranch_scc1 .LBB10_108
; %bb.109:
	s_bitcmp1_b32 s3, 0
	s_cselect_b32 s3, -1, 0
	s_delay_alu instid0(SALU_CYCLE_1)
	s_and_b32 vcc_lo, exec_lo, s3
	s_cbranch_vccnz .LBB10_112
; %bb.110:
	s_clause 0x1
	s_load_b96 s[4:6], s[0:1], 0x1c
	s_load_b96 s[8:10], s[0:1], 0xdc
	s_wait_kmcnt 0x0
	v_mul_hi_u32 v4, s5, v3
	s_delay_alu instid0(VALU_DEP_1) | instskip(NEXT) | instid1(VALU_DEP_1)
	v_add_nc_u32_e32 v4, v3, v4
	v_lshrrev_b32_e32 v4, s6, v4
	s_delay_alu instid0(VALU_DEP_1) | instskip(NEXT) | instid1(VALU_DEP_1)
	v_mul_lo_u32 v4, v4, s4
	v_sub_nc_u32_e32 v3, v3, v4
	s_delay_alu instid0(VALU_DEP_1)
	v_mad_u32 v73, v3, s8, v73
	v_mad_u32 v75, v3, s9, v75
	;; [unrolled: 1-line block ×3, first 2 shown]
	s_and_not1_b32 vcc_lo, exec_lo, s2
	s_cbranch_vccz .LBB10_113
	s_branch .LBB10_116
.LBB10_111:
	s_mov_b32 s2, -1
                                        ; implicit-def: $vgpr74
                                        ; implicit-def: $vgpr75
                                        ; implicit-def: $vgpr73
.LBB10_112:
	s_delay_alu instid0(SALU_CYCLE_1)
	s_and_not1_b32 vcc_lo, exec_lo, s2
	s_cbranch_vccnz .LBB10_116
.LBB10_113:
	s_clause 0x1
	s_load_b96 s[0:2], s[34:35], 0x4
	s_load_b96 s[4:6], s[34:35], 0xc4
	s_cmp_lt_u32 s55, 2
	s_wait_kmcnt 0x0
	v_mul_hi_u32 v3, s1, v0
	s_delay_alu instid0(VALU_DEP_1) | instskip(NEXT) | instid1(VALU_DEP_1)
	v_add_nc_u32_e32 v3, v0, v3
	v_lshrrev_b32_e32 v3, s2, v3
	s_delay_alu instid0(VALU_DEP_1) | instskip(NEXT) | instid1(VALU_DEP_1)
	v_mul_lo_u32 v4, v3, s0
	v_sub_nc_u32_e32 v0, v0, v4
	s_delay_alu instid0(VALU_DEP_1)
	v_mul_lo_u32 v73, v0, s4
	v_mul_lo_u32 v74, v0, s6
	v_mul_lo_u32 v75, v0, s5
	s_cbranch_scc1 .LBB10_116
; %bb.114:
	s_clause 0x1
	s_load_b96 s[0:2], s[34:35], 0x10
	s_load_b96 s[4:6], s[34:35], 0xd0
	s_wait_kmcnt 0x0
	v_mul_hi_u32 v0, s1, v3
	s_delay_alu instid0(VALU_DEP_1) | instskip(NEXT) | instid1(VALU_DEP_1)
	v_add_nc_u32_e32 v0, v3, v0
	v_lshrrev_b32_e32 v0, s2, v0
	s_delay_alu instid0(VALU_DEP_1) | instskip(NEXT) | instid1(VALU_DEP_1)
	v_mul_lo_u32 v0, v0, s0
	v_sub_nc_u32_e32 v0, v3, v0
	s_delay_alu instid0(VALU_DEP_1)
	v_mad_u32 v73, v0, s4, v73
	v_mad_u32 v75, v0, s5, v75
	;; [unrolled: 1-line block ×3, first 2 shown]
	s_branch .LBB10_116
.LBB10_115:
	v_dual_mov_b32 v74, 0 :: v_dual_mov_b32 v75, 0
	v_mov_b32_e32 v73, 0
	s_and_not1_b32 vcc_lo, exec_lo, s2
	s_cbranch_vccz .LBB10_113
.LBB10_116:
	s_clause 0x1
	s_load_b128 s[36:39], s[34:35], 0x188
	s_load_b96 s[44:46], s[34:35], 0x198
                                        ; implicit-def: $vgpr42_vgpr43
	s_wait_kmcnt 0x0
	global_load_b64 v[46:47], v2, s[38:39]
	s_wait_loadcnt 0x1
	global_load_b64 v[44:45], v1, s[44:45]
	s_bitcmp1_b32 s46, 0
	s_get_pc_i64 s[46:47]
	s_add_nc_u64 s[46:47], s[46:47], _ZN12_GLOBAL__N_111calc_igammaIdEET_S1_S1_@rel64+4
	s_cselect_b32 s0, -1, 0
	s_delay_alu instid0(SALU_CYCLE_1)
	s_xor_b32 s48, s0, -1
	s_mov_b32 s0, -1
	s_and_b32 vcc_lo, exec_lo, s48
	s_cbranch_vccnz .LBB10_120
; %bb.117:
	s_and_not1_b32 vcc_lo, exec_lo, s0
	s_get_pc_i64 s[34:35]
	s_add_nc_u64 s[34:35], s[34:35], _ZN12_GLOBAL__N_112calc_igammacIdEET_S1_S1_@rel64+4
	s_cbranch_vccz .LBB10_121
.LBB10_118:
	global_load_b64 v[56:57], v59, s[38:39]
	s_wait_loadcnt 0x2
	global_load_b64 v[46:47], v58, s[44:45]
	s_and_b32 vcc_lo, exec_lo, s48
	s_cbranch_vccz .LBB10_122
.LBB10_119:
	s_wait_loadcnt 0x1
	s_wait_xcnt 0x2
	v_dual_mov_b32 v0, v56 :: v_dual_mov_b32 v1, v57
	s_wait_loadcnt 0x0
	v_dual_mov_b32 v2, v46 :: v_dual_mov_b32 v3, v47
	s_swap_pc_i64 s[30:31], s[46:47]
	s_delay_alu instid0(VALU_DEP_2)
	v_dual_mov_b32 v44, v0 :: v_dual_mov_b32 v45, v1
	s_cbranch_execz .LBB10_123
	s_branch .LBB10_124
.LBB10_120:
	s_wait_loadcnt 0x1
	s_wait_xcnt 0x0
	v_dual_mov_b32 v0, v46 :: v_dual_mov_b32 v1, v47
	s_wait_loadcnt 0x0
	v_dual_mov_b32 v2, v44 :: v_dual_mov_b32 v3, v45
	s_swap_pc_i64 s[30:31], s[46:47]
	s_delay_alu instid0(VALU_DEP_2)
	v_dual_mov_b32 v42, v0 :: v_dual_mov_b32 v43, v1
	s_get_pc_i64 s[34:35]
	s_add_nc_u64 s[34:35], s[34:35], _ZN12_GLOBAL__N_112calc_igammacIdEET_S1_S1_@rel64+4
	s_cbranch_execnz .LBB10_118
.LBB10_121:
	s_wait_loadcnt 0x1
	s_wait_xcnt 0x0
	v_dual_mov_b32 v0, v46 :: v_dual_mov_b32 v1, v47
	s_wait_loadcnt 0x0
	v_dual_mov_b32 v2, v44 :: v_dual_mov_b32 v3, v45
	s_swap_pc_i64 s[30:31], s[34:35]
	s_delay_alu instid0(VALU_DEP_2)
	v_dual_mov_b32 v42, v0 :: v_dual_mov_b32 v43, v1
	global_load_b64 v[56:57], v59, s[38:39]
	global_load_b64 v[46:47], v58, s[44:45]
	s_and_b32 vcc_lo, exec_lo, s48
	s_cbranch_vccnz .LBB10_119
.LBB10_122:
                                        ; implicit-def: $vgpr44_vgpr45
.LBB10_123:
	s_wait_loadcnt 0x1
	s_wait_xcnt 0x2
	v_dual_mov_b32 v0, v56 :: v_dual_mov_b32 v1, v57
	s_wait_loadcnt 0x0
	v_dual_mov_b32 v2, v46 :: v_dual_mov_b32 v3, v47
	s_swap_pc_i64 s[30:31], s[34:35]
	s_delay_alu instid0(VALU_DEP_2)
	v_dual_mov_b32 v44, v0 :: v_dual_mov_b32 v45, v1
.LBB10_124:
	global_load_b64 v[58:59], v72, s[38:39]
	s_wait_loadcnt 0x2
	global_load_b64 v[56:57], v63, s[44:45]
	s_and_b32 vcc_lo, exec_lo, s48
	s_cbranch_vccz .LBB10_126
; %bb.125:
	s_wait_loadcnt 0x1
	v_dual_mov_b32 v0, v58 :: v_dual_mov_b32 v1, v59
	s_wait_loadcnt 0x0
	v_dual_mov_b32 v2, v56 :: v_dual_mov_b32 v3, v57
	s_swap_pc_i64 s[30:31], s[46:47]
	s_delay_alu instid0(VALU_DEP_2)
	v_dual_mov_b32 v46, v0 :: v_dual_mov_b32 v47, v1
	s_cbranch_execz .LBB10_127
	s_branch .LBB10_128
.LBB10_126:
                                        ; implicit-def: $vgpr46_vgpr47
.LBB10_127:
	s_wait_loadcnt 0x1
	v_dual_mov_b32 v0, v58 :: v_dual_mov_b32 v1, v59
	s_wait_loadcnt 0x0
	v_dual_mov_b32 v2, v56 :: v_dual_mov_b32 v3, v57
	s_swap_pc_i64 s[30:31], s[34:35]
	s_delay_alu instid0(VALU_DEP_2)
	v_dual_mov_b32 v46, v0 :: v_dual_mov_b32 v47, v1
.LBB10_128:
	s_wait_loadcnt 0x1
	global_load_b64 v[58:59], v75, s[38:39]
	s_wait_loadcnt 0x1
	global_load_b64 v[56:57], v74, s[44:45]
	s_and_b32 vcc_lo, exec_lo, s48
	s_cbranch_vccz .LBB10_130
; %bb.129:
	s_wait_loadcnt 0x1
	v_dual_mov_b32 v0, v58 :: v_dual_mov_b32 v1, v59
	s_wait_loadcnt 0x0
	v_dual_mov_b32 v2, v56 :: v_dual_mov_b32 v3, v57
	s_swap_pc_i64 s[30:31], s[46:47]
	s_cbranch_execz .LBB10_131
	s_branch .LBB10_132
.LBB10_130:
                                        ; implicit-def: $vgpr0_vgpr1
.LBB10_131:
	s_wait_loadcnt 0x1
	v_dual_mov_b32 v0, v58 :: v_dual_mov_b32 v1, v59
	s_wait_loadcnt 0x0
	v_dual_mov_b32 v2, v56 :: v_dual_mov_b32 v3, v57
	s_swap_pc_i64 s[30:31], s[34:35]
.LBB10_132:
	s_clause 0x3
	global_store_b64 v60, v[42:43], s[36:37]
	global_store_b64 v61, v[44:45], s[36:37]
	;; [unrolled: 1-line block ×4, first 2 shown]
	s_endpgm
	.section	.rodata,"a",@progbits
	.p2align	6, 0x0
	.amdhsa_kernel _ZN2at6native32elementwise_kernel_manual_unrollILi128ELi4EZNS0_22gpu_kernel_impl_nocastIN12_GLOBAL__N_110CalcIgammaIdEEEEvRNS_18TensorIteratorBaseERKT_EUlibE_EEviT1_
		.amdhsa_group_segment_fixed_size 0
		.amdhsa_private_segment_fixed_size 240
		.amdhsa_kernarg_size 432
		.amdhsa_user_sgpr_count 2
		.amdhsa_user_sgpr_dispatch_ptr 0
		.amdhsa_user_sgpr_queue_ptr 0
		.amdhsa_user_sgpr_kernarg_segment_ptr 1
		.amdhsa_user_sgpr_dispatch_id 0
		.amdhsa_user_sgpr_kernarg_preload_length 0
		.amdhsa_user_sgpr_kernarg_preload_offset 0
		.amdhsa_user_sgpr_private_segment_size 0
		.amdhsa_wavefront_size32 1
		.amdhsa_uses_dynamic_stack 0
		.amdhsa_enable_private_segment 1
		.amdhsa_system_sgpr_workgroup_id_x 1
		.amdhsa_system_sgpr_workgroup_id_y 0
		.amdhsa_system_sgpr_workgroup_id_z 0
		.amdhsa_system_sgpr_workgroup_info 0
		.amdhsa_system_vgpr_workitem_id 0
		.amdhsa_next_free_vgpr 120
		.amdhsa_next_free_sgpr 71
		.amdhsa_named_barrier_count 0
		.amdhsa_reserve_vcc 1
		.amdhsa_float_round_mode_32 0
		.amdhsa_float_round_mode_16_64 0
		.amdhsa_float_denorm_mode_32 3
		.amdhsa_float_denorm_mode_16_64 3
		.amdhsa_fp16_overflow 0
		.amdhsa_memory_ordered 1
		.amdhsa_forward_progress 1
		.amdhsa_inst_pref_size 50
		.amdhsa_round_robin_scheduling 0
		.amdhsa_exception_fp_ieee_invalid_op 0
		.amdhsa_exception_fp_denorm_src 0
		.amdhsa_exception_fp_ieee_div_zero 0
		.amdhsa_exception_fp_ieee_overflow 0
		.amdhsa_exception_fp_ieee_underflow 0
		.amdhsa_exception_fp_ieee_inexact 0
		.amdhsa_exception_int_div_zero 0
	.end_amdhsa_kernel
	.section	.text._ZN2at6native32elementwise_kernel_manual_unrollILi128ELi4EZNS0_22gpu_kernel_impl_nocastIN12_GLOBAL__N_110CalcIgammaIdEEEEvRNS_18TensorIteratorBaseERKT_EUlibE_EEviT1_,"axG",@progbits,_ZN2at6native32elementwise_kernel_manual_unrollILi128ELi4EZNS0_22gpu_kernel_impl_nocastIN12_GLOBAL__N_110CalcIgammaIdEEEEvRNS_18TensorIteratorBaseERKT_EUlibE_EEviT1_,comdat
.Lfunc_end10:
	.size	_ZN2at6native32elementwise_kernel_manual_unrollILi128ELi4EZNS0_22gpu_kernel_impl_nocastIN12_GLOBAL__N_110CalcIgammaIdEEEEvRNS_18TensorIteratorBaseERKT_EUlibE_EEviT1_, .Lfunc_end10-_ZN2at6native32elementwise_kernel_manual_unrollILi128ELi4EZNS0_22gpu_kernel_impl_nocastIN12_GLOBAL__N_110CalcIgammaIdEEEEvRNS_18TensorIteratorBaseERKT_EUlibE_EEviT1_
                                        ; -- End function
	.set _ZN2at6native32elementwise_kernel_manual_unrollILi128ELi4EZNS0_22gpu_kernel_impl_nocastIN12_GLOBAL__N_110CalcIgammaIdEEEEvRNS_18TensorIteratorBaseERKT_EUlibE_EEviT1_.num_vgpr, max(76, .L_ZN12_GLOBAL__N_111calc_igammaIdEET_S1_S1_.num_vgpr, .L_ZN12_GLOBAL__N_112calc_igammacIdEET_S1_S1_.num_vgpr)
	.set _ZN2at6native32elementwise_kernel_manual_unrollILi128ELi4EZNS0_22gpu_kernel_impl_nocastIN12_GLOBAL__N_110CalcIgammaIdEEEEvRNS_18TensorIteratorBaseERKT_EUlibE_EEviT1_.num_agpr, max(0, .L_ZN12_GLOBAL__N_111calc_igammaIdEET_S1_S1_.num_agpr, .L_ZN12_GLOBAL__N_112calc_igammacIdEET_S1_S1_.num_agpr)
	.set _ZN2at6native32elementwise_kernel_manual_unrollILi128ELi4EZNS0_22gpu_kernel_impl_nocastIN12_GLOBAL__N_110CalcIgammaIdEEEEvRNS_18TensorIteratorBaseERKT_EUlibE_EEviT1_.numbered_sgpr, max(71, .L_ZN12_GLOBAL__N_111calc_igammaIdEET_S1_S1_.numbered_sgpr, .L_ZN12_GLOBAL__N_112calc_igammacIdEET_S1_S1_.numbered_sgpr)
	.set _ZN2at6native32elementwise_kernel_manual_unrollILi128ELi4EZNS0_22gpu_kernel_impl_nocastIN12_GLOBAL__N_110CalcIgammaIdEEEEvRNS_18TensorIteratorBaseERKT_EUlibE_EEviT1_.num_named_barrier, max(0, .L_ZN12_GLOBAL__N_111calc_igammaIdEET_S1_S1_.num_named_barrier, .L_ZN12_GLOBAL__N_112calc_igammacIdEET_S1_S1_.num_named_barrier)
	.set _ZN2at6native32elementwise_kernel_manual_unrollILi128ELi4EZNS0_22gpu_kernel_impl_nocastIN12_GLOBAL__N_110CalcIgammaIdEEEEvRNS_18TensorIteratorBaseERKT_EUlibE_EEviT1_.private_seg_size, 0+max(.L_ZN12_GLOBAL__N_111calc_igammaIdEET_S1_S1_.private_seg_size, .L_ZN12_GLOBAL__N_112calc_igammacIdEET_S1_S1_.private_seg_size)
	.set _ZN2at6native32elementwise_kernel_manual_unrollILi128ELi4EZNS0_22gpu_kernel_impl_nocastIN12_GLOBAL__N_110CalcIgammaIdEEEEvRNS_18TensorIteratorBaseERKT_EUlibE_EEviT1_.uses_vcc, or(1, .L_ZN12_GLOBAL__N_111calc_igammaIdEET_S1_S1_.uses_vcc, .L_ZN12_GLOBAL__N_112calc_igammacIdEET_S1_S1_.uses_vcc)
	.set _ZN2at6native32elementwise_kernel_manual_unrollILi128ELi4EZNS0_22gpu_kernel_impl_nocastIN12_GLOBAL__N_110CalcIgammaIdEEEEvRNS_18TensorIteratorBaseERKT_EUlibE_EEviT1_.uses_flat_scratch, or(0, .L_ZN12_GLOBAL__N_111calc_igammaIdEET_S1_S1_.uses_flat_scratch, .L_ZN12_GLOBAL__N_112calc_igammacIdEET_S1_S1_.uses_flat_scratch)
	.set _ZN2at6native32elementwise_kernel_manual_unrollILi128ELi4EZNS0_22gpu_kernel_impl_nocastIN12_GLOBAL__N_110CalcIgammaIdEEEEvRNS_18TensorIteratorBaseERKT_EUlibE_EEviT1_.has_dyn_sized_stack, or(0, .L_ZN12_GLOBAL__N_111calc_igammaIdEET_S1_S1_.has_dyn_sized_stack, .L_ZN12_GLOBAL__N_112calc_igammacIdEET_S1_S1_.has_dyn_sized_stack)
	.set _ZN2at6native32elementwise_kernel_manual_unrollILi128ELi4EZNS0_22gpu_kernel_impl_nocastIN12_GLOBAL__N_110CalcIgammaIdEEEEvRNS_18TensorIteratorBaseERKT_EUlibE_EEviT1_.has_recursion, or(0, .L_ZN12_GLOBAL__N_111calc_igammaIdEET_S1_S1_.has_recursion, .L_ZN12_GLOBAL__N_112calc_igammacIdEET_S1_S1_.has_recursion)
	.set _ZN2at6native32elementwise_kernel_manual_unrollILi128ELi4EZNS0_22gpu_kernel_impl_nocastIN12_GLOBAL__N_110CalcIgammaIdEEEEvRNS_18TensorIteratorBaseERKT_EUlibE_EEviT1_.has_indirect_call, or(0, .L_ZN12_GLOBAL__N_111calc_igammaIdEET_S1_S1_.has_indirect_call, .L_ZN12_GLOBAL__N_112calc_igammacIdEET_S1_S1_.has_indirect_call)
	.section	.AMDGPU.csdata,"",@progbits
; Kernel info:
; codeLenInByte = 6300
; TotalNumSgprs: 73
; NumVgprs: 120
; ScratchSize: 240
; MemoryBound: 0
; FloatMode: 240
; IeeeMode: 1
; LDSByteSize: 0 bytes/workgroup (compile time only)
; SGPRBlocks: 0
; VGPRBlocks: 7
; NumSGPRsForWavesPerEU: 73
; NumVGPRsForWavesPerEU: 120
; NamedBarCnt: 0
; Occupancy: 8
; WaveLimiterHint : 1
; COMPUTE_PGM_RSRC2:SCRATCH_EN: 1
; COMPUTE_PGM_RSRC2:USER_SGPR: 2
; COMPUTE_PGM_RSRC2:TRAP_HANDLER: 0
; COMPUTE_PGM_RSRC2:TGID_X_EN: 1
; COMPUTE_PGM_RSRC2:TGID_Y_EN: 0
; COMPUTE_PGM_RSRC2:TGID_Z_EN: 0
; COMPUTE_PGM_RSRC2:TIDIG_COMP_CNT: 0
	.section	.text._ZN2at6native32elementwise_kernel_manual_unrollILi128ELi4EZNS0_15gpu_kernel_implIN12_GLOBAL__N_110CalcIgammaIdEEEEvRNS_18TensorIteratorBaseERKT_EUlibE_EEviT1_,"axG",@progbits,_ZN2at6native32elementwise_kernel_manual_unrollILi128ELi4EZNS0_15gpu_kernel_implIN12_GLOBAL__N_110CalcIgammaIdEEEEvRNS_18TensorIteratorBaseERKT_EUlibE_EEviT1_,comdat
	.globl	_ZN2at6native32elementwise_kernel_manual_unrollILi128ELi4EZNS0_15gpu_kernel_implIN12_GLOBAL__N_110CalcIgammaIdEEEEvRNS_18TensorIteratorBaseERKT_EUlibE_EEviT1_ ; -- Begin function _ZN2at6native32elementwise_kernel_manual_unrollILi128ELi4EZNS0_15gpu_kernel_implIN12_GLOBAL__N_110CalcIgammaIdEEEEvRNS_18TensorIteratorBaseERKT_EUlibE_EEviT1_
	.p2align	8
	.type	_ZN2at6native32elementwise_kernel_manual_unrollILi128ELi4EZNS0_15gpu_kernel_implIN12_GLOBAL__N_110CalcIgammaIdEEEEvRNS_18TensorIteratorBaseERKT_EUlibE_EEviT1_,@function
_ZN2at6native32elementwise_kernel_manual_unrollILi128ELi4EZNS0_15gpu_kernel_implIN12_GLOBAL__N_110CalcIgammaIdEEEEvRNS_18TensorIteratorBaseERKT_EUlibE_EEviT1_: ; @_ZN2at6native32elementwise_kernel_manual_unrollILi128ELi4EZNS0_15gpu_kernel_implIN12_GLOBAL__N_110CalcIgammaIdEEEEvRNS_18TensorIteratorBaseERKT_EUlibE_EEviT1_
; %bb.0:
	s_clause 0x1
	s_load_b128 s[44:47], s[0:1], 0x20
	s_load_b64 s[34:35], s[0:1], 0x18
	s_bfe_u32 s3, ttmp6, 0x4000c
	s_clause 0x1
	s_load_b32 s54, s[0:1], 0x0
	s_load_b128 s[36:39], s[0:1], 0x8
	s_add_co_i32 s3, s3, 1
	s_and_b32 s2, ttmp6, 15
	s_wait_xcnt 0x0
	s_mul_i32 s0, ttmp9, s3
	s_getreg_b32 s4, hwreg(HW_REG_IB_STS2, 6, 4)
	s_add_co_i32 s2, s2, s0
	s_mov_b32 s50, 0
	s_mov_b32 s53, 0
	;; [unrolled: 1-line block ×3, first 2 shown]
	s_wait_kmcnt 0x0
	s_lshr_b32 s51, s47, 16
	s_lshr_b32 s48, s47, 8
	;; [unrolled: 1-line block ×3, first 2 shown]
	s_cmp_eq_u32 s4, 0
	s_cselect_b32 s0, ttmp9, s2
	s_delay_alu instid0(SALU_CYCLE_1) | instskip(SKIP_1) | instid1(VALU_DEP_1)
	v_lshl_or_b32 v72, s0, 9, v0
	s_mov_b32 s0, exec_lo
	v_or_b32_e32 v0, 0x180, v72
	s_delay_alu instid0(VALU_DEP_1)
	v_cmpx_le_i32_e64 s54, v0
	s_xor_b32 s52, exec_lo, s0
	s_cbranch_execz .LBB11_1565
; %bb.1:
	s_bitcmp1_b32 s47, 0
	s_mov_b32 s2, -1
	s_cselect_b32 s0, -1, 0
	s_mov_b32 s59, 0
	s_xor_b32 s53, s0, -1
	s_mov_b32 s57, 0
	s_mov_b32 s56, 0
	;; [unrolled: 1-line block ×3, first 2 shown]
	s_mov_b32 s58, exec_lo
	v_cmpx_gt_i32_e64 s54, v72
	s_cbranch_execz .LBB11_386
; %bb.2:
	v_mul_lo_u32 v0, v72, s45
	s_and_b32 s0, s51, 0xff
	s_delay_alu instid0(SALU_CYCLE_1) | instskip(NEXT) | instid1(VALU_DEP_1)
	s_cmp_lt_i32 s0, 11
	v_ashrrev_i32_e32 v1, 31, v0
	s_delay_alu instid0(VALU_DEP_1)
	v_add_nc_u64_e32 v[0:1], s[38:39], v[0:1]
	s_cbranch_scc1 .LBB11_9
; %bb.3:
	s_and_b32 s1, 0xffff, s0
	s_delay_alu instid0(SALU_CYCLE_1)
	s_cmp_gt_i32 s1, 25
	s_cbranch_scc0 .LBB11_11
; %bb.4:
	s_cmp_gt_i32 s1, 28
	s_cbranch_scc0 .LBB11_12
; %bb.5:
	;; [unrolled: 3-line block ×4, first 2 shown]
	s_cmp_eq_u32 s1, 46
	s_mov_b32 s3, 0
	s_cbranch_scc0 .LBB11_15
; %bb.8:
	global_load_b32 v2, v[0:1], off
	s_wait_loadcnt 0x0
	v_lshlrev_b32_e32 v2, 16, v2
	s_delay_alu instid0(VALU_DEP_1)
	v_cvt_f64_f32_e32 v[42:43], v2
	s_branch .LBB11_17
.LBB11_9:
	s_mov_b32 s2, 0
                                        ; implicit-def: $vgpr42_vgpr43
	s_cbranch_execnz .LBB11_81
.LBB11_10:
	s_and_not1_b32 vcc_lo, exec_lo, s2
	s_cbranch_vccz .LBB11_128
	s_branch .LBB11_383
.LBB11_11:
	s_mov_b32 s2, 0
                                        ; implicit-def: $vgpr42_vgpr43
	s_cbranch_execnz .LBB11_46
	s_branch .LBB11_80
.LBB11_12:
	s_mov_b32 s3, -1
	s_mov_b32 s2, 0
                                        ; implicit-def: $vgpr42_vgpr43
	s_branch .LBB11_27
.LBB11_13:
	s_mov_b32 s3, -1
	s_mov_b32 s2, 0
                                        ; implicit-def: $vgpr42_vgpr43
	s_branch .LBB11_22
.LBB11_14:
	s_mov_b32 s3, -1
	s_branch .LBB11_16
.LBB11_15:
	s_mov_b32 s57, -1
.LBB11_16:
	s_mov_b32 s2, 0
                                        ; implicit-def: $vgpr42_vgpr43
.LBB11_17:
	s_and_b32 vcc_lo, exec_lo, s3
	s_cbranch_vccz .LBB11_21
; %bb.18:
	s_cmp_eq_u32 s1, 44
	s_cbranch_scc0 .LBB11_20
; %bb.19:
	global_load_u8 v4, v[0:1], off
	s_mov_b32 s57, 0
	s_mov_b32 s2, -1
	s_wait_loadcnt 0x0
	v_cmp_ne_u32_e32 vcc_lo, 0xff, v4
	v_lshlrev_b32_e32 v2, 23, v4
	s_delay_alu instid0(VALU_DEP_1) | instskip(NEXT) | instid1(VALU_DEP_1)
	v_cvt_f64_f32_e32 v[2:3], v2
	v_cndmask_b32_e32 v2, 0x20000000, v2, vcc_lo
	s_delay_alu instid0(VALU_DEP_2) | instskip(SKIP_1) | instid1(VALU_DEP_2)
	v_cndmask_b32_e32 v3, 0x7ff80000, v3, vcc_lo
	v_cmp_ne_u32_e32 vcc_lo, 0, v4
	v_cndmask_b32_e32 v43, 0x38000000, v3, vcc_lo
	s_delay_alu instid0(VALU_DEP_4)
	v_cndmask_b32_e32 v42, 0, v2, vcc_lo
	s_branch .LBB11_21
.LBB11_20:
	s_mov_b32 s57, -1
                                        ; implicit-def: $vgpr42_vgpr43
.LBB11_21:
	s_mov_b32 s3, 0
.LBB11_22:
	s_delay_alu instid0(SALU_CYCLE_1)
	s_and_b32 vcc_lo, exec_lo, s3
	s_cbranch_vccz .LBB11_26
; %bb.23:
	s_cmp_eq_u32 s1, 29
	s_cbranch_scc0 .LBB11_25
; %bb.24:
	global_load_b64 v[2:3], v[0:1], off
	s_mov_b32 s2, -1
	s_mov_b32 s57, 0
	s_mov_b32 s3, 0
	s_wait_loadcnt 0x0
	v_cvt_f64_u32_e32 v[4:5], v3
	v_cvt_f64_u32_e32 v[2:3], v2
	s_delay_alu instid0(VALU_DEP_2) | instskip(NEXT) | instid1(VALU_DEP_1)
	v_ldexp_f64 v[4:5], v[4:5], 32
	v_add_f64_e32 v[42:43], v[4:5], v[2:3]
	s_branch .LBB11_27
.LBB11_25:
	s_mov_b32 s57, -1
                                        ; implicit-def: $vgpr42_vgpr43
.LBB11_26:
	s_mov_b32 s3, 0
.LBB11_27:
	s_delay_alu instid0(SALU_CYCLE_1)
	s_and_b32 vcc_lo, exec_lo, s3
	s_cbranch_vccz .LBB11_45
; %bb.28:
	s_cmp_lt_i32 s1, 27
	s_cbranch_scc1 .LBB11_31
; %bb.29:
	s_cmp_gt_i32 s1, 27
	s_cbranch_scc0 .LBB11_32
; %bb.30:
	global_load_b32 v2, v[0:1], off
	s_mov_b32 s2, 0
	s_wait_loadcnt 0x0
	v_cvt_f64_u32_e32 v[42:43], v2
	s_branch .LBB11_33
.LBB11_31:
	s_mov_b32 s2, -1
                                        ; implicit-def: $vgpr42_vgpr43
	s_branch .LBB11_36
.LBB11_32:
	s_mov_b32 s2, -1
                                        ; implicit-def: $vgpr42_vgpr43
.LBB11_33:
	s_delay_alu instid0(SALU_CYCLE_1)
	s_and_not1_b32 vcc_lo, exec_lo, s2
	s_cbranch_vccnz .LBB11_35
; %bb.34:
	global_load_u16 v2, v[0:1], off
	s_wait_loadcnt 0x0
	v_cvt_f64_u32_e32 v[42:43], v2
.LBB11_35:
	s_mov_b32 s2, 0
.LBB11_36:
	s_delay_alu instid0(SALU_CYCLE_1)
	s_and_not1_b32 vcc_lo, exec_lo, s2
	s_cbranch_vccnz .LBB11_44
; %bb.37:
	global_load_u8 v2, v[0:1], off
	s_mov_b32 s2, 0
	s_mov_b32 s3, exec_lo
	s_wait_loadcnt 0x0
	v_cmpx_lt_i16_e32 0x7f, v2
	s_xor_b32 s3, exec_lo, s3
	s_cbranch_execz .LBB11_57
; %bb.38:
	s_mov_b32 s2, -1
	s_mov_b32 s4, exec_lo
	v_cmpx_eq_u16_e32 0x80, v2
; %bb.39:
	s_xor_b32 s2, exec_lo, -1
; %bb.40:
	s_or_b32 exec_lo, exec_lo, s4
	s_delay_alu instid0(SALU_CYCLE_1)
	s_and_b32 s2, s2, exec_lo
	s_or_saveexec_b32 s3, s3
	v_mov_b64_e32 v[42:43], 0x7ff8000020000000
	s_xor_b32 exec_lo, exec_lo, s3
	s_cbranch_execnz .LBB11_58
.LBB11_41:
	s_or_b32 exec_lo, exec_lo, s3
	s_and_saveexec_b32 s3, s2
	s_cbranch_execz .LBB11_43
.LBB11_42:
	v_and_b32_e32 v3, 0xffff, v2
	s_delay_alu instid0(VALU_DEP_1) | instskip(SKIP_1) | instid1(VALU_DEP_2)
	v_and_b32_e32 v4, 7, v3
	v_bfe_u32 v7, v3, 3, 4
	v_clz_i32_u32_e32 v5, v4
	s_delay_alu instid0(VALU_DEP_2) | instskip(NEXT) | instid1(VALU_DEP_2)
	v_cmp_eq_u32_e32 vcc_lo, 0, v7
	v_min_u32_e32 v5, 32, v5
	s_delay_alu instid0(VALU_DEP_1) | instskip(NEXT) | instid1(VALU_DEP_1)
	v_subrev_nc_u32_e32 v6, 28, v5
	v_dual_lshlrev_b32 v3, v6, v3 :: v_dual_sub_nc_u32 v5, 29, v5
	s_delay_alu instid0(VALU_DEP_1) | instskip(NEXT) | instid1(VALU_DEP_1)
	v_dual_lshlrev_b32 v2, 24, v2 :: v_dual_bitop2_b32 v3, 7, v3 bitop3:0x40
	v_dual_cndmask_b32 v5, v7, v5, vcc_lo :: v_dual_cndmask_b32 v3, v4, v3, vcc_lo
	s_delay_alu instid0(VALU_DEP_2) | instskip(NEXT) | instid1(VALU_DEP_2)
	v_and_b32_e32 v2, 0x80000000, v2
	v_lshl_add_u32 v4, v5, 23, 0x3b800000
	s_delay_alu instid0(VALU_DEP_3) | instskip(NEXT) | instid1(VALU_DEP_1)
	v_lshlrev_b32_e32 v3, 20, v3
	v_or3_b32 v2, v2, v4, v3
	s_delay_alu instid0(VALU_DEP_1)
	v_cvt_f64_f32_e32 v[42:43], v2
.LBB11_43:
	s_or_b32 exec_lo, exec_lo, s3
.LBB11_44:
	s_mov_b32 s2, -1
.LBB11_45:
	s_branch .LBB11_80
.LBB11_46:
	s_cmp_gt_i32 s1, 22
	s_cbranch_scc0 .LBB11_56
; %bb.47:
	s_cmp_lt_i32 s1, 24
	s_cbranch_scc1 .LBB11_59
; %bb.48:
	s_cmp_gt_i32 s1, 24
	s_cbranch_scc0 .LBB11_60
; %bb.49:
	global_load_u8 v2, v[0:1], off
	s_mov_b32 s2, 0
	s_mov_b32 s3, exec_lo
	s_wait_loadcnt 0x0
	v_cmpx_lt_i16_e32 0x7f, v2
	s_xor_b32 s3, exec_lo, s3
	s_cbranch_execz .LBB11_72
; %bb.50:
	s_mov_b32 s2, -1
	s_mov_b32 s4, exec_lo
	v_cmpx_eq_u16_e32 0x80, v2
; %bb.51:
	s_xor_b32 s2, exec_lo, -1
; %bb.52:
	s_or_b32 exec_lo, exec_lo, s4
	s_delay_alu instid0(SALU_CYCLE_1)
	s_and_b32 s2, s2, exec_lo
	s_or_saveexec_b32 s3, s3
	v_mov_b64_e32 v[42:43], 0x7ff8000020000000
	s_xor_b32 exec_lo, exec_lo, s3
	s_cbranch_execnz .LBB11_73
.LBB11_53:
	s_or_b32 exec_lo, exec_lo, s3
	s_and_saveexec_b32 s3, s2
	s_cbranch_execz .LBB11_55
.LBB11_54:
	v_and_b32_e32 v3, 0xffff, v2
	s_delay_alu instid0(VALU_DEP_1) | instskip(SKIP_1) | instid1(VALU_DEP_2)
	v_and_b32_e32 v4, 3, v3
	v_bfe_u32 v7, v3, 2, 5
	v_clz_i32_u32_e32 v5, v4
	s_delay_alu instid0(VALU_DEP_2) | instskip(NEXT) | instid1(VALU_DEP_2)
	v_cmp_eq_u32_e32 vcc_lo, 0, v7
	v_min_u32_e32 v5, 32, v5
	s_delay_alu instid0(VALU_DEP_1) | instskip(NEXT) | instid1(VALU_DEP_1)
	v_subrev_nc_u32_e32 v6, 29, v5
	v_dual_lshlrev_b32 v3, v6, v3 :: v_dual_sub_nc_u32 v5, 30, v5
	s_delay_alu instid0(VALU_DEP_1) | instskip(NEXT) | instid1(VALU_DEP_1)
	v_dual_lshlrev_b32 v2, 24, v2 :: v_dual_bitop2_b32 v3, 3, v3 bitop3:0x40
	v_dual_cndmask_b32 v5, v7, v5, vcc_lo :: v_dual_cndmask_b32 v3, v4, v3, vcc_lo
	s_delay_alu instid0(VALU_DEP_2) | instskip(NEXT) | instid1(VALU_DEP_2)
	v_and_b32_e32 v2, 0x80000000, v2
	v_lshl_add_u32 v4, v5, 23, 0x37800000
	s_delay_alu instid0(VALU_DEP_3) | instskip(NEXT) | instid1(VALU_DEP_1)
	v_lshlrev_b32_e32 v3, 21, v3
	v_or3_b32 v2, v2, v4, v3
	s_delay_alu instid0(VALU_DEP_1)
	v_cvt_f64_f32_e32 v[42:43], v2
.LBB11_55:
	s_or_b32 exec_lo, exec_lo, s3
	s_mov_b32 s2, 0
	s_branch .LBB11_61
.LBB11_56:
	s_mov_b32 s3, -1
                                        ; implicit-def: $vgpr42_vgpr43
	s_branch .LBB11_67
.LBB11_57:
	s_or_saveexec_b32 s3, s3
	v_mov_b64_e32 v[42:43], 0x7ff8000020000000
	s_xor_b32 exec_lo, exec_lo, s3
	s_cbranch_execz .LBB11_41
.LBB11_58:
	v_cmp_ne_u16_e32 vcc_lo, 0, v2
	v_mov_b64_e32 v[42:43], 0
	s_and_not1_b32 s2, s2, exec_lo
	s_and_b32 s4, vcc_lo, exec_lo
	s_delay_alu instid0(SALU_CYCLE_1)
	s_or_b32 s2, s2, s4
	s_or_b32 exec_lo, exec_lo, s3
	s_and_saveexec_b32 s3, s2
	s_cbranch_execnz .LBB11_42
	s_branch .LBB11_43
.LBB11_59:
	s_mov_b32 s2, -1
                                        ; implicit-def: $vgpr42_vgpr43
	s_branch .LBB11_64
.LBB11_60:
	s_mov_b32 s2, -1
                                        ; implicit-def: $vgpr42_vgpr43
.LBB11_61:
	s_delay_alu instid0(SALU_CYCLE_1)
	s_and_b32 vcc_lo, exec_lo, s2
	s_cbranch_vccz .LBB11_63
; %bb.62:
	global_load_u8 v2, v[0:1], off
	s_wait_loadcnt 0x0
	v_lshlrev_b32_e32 v2, 24, v2
	s_delay_alu instid0(VALU_DEP_1) | instskip(NEXT) | instid1(VALU_DEP_1)
	v_and_b32_e32 v3, 0x7f000000, v2
	v_clz_i32_u32_e32 v4, v3
	v_cmp_ne_u32_e32 vcc_lo, 0, v3
	v_add_nc_u32_e32 v6, 0x1000000, v3
	s_delay_alu instid0(VALU_DEP_3) | instskip(NEXT) | instid1(VALU_DEP_1)
	v_min_u32_e32 v4, 32, v4
	v_sub_nc_u32_e64 v4, v4, 4 clamp
	s_delay_alu instid0(VALU_DEP_1) | instskip(NEXT) | instid1(VALU_DEP_1)
	v_dual_lshlrev_b32 v5, v4, v3 :: v_dual_lshlrev_b32 v4, 23, v4
	v_lshrrev_b32_e32 v5, 4, v5
	s_delay_alu instid0(VALU_DEP_1) | instskip(NEXT) | instid1(VALU_DEP_1)
	v_dual_sub_nc_u32 v4, v5, v4 :: v_dual_ashrrev_i32 v5, 8, v6
	v_add_nc_u32_e32 v4, 0x3c000000, v4
	s_delay_alu instid0(VALU_DEP_1) | instskip(NEXT) | instid1(VALU_DEP_1)
	v_and_or_b32 v4, 0x7f800000, v5, v4
	v_cndmask_b32_e32 v3, 0, v4, vcc_lo
	s_delay_alu instid0(VALU_DEP_1) | instskip(NEXT) | instid1(VALU_DEP_1)
	v_and_or_b32 v2, 0x80000000, v2, v3
	v_cvt_f64_f32_e32 v[42:43], v2
.LBB11_63:
	s_mov_b32 s2, 0
.LBB11_64:
	s_delay_alu instid0(SALU_CYCLE_1)
	s_and_not1_b32 vcc_lo, exec_lo, s2
	s_cbranch_vccnz .LBB11_66
; %bb.65:
	global_load_u8 v2, v[0:1], off
	s_wait_loadcnt 0x0
	v_lshlrev_b32_e32 v3, 25, v2
	v_lshlrev_b16 v2, 8, v2
	s_delay_alu instid0(VALU_DEP_1) | instskip(SKIP_1) | instid1(VALU_DEP_2)
	v_and_or_b32 v5, 0x7f00, v2, 0.5
	v_bfe_i32 v2, v2, 0, 16
	v_dual_add_f32 v5, -0.5, v5 :: v_dual_lshrrev_b32 v4, 4, v3
	v_cmp_gt_u32_e32 vcc_lo, 0x8000000, v3
	s_delay_alu instid0(VALU_DEP_2) | instskip(NEXT) | instid1(VALU_DEP_1)
	v_or_b32_e32 v4, 0x70000000, v4
	v_mul_f32_e32 v4, 0x7800000, v4
	s_delay_alu instid0(VALU_DEP_1) | instskip(NEXT) | instid1(VALU_DEP_1)
	v_cndmask_b32_e32 v3, v4, v5, vcc_lo
	v_and_or_b32 v2, 0x80000000, v2, v3
	s_delay_alu instid0(VALU_DEP_1)
	v_cvt_f64_f32_e32 v[42:43], v2
.LBB11_66:
	s_mov_b32 s3, 0
	s_mov_b32 s2, -1
.LBB11_67:
	s_and_not1_b32 vcc_lo, exec_lo, s3
	s_cbranch_vccnz .LBB11_80
; %bb.68:
	s_cmp_gt_i32 s1, 14
	s_cbranch_scc0 .LBB11_71
; %bb.69:
	s_cmp_eq_u32 s1, 15
	s_cbranch_scc0 .LBB11_74
; %bb.70:
	global_load_u16 v2, v[0:1], off
	s_mov_b32 s2, -1
	s_mov_b32 s57, 0
	s_wait_loadcnt 0x0
	v_lshlrev_b32_e32 v2, 16, v2
	s_delay_alu instid0(VALU_DEP_1)
	v_cvt_f64_f32_e32 v[42:43], v2
	s_branch .LBB11_75
.LBB11_71:
	s_mov_b32 s3, -1
                                        ; implicit-def: $vgpr42_vgpr43
	s_branch .LBB11_76
.LBB11_72:
	s_or_saveexec_b32 s3, s3
	v_mov_b64_e32 v[42:43], 0x7ff8000020000000
	s_xor_b32 exec_lo, exec_lo, s3
	s_cbranch_execz .LBB11_53
.LBB11_73:
	v_cmp_ne_u16_e32 vcc_lo, 0, v2
	v_mov_b64_e32 v[42:43], 0
	s_and_not1_b32 s2, s2, exec_lo
	s_and_b32 s4, vcc_lo, exec_lo
	s_delay_alu instid0(SALU_CYCLE_1)
	s_or_b32 s2, s2, s4
	s_or_b32 exec_lo, exec_lo, s3
	s_and_saveexec_b32 s3, s2
	s_cbranch_execnz .LBB11_54
	s_branch .LBB11_55
.LBB11_74:
	s_mov_b32 s57, -1
                                        ; implicit-def: $vgpr42_vgpr43
.LBB11_75:
	s_mov_b32 s3, 0
.LBB11_76:
	s_delay_alu instid0(SALU_CYCLE_1)
	s_and_b32 vcc_lo, exec_lo, s3
	s_cbranch_vccz .LBB11_80
; %bb.77:
	s_cmp_eq_u32 s1, 11
	s_cbranch_scc0 .LBB11_79
; %bb.78:
	global_load_u8 v2, v[0:1], off
	v_mov_b32_e32 v42, 0
	s_mov_b32 s57, 0
	s_mov_b32 s2, -1
	s_wait_loadcnt 0x0
	v_cmp_ne_u16_e32 vcc_lo, 0, v2
	v_cndmask_b32_e64 v43, 0, 0x3ff00000, vcc_lo
	s_branch .LBB11_80
.LBB11_79:
	s_mov_b32 s57, -1
                                        ; implicit-def: $vgpr42_vgpr43
.LBB11_80:
	s_branch .LBB11_10
.LBB11_81:
	s_and_b32 s0, 0xffff, s0
	s_delay_alu instid0(SALU_CYCLE_1)
	s_cmp_lt_i32 s0, 5
	s_cbranch_scc1 .LBB11_86
; %bb.82:
	s_cmp_lt_i32 s0, 8
	s_cbranch_scc1 .LBB11_87
; %bb.83:
	;; [unrolled: 3-line block ×3, first 2 shown]
	s_cmp_gt_i32 s0, 9
	s_cbranch_scc0 .LBB11_89
; %bb.85:
	global_load_b64 v[42:43], v[0:1], off
	s_mov_b32 s1, 0
	s_branch .LBB11_90
.LBB11_86:
                                        ; implicit-def: $vgpr42_vgpr43
	s_branch .LBB11_108
.LBB11_87:
	s_mov_b32 s1, -1
                                        ; implicit-def: $vgpr42_vgpr43
	s_branch .LBB11_96
.LBB11_88:
	s_mov_b32 s1, -1
                                        ; implicit-def: $vgpr42_vgpr43
	s_branch .LBB11_93
.LBB11_89:
	s_mov_b32 s1, -1
                                        ; implicit-def: $vgpr42_vgpr43
.LBB11_90:
	s_delay_alu instid0(SALU_CYCLE_1)
	s_and_not1_b32 vcc_lo, exec_lo, s1
	s_cbranch_vccnz .LBB11_92
; %bb.91:
	global_load_b32 v2, v[0:1], off
	s_wait_loadcnt 0x0
	v_cvt_f64_f32_e32 v[42:43], v2
.LBB11_92:
	s_mov_b32 s1, 0
.LBB11_93:
	s_delay_alu instid0(SALU_CYCLE_1)
	s_and_not1_b32 vcc_lo, exec_lo, s1
	s_cbranch_vccnz .LBB11_95
; %bb.94:
	global_load_b32 v2, v[0:1], off
	s_wait_loadcnt 0x0
	v_cvt_f32_f16_e32 v2, v2
	s_delay_alu instid0(VALU_DEP_1)
	v_cvt_f64_f32_e32 v[42:43], v2
.LBB11_95:
	s_mov_b32 s1, 0
.LBB11_96:
	s_delay_alu instid0(SALU_CYCLE_1)
	s_and_not1_b32 vcc_lo, exec_lo, s1
	s_cbranch_vccnz .LBB11_107
; %bb.97:
	s_cmp_lt_i32 s0, 6
	s_cbranch_scc1 .LBB11_100
; %bb.98:
	s_cmp_gt_i32 s0, 6
	s_cbranch_scc0 .LBB11_101
; %bb.99:
	s_wait_loadcnt 0x0
	global_load_b64 v[42:43], v[0:1], off
	s_mov_b32 s1, 0
	s_branch .LBB11_102
.LBB11_100:
	s_mov_b32 s1, -1
                                        ; implicit-def: $vgpr42_vgpr43
	s_branch .LBB11_105
.LBB11_101:
	s_mov_b32 s1, -1
                                        ; implicit-def: $vgpr42_vgpr43
.LBB11_102:
	s_delay_alu instid0(SALU_CYCLE_1)
	s_and_not1_b32 vcc_lo, exec_lo, s1
	s_cbranch_vccnz .LBB11_104
; %bb.103:
	global_load_b32 v2, v[0:1], off
	s_wait_loadcnt 0x0
	v_cvt_f64_f32_e32 v[42:43], v2
.LBB11_104:
	s_mov_b32 s1, 0
.LBB11_105:
	s_delay_alu instid0(SALU_CYCLE_1)
	s_and_not1_b32 vcc_lo, exec_lo, s1
	s_cbranch_vccnz .LBB11_107
; %bb.106:
	global_load_u16 v2, v[0:1], off
	s_wait_loadcnt 0x0
	v_cvt_f32_f16_e32 v2, v2
	s_delay_alu instid0(VALU_DEP_1)
	v_cvt_f64_f32_e32 v[42:43], v2
.LBB11_107:
	s_cbranch_execnz .LBB11_127
.LBB11_108:
	s_cmp_lt_i32 s0, 2
	s_cbranch_scc1 .LBB11_112
; %bb.109:
	s_cmp_lt_i32 s0, 3
	s_cbranch_scc1 .LBB11_113
; %bb.110:
	s_cmp_gt_i32 s0, 3
	s_cbranch_scc0 .LBB11_114
; %bb.111:
	global_load_b64 v[2:3], v[0:1], off
	s_mov_b32 s1, 0
	s_wait_loadcnt 0x0
	v_cvt_f64_i32_e32 v[4:5], v3
	v_cvt_f64_u32_e32 v[2:3], v2
	s_delay_alu instid0(VALU_DEP_2) | instskip(NEXT) | instid1(VALU_DEP_1)
	v_ldexp_f64 v[4:5], v[4:5], 32
	v_add_f64_e32 v[42:43], v[4:5], v[2:3]
	s_branch .LBB11_115
.LBB11_112:
	s_mov_b32 s1, -1
                                        ; implicit-def: $vgpr42_vgpr43
	s_branch .LBB11_121
.LBB11_113:
	s_mov_b32 s1, -1
                                        ; implicit-def: $vgpr42_vgpr43
	s_branch .LBB11_118
.LBB11_114:
	s_mov_b32 s1, -1
                                        ; implicit-def: $vgpr42_vgpr43
.LBB11_115:
	s_delay_alu instid0(SALU_CYCLE_1)
	s_and_not1_b32 vcc_lo, exec_lo, s1
	s_cbranch_vccnz .LBB11_117
; %bb.116:
	global_load_b32 v2, v[0:1], off
	s_wait_loadcnt 0x0
	v_cvt_f64_i32_e32 v[42:43], v2
.LBB11_117:
	s_mov_b32 s1, 0
.LBB11_118:
	s_delay_alu instid0(SALU_CYCLE_1)
	s_and_not1_b32 vcc_lo, exec_lo, s1
	s_cbranch_vccnz .LBB11_120
; %bb.119:
	global_load_i16 v2, v[0:1], off
	s_wait_loadcnt 0x0
	v_cvt_f64_i32_e32 v[42:43], v2
.LBB11_120:
	s_mov_b32 s1, 0
.LBB11_121:
	s_delay_alu instid0(SALU_CYCLE_1)
	s_and_not1_b32 vcc_lo, exec_lo, s1
	s_cbranch_vccnz .LBB11_127
; %bb.122:
	s_cmp_gt_i32 s0, 0
	s_mov_b32 s0, 0
	s_cbranch_scc0 .LBB11_124
; %bb.123:
	global_load_i8 v2, v[0:1], off
	s_wait_loadcnt 0x0
	v_cvt_f64_i32_e32 v[42:43], v2
	s_branch .LBB11_125
.LBB11_124:
	s_mov_b32 s0, -1
                                        ; implicit-def: $vgpr42_vgpr43
.LBB11_125:
	s_delay_alu instid0(SALU_CYCLE_1)
	s_and_not1_b32 vcc_lo, exec_lo, s0
	s_cbranch_vccnz .LBB11_127
; %bb.126:
	global_load_u8 v0, v[0:1], off
	s_wait_loadcnt 0x0
	v_cvt_f64_u32_e32 v[42:43], v0
.LBB11_127:
.LBB11_128:
	s_wait_xcnt 0x0
	v_mul_lo_u32 v0, v72, s46
	s_and_b32 s0, 0xffff, s49
	s_delay_alu instid0(SALU_CYCLE_1) | instskip(NEXT) | instid1(VALU_DEP_1)
	s_cmp_lt_i32 s0, 11
	v_ashrrev_i32_e32 v1, 31, v0
	s_delay_alu instid0(VALU_DEP_1)
	v_add_nc_u64_e32 v[0:1], s[34:35], v[0:1]
	s_cbranch_scc1 .LBB11_135
; %bb.129:
	s_cmp_gt_i32 s0, 25
	s_cbranch_scc0 .LBB11_139
; %bb.130:
	s_cmp_gt_i32 s0, 28
	s_cbranch_scc0 .LBB11_151
	;; [unrolled: 3-line block ×4, first 2 shown]
; %bb.133:
	s_cmp_eq_u32 s0, 46
	s_mov_b32 s2, 0
	s_cbranch_scc0 .LBB11_157
; %bb.134:
	global_load_b32 v2, v[0:1], off
	s_mov_b32 s1, -1
	s_wait_loadcnt 0x0
	v_lshlrev_b32_e32 v2, 16, v2
	s_delay_alu instid0(VALU_DEP_1)
	v_cvt_f64_f32_e32 v[44:45], v2
	s_branch .LBB11_159
.LBB11_135:
	s_mov_b32 s1, 0
                                        ; implicit-def: $vgpr44_vgpr45
	s_cbranch_execnz .LBB11_335
.LBB11_136:
	s_and_not1_b32 vcc_lo, exec_lo, s1
	s_cbranch_vccnz .LBB11_383
.LBB11_137:
	s_and_b32 vcc_lo, exec_lo, s53
	s_cbranch_vccz .LBB11_140
; %bb.138:
	s_wait_loadcnt 0x0
	s_delay_alu instid0(VALU_DEP_4) | instskip(NEXT) | instid1(VALU_DEP_2)
	v_dual_mov_b32 v0, v42 :: v_dual_mov_b32 v1, v43
	v_dual_mov_b32 v2, v44 :: v_dual_mov_b32 v3, v45
	s_get_pc_i64 s[0:1]
	s_add_nc_u64 s[0:1], s[0:1], _ZN12_GLOBAL__N_111calc_igammaIdEET_S1_S1_@rel64+4
	s_delay_alu instid0(SALU_CYCLE_1)
	s_swap_pc_i64 s[30:31], s[0:1]
	s_mov_b32 s0, 0
	s_branch .LBB11_141
.LBB11_139:
	s_mov_b32 s2, -1
	s_mov_b32 s1, 0
                                        ; implicit-def: $vgpr44_vgpr45
	s_branch .LBB11_299
.LBB11_140:
	s_mov_b32 s0, -1
                                        ; implicit-def: $vgpr0_vgpr1
.LBB11_141:
	s_delay_alu instid0(SALU_CYCLE_1)
	s_and_not1_b32 vcc_lo, exec_lo, s0
	s_cbranch_vccnz .LBB11_143
; %bb.142:
	s_wait_loadcnt 0x0
	s_delay_alu instid0(VALU_DEP_4) | instskip(NEXT) | instid1(VALU_DEP_2)
	v_dual_mov_b32 v0, v42 :: v_dual_mov_b32 v1, v43
	v_dual_mov_b32 v2, v44 :: v_dual_mov_b32 v3, v45
	s_get_pc_i64 s[0:1]
	s_add_nc_u64 s[0:1], s[0:1], _ZN12_GLOBAL__N_112calc_igammacIdEET_S1_S1_@rel64+4
	s_delay_alu instid0(SALU_CYCLE_1)
	s_swap_pc_i64 s[30:31], s[0:1]
.LBB11_143:
	v_mul_lo_u32 v2, v72, s44
	s_and_b32 s1, s48, 0xff
	s_delay_alu instid0(SALU_CYCLE_1) | instskip(NEXT) | instid1(VALU_DEP_1)
	s_cmp_lt_i32 s1, 11
	v_ashrrev_i32_e32 v3, 31, v2
	s_delay_alu instid0(VALU_DEP_1)
	v_add_nc_u64_e32 v[4:5], s[36:37], v[2:3]
	s_cbranch_scc1 .LBB11_150
; %bb.144:
	s_and_b32 s2, 0xffff, s1
	s_delay_alu instid0(SALU_CYCLE_1)
	s_cmp_gt_i32 s2, 25
	s_cbranch_scc0 .LBB11_152
; %bb.145:
	s_cmp_gt_i32 s2, 28
	s_cbranch_scc0 .LBB11_154
; %bb.146:
	;; [unrolled: 3-line block ×4, first 2 shown]
	s_mov_b32 s4, 0
	s_mov_b32 s0, -1
	s_cmp_eq_u32 s2, 46
	s_mov_b32 s3, 0
	s_cbranch_scc0 .LBB11_163
; %bb.149:
	v_cvt_f32_f64_e32 v2, v[0:1]
	s_mov_b32 s3, -1
	s_mov_b32 s0, 0
	s_delay_alu instid0(VALU_DEP_1) | instskip(SKIP_1) | instid1(VALU_DEP_2)
	v_bfe_u32 v3, v2, 16, 1
	v_cmp_o_f32_e32 vcc_lo, v2, v2
	v_add3_u32 v3, v2, v3, 0x7fff
	s_delay_alu instid0(VALU_DEP_1) | instskip(NEXT) | instid1(VALU_DEP_1)
	v_lshrrev_b32_e32 v3, 16, v3
	v_cndmask_b32_e32 v2, 0x7fc0, v3, vcc_lo
	global_store_b32 v[4:5], v2, off
	s_branch .LBB11_163
.LBB11_150:
	s_mov_b32 s2, -1
	s_mov_b32 s0, 0
	s_mov_b32 s3, 0
	s_branch .LBB11_232
.LBB11_151:
	s_mov_b32 s2, -1
	s_mov_b32 s1, 0
                                        ; implicit-def: $vgpr44_vgpr45
	s_branch .LBB11_280
.LBB11_152:
	s_mov_b32 s4, -1
	s_mov_b32 s0, 0
	s_mov_b32 s3, 0
	s_branch .LBB11_190
.LBB11_153:
	s_mov_b32 s2, -1
	s_mov_b32 s1, 0
                                        ; implicit-def: $vgpr44_vgpr45
	s_branch .LBB11_275
.LBB11_154:
	s_mov_b32 s4, -1
	s_mov_b32 s0, 0
	s_mov_b32 s3, 0
	s_branch .LBB11_173
.LBB11_155:
	s_mov_b32 s2, -1
	s_branch .LBB11_158
.LBB11_156:
	s_mov_b32 s4, -1
	s_mov_b32 s0, 0
	s_mov_b32 s3, 0
	s_branch .LBB11_169
.LBB11_157:
	s_mov_b32 s56, -1
.LBB11_158:
	s_mov_b32 s1, 0
                                        ; implicit-def: $vgpr44_vgpr45
.LBB11_159:
	s_and_b32 vcc_lo, exec_lo, s2
	s_cbranch_vccz .LBB11_274
; %bb.160:
	s_cmp_eq_u32 s0, 44
	s_cbranch_scc0 .LBB11_273
; %bb.161:
	global_load_u8 v4, v[0:1], off
	s_mov_b32 s56, 0
	s_mov_b32 s1, -1
	s_wait_loadcnt 0x0
	v_cmp_ne_u32_e32 vcc_lo, 0xff, v4
	v_lshlrev_b32_e32 v2, 23, v4
	s_delay_alu instid0(VALU_DEP_1) | instskip(NEXT) | instid1(VALU_DEP_1)
	v_cvt_f64_f32_e32 v[2:3], v2
	v_cndmask_b32_e32 v2, 0x20000000, v2, vcc_lo
	s_delay_alu instid0(VALU_DEP_2) | instskip(SKIP_1) | instid1(VALU_DEP_2)
	v_cndmask_b32_e32 v3, 0x7ff80000, v3, vcc_lo
	v_cmp_ne_u32_e32 vcc_lo, 0, v4
	v_cndmask_b32_e32 v45, 0x38000000, v3, vcc_lo
	s_delay_alu instid0(VALU_DEP_4)
	v_cndmask_b32_e32 v44, 0, v2, vcc_lo
	s_branch .LBB11_274
.LBB11_162:
	s_mov_b32 s4, -1
	s_mov_b32 s0, 0
	s_mov_b32 s3, 0
.LBB11_163:
	s_and_b32 vcc_lo, exec_lo, s4
	s_cbranch_vccz .LBB11_168
; %bb.164:
	s_cmp_eq_u32 s2, 44
	s_mov_b32 s0, -1
	s_cbranch_scc0 .LBB11_168
; %bb.165:
	s_wait_xcnt 0x0
	v_cvt_f32_f64_e32 v2, v[0:1]
	v_mov_b32_e32 v3, 0xff
	s_mov_b32 s3, exec_lo
	s_delay_alu instid0(VALU_DEP_2) | instskip(NEXT) | instid1(VALU_DEP_1)
	v_bfe_u32 v6, v2, 23, 8
	v_cmpx_ne_u32_e32 0xff, v6
	s_cbranch_execz .LBB11_167
; %bb.166:
	v_and_b32_e32 v3, 0x400000, v2
	v_and_or_b32 v6, 0x3fffff, v2, v6
	v_lshrrev_b32_e32 v2, 23, v2
	s_delay_alu instid0(VALU_DEP_3) | instskip(NEXT) | instid1(VALU_DEP_3)
	v_cmp_ne_u32_e32 vcc_lo, 0, v3
	v_cmp_ne_u32_e64 s0, 0, v6
	s_and_b32 s0, vcc_lo, s0
	s_delay_alu instid0(SALU_CYCLE_1) | instskip(NEXT) | instid1(VALU_DEP_1)
	v_cndmask_b32_e64 v3, 0, 1, s0
	v_add_nc_u32_e32 v3, v2, v3
.LBB11_167:
	s_or_b32 exec_lo, exec_lo, s3
	s_mov_b32 s3, -1
	s_mov_b32 s0, 0
	global_store_b8 v[4:5], v3, off
.LBB11_168:
	s_mov_b32 s4, 0
.LBB11_169:
	s_delay_alu instid0(SALU_CYCLE_1)
	s_and_b32 vcc_lo, exec_lo, s4
	s_cbranch_vccz .LBB11_172
; %bb.170:
	s_cmp_eq_u32 s2, 29
	s_mov_b32 s0, -1
	s_cbranch_scc0 .LBB11_172
; %bb.171:
	s_wait_xcnt 0x0
	v_trunc_f64_e32 v[2:3], v[0:1]
	s_mov_b32 s3, -1
	s_mov_b32 s0, 0
	s_mov_b32 s4, 0
	s_delay_alu instid0(VALU_DEP_1) | instskip(NEXT) | instid1(VALU_DEP_1)
	v_ldexp_f64 v[6:7], v[2:3], 0xffffffe0
	v_floor_f64_e32 v[6:7], v[6:7]
	s_delay_alu instid0(VALU_DEP_1) | instskip(SKIP_1) | instid1(VALU_DEP_2)
	v_fmamk_f64 v[2:3], v[6:7], 0xc1f00000, v[2:3]
	v_cvt_u32_f64_e32 v7, v[6:7]
	v_cvt_u32_f64_e32 v6, v[2:3]
	global_store_b64 v[4:5], v[6:7], off
	s_branch .LBB11_173
.LBB11_172:
	s_mov_b32 s4, 0
.LBB11_173:
	s_delay_alu instid0(SALU_CYCLE_1)
	s_and_b32 vcc_lo, exec_lo, s4
	s_cbranch_vccz .LBB11_189
; %bb.174:
	s_cmp_lt_i32 s2, 27
	s_mov_b32 s3, -1
	s_cbranch_scc1 .LBB11_180
; %bb.175:
	s_wait_xcnt 0x0
	v_cvt_u32_f64_e32 v2, v[0:1]
	s_cmp_gt_i32 s2, 27
	s_cbranch_scc0 .LBB11_177
; %bb.176:
	s_mov_b32 s3, 0
	global_store_b32 v[4:5], v2, off
.LBB11_177:
	s_and_not1_b32 vcc_lo, exec_lo, s3
	s_cbranch_vccnz .LBB11_179
; %bb.178:
	global_store_b16 v[4:5], v2, off
.LBB11_179:
	s_mov_b32 s3, 0
.LBB11_180:
	s_delay_alu instid0(SALU_CYCLE_1)
	s_and_not1_b32 vcc_lo, exec_lo, s3
	s_cbranch_vccnz .LBB11_188
; %bb.181:
	s_wait_xcnt 0x0
	v_cvt_f32_f64_e32 v2, v[0:1]
	v_mov_b32_e32 v6, 0x80
	s_mov_b32 s3, exec_lo
	s_delay_alu instid0(VALU_DEP_2) | instskip(NEXT) | instid1(VALU_DEP_1)
	v_and_b32_e32 v3, 0x7fffffff, v2
	v_cmpx_gt_u32_e32 0x43800000, v3
	s_cbranch_execz .LBB11_187
; %bb.182:
	v_cmp_lt_u32_e32 vcc_lo, 0x3bffffff, v3
	s_mov_b32 s4, 0
                                        ; implicit-def: $vgpr3
	s_and_saveexec_b32 s5, vcc_lo
	s_delay_alu instid0(SALU_CYCLE_1)
	s_xor_b32 s5, exec_lo, s5
	s_cbranch_execz .LBB11_415
; %bb.183:
	v_bfe_u32 v3, v2, 20, 1
	s_mov_b32 s4, exec_lo
	s_delay_alu instid0(VALU_DEP_1) | instskip(NEXT) | instid1(VALU_DEP_1)
	v_add3_u32 v3, v2, v3, 0x487ffff
	v_lshrrev_b32_e32 v3, 20, v3
	s_and_not1_saveexec_b32 s5, s5
	s_cbranch_execnz .LBB11_416
.LBB11_184:
	s_or_b32 exec_lo, exec_lo, s5
	v_mov_b32_e32 v6, 0
	s_and_saveexec_b32 s5, s4
.LBB11_185:
	v_lshrrev_b32_e32 v2, 24, v2
	s_delay_alu instid0(VALU_DEP_1)
	v_and_or_b32 v6, 0x80, v2, v3
.LBB11_186:
	s_or_b32 exec_lo, exec_lo, s5
.LBB11_187:
	s_delay_alu instid0(SALU_CYCLE_1)
	s_or_b32 exec_lo, exec_lo, s3
	global_store_b8 v[4:5], v6, off
.LBB11_188:
	s_mov_b32 s3, -1
.LBB11_189:
	s_mov_b32 s4, 0
.LBB11_190:
	s_delay_alu instid0(SALU_CYCLE_1)
	s_and_b32 vcc_lo, exec_lo, s4
	s_cbranch_vccz .LBB11_231
; %bb.191:
	s_cmp_gt_i32 s2, 22
	s_mov_b32 s4, -1
	s_cbranch_scc0 .LBB11_223
; %bb.192:
	s_cmp_lt_i32 s2, 24
	s_mov_b32 s3, -1
	s_cbranch_scc1 .LBB11_212
; %bb.193:
	s_cmp_gt_i32 s2, 24
	s_cbranch_scc0 .LBB11_201
; %bb.194:
	s_wait_xcnt 0x0
	v_cvt_f32_f64_e32 v2, v[0:1]
	v_mov_b32_e32 v6, 0x80
	s_mov_b32 s3, exec_lo
	s_delay_alu instid0(VALU_DEP_2) | instskip(NEXT) | instid1(VALU_DEP_1)
	v_and_b32_e32 v3, 0x7fffffff, v2
	v_cmpx_gt_u32_e32 0x47800000, v3
	s_cbranch_execz .LBB11_200
; %bb.195:
	v_cmp_lt_u32_e32 vcc_lo, 0x37ffffff, v3
	s_mov_b32 s4, 0
                                        ; implicit-def: $vgpr3
	s_and_saveexec_b32 s5, vcc_lo
	s_delay_alu instid0(SALU_CYCLE_1)
	s_xor_b32 s5, exec_lo, s5
	s_cbranch_execz .LBB11_534
; %bb.196:
	v_bfe_u32 v3, v2, 21, 1
	s_mov_b32 s4, exec_lo
	s_delay_alu instid0(VALU_DEP_1) | instskip(NEXT) | instid1(VALU_DEP_1)
	v_add3_u32 v3, v2, v3, 0x88fffff
	v_lshrrev_b32_e32 v3, 21, v3
	s_and_not1_saveexec_b32 s5, s5
	s_cbranch_execnz .LBB11_535
.LBB11_197:
	s_or_b32 exec_lo, exec_lo, s5
	v_mov_b32_e32 v6, 0
	s_and_saveexec_b32 s5, s4
.LBB11_198:
	v_lshrrev_b32_e32 v2, 24, v2
	s_delay_alu instid0(VALU_DEP_1)
	v_and_or_b32 v6, 0x80, v2, v3
.LBB11_199:
	s_or_b32 exec_lo, exec_lo, s5
.LBB11_200:
	s_delay_alu instid0(SALU_CYCLE_1)
	s_or_b32 exec_lo, exec_lo, s3
	s_mov_b32 s3, 0
	global_store_b8 v[4:5], v6, off
.LBB11_201:
	s_and_b32 vcc_lo, exec_lo, s3
	s_cbranch_vccz .LBB11_211
; %bb.202:
	s_wait_xcnt 0x0
	v_cvt_f32_f64_e32 v2, v[0:1]
	s_mov_b32 s3, exec_lo
                                        ; implicit-def: $vgpr3
	s_delay_alu instid0(VALU_DEP_1) | instskip(NEXT) | instid1(VALU_DEP_1)
	v_and_b32_e32 v6, 0x7fffffff, v2
	v_cmpx_gt_u32_e32 0x43f00000, v6
	s_xor_b32 s3, exec_lo, s3
	s_cbranch_execz .LBB11_208
; %bb.203:
	s_mov_b32 s4, exec_lo
                                        ; implicit-def: $vgpr3
	v_cmpx_lt_u32_e32 0x3c7fffff, v6
	s_xor_b32 s4, exec_lo, s4
; %bb.204:
	v_bfe_u32 v3, v2, 20, 1
	s_delay_alu instid0(VALU_DEP_1) | instskip(NEXT) | instid1(VALU_DEP_1)
	v_add3_u32 v3, v2, v3, 0x407ffff
	v_and_b32_e32 v6, 0xff00000, v3
	v_lshrrev_b32_e32 v3, 20, v3
	s_delay_alu instid0(VALU_DEP_2) | instskip(NEXT) | instid1(VALU_DEP_2)
	v_cmp_ne_u32_e32 vcc_lo, 0x7f00000, v6
	v_cndmask_b32_e32 v3, 0x7e, v3, vcc_lo
; %bb.205:
	s_and_not1_saveexec_b32 s4, s4
; %bb.206:
	v_add_f32_e64 v3, 0x46800000, |v2|
; %bb.207:
	s_or_b32 exec_lo, exec_lo, s4
                                        ; implicit-def: $vgpr6
.LBB11_208:
	s_and_not1_saveexec_b32 s3, s3
; %bb.209:
	v_mov_b32_e32 v3, 0x7f
	v_cmp_lt_u32_e32 vcc_lo, 0x7f800000, v6
	s_delay_alu instid0(VALU_DEP_2)
	v_cndmask_b32_e32 v3, 0x7e, v3, vcc_lo
; %bb.210:
	s_or_b32 exec_lo, exec_lo, s3
	v_lshrrev_b32_e32 v2, 24, v2
	s_delay_alu instid0(VALU_DEP_1)
	v_and_or_b32 v2, 0x80, v2, v3
	global_store_b8 v[4:5], v2, off
.LBB11_211:
	s_mov_b32 s3, 0
.LBB11_212:
	s_delay_alu instid0(SALU_CYCLE_1)
	s_and_not1_b32 vcc_lo, exec_lo, s3
	s_cbranch_vccnz .LBB11_222
; %bb.213:
	s_wait_xcnt 0x0
	v_cvt_f32_f64_e32 v2, v[0:1]
	s_mov_b32 s3, exec_lo
                                        ; implicit-def: $vgpr3
	s_delay_alu instid0(VALU_DEP_1) | instskip(NEXT) | instid1(VALU_DEP_1)
	v_and_b32_e32 v6, 0x7fffffff, v2
	v_cmpx_gt_u32_e32 0x47800000, v6
	s_xor_b32 s3, exec_lo, s3
	s_cbranch_execz .LBB11_219
; %bb.214:
	s_mov_b32 s4, exec_lo
                                        ; implicit-def: $vgpr3
	v_cmpx_lt_u32_e32 0x387fffff, v6
	s_xor_b32 s4, exec_lo, s4
; %bb.215:
	v_bfe_u32 v3, v2, 21, 1
	s_delay_alu instid0(VALU_DEP_1) | instskip(NEXT) | instid1(VALU_DEP_1)
	v_add3_u32 v3, v2, v3, 0x80fffff
	v_lshrrev_b32_e32 v3, 21, v3
; %bb.216:
	s_and_not1_saveexec_b32 s4, s4
; %bb.217:
	v_add_f32_e64 v3, 0x43000000, |v2|
; %bb.218:
	s_or_b32 exec_lo, exec_lo, s4
                                        ; implicit-def: $vgpr6
.LBB11_219:
	s_and_not1_saveexec_b32 s3, s3
; %bb.220:
	v_mov_b32_e32 v3, 0x7f
	v_cmp_lt_u32_e32 vcc_lo, 0x7f800000, v6
	s_delay_alu instid0(VALU_DEP_2)
	v_cndmask_b32_e32 v3, 0x7c, v3, vcc_lo
; %bb.221:
	s_or_b32 exec_lo, exec_lo, s3
	v_lshrrev_b32_e32 v2, 24, v2
	s_delay_alu instid0(VALU_DEP_1)
	v_and_or_b32 v2, 0x80, v2, v3
	global_store_b8 v[4:5], v2, off
.LBB11_222:
	s_mov_b32 s4, 0
	s_mov_b32 s3, -1
.LBB11_223:
	s_and_not1_b32 vcc_lo, exec_lo, s4
	s_cbranch_vccnz .LBB11_231
; %bb.224:
	s_cmp_gt_i32 s2, 14
	s_mov_b32 s4, -1
	s_cbranch_scc0 .LBB11_228
; %bb.225:
	s_cmp_eq_u32 s2, 15
	s_mov_b32 s0, -1
	s_cbranch_scc0 .LBB11_227
; %bb.226:
	s_wait_xcnt 0x0
	v_cvt_f32_f64_e32 v2, v[0:1]
	s_mov_b32 s3, -1
	s_mov_b32 s0, 0
	s_delay_alu instid0(VALU_DEP_1) | instskip(SKIP_1) | instid1(VALU_DEP_2)
	v_bfe_u32 v3, v2, 16, 1
	v_cmp_o_f32_e32 vcc_lo, v2, v2
	v_add3_u32 v3, v2, v3, 0x7fff
	s_delay_alu instid0(VALU_DEP_1) | instskip(NEXT) | instid1(VALU_DEP_1)
	v_lshrrev_b32_e32 v3, 16, v3
	v_cndmask_b32_e32 v2, 0x7fc0, v3, vcc_lo
	global_store_b16 v[4:5], v2, off
.LBB11_227:
	s_mov_b32 s4, 0
.LBB11_228:
	s_delay_alu instid0(SALU_CYCLE_1)
	s_and_b32 vcc_lo, exec_lo, s4
	s_cbranch_vccz .LBB11_231
; %bb.229:
	s_cmp_eq_u32 s2, 11
	s_mov_b32 s0, -1
	s_cbranch_scc0 .LBB11_231
; %bb.230:
	v_cmp_neq_f64_e32 vcc_lo, 0, v[0:1]
	s_mov_b32 s3, -1
	s_mov_b32 s0, 0
	s_wait_xcnt 0x0
	v_cndmask_b32_e64 v2, 0, 1, vcc_lo
	global_store_b8 v[4:5], v2, off
.LBB11_231:
	s_mov_b32 s2, 0
.LBB11_232:
	s_delay_alu instid0(SALU_CYCLE_1)
	s_and_b32 vcc_lo, exec_lo, s2
	s_cbranch_vccz .LBB11_271
; %bb.233:
	s_and_b32 s1, 0xffff, s1
	s_mov_b32 s2, -1
	s_cmp_lt_i32 s1, 5
	s_cbranch_scc1 .LBB11_254
; %bb.234:
	s_cmp_lt_i32 s1, 8
	s_cbranch_scc1 .LBB11_244
; %bb.235:
	;; [unrolled: 3-line block ×3, first 2 shown]
	s_cmp_gt_i32 s1, 9
	s_cbranch_scc0 .LBB11_238
; %bb.237:
	s_wait_xcnt 0x0
	v_mov_b32_e32 v2, 0
	s_mov_b32 s2, 0
	s_delay_alu instid0(VALU_DEP_1)
	v_mov_b32_e32 v3, v2
	global_store_b128 v[4:5], v[0:3], off
.LBB11_238:
	s_and_not1_b32 vcc_lo, exec_lo, s2
	s_cbranch_vccnz .LBB11_240
; %bb.239:
	s_wait_xcnt 0x0
	v_cvt_f32_f64_e32 v2, v[0:1]
	v_mov_b32_e32 v3, 0
	global_store_b64 v[4:5], v[2:3], off
.LBB11_240:
	s_mov_b32 s2, 0
.LBB11_241:
	s_delay_alu instid0(SALU_CYCLE_1)
	s_and_not1_b32 vcc_lo, exec_lo, s2
	s_cbranch_vccnz .LBB11_243
; %bb.242:
	s_wait_xcnt 0x0
	v_and_or_b32 v2, 0x1ff, v1, v0
	v_lshrrev_b32_e32 v3, 8, v1
	v_bfe_u32 v6, v1, 20, 11
	s_delay_alu instid0(VALU_DEP_3) | instskip(NEXT) | instid1(VALU_DEP_2)
	v_cmp_ne_u32_e32 vcc_lo, 0, v2
	v_sub_nc_u32_e32 v7, 0x3f1, v6
	v_cndmask_b32_e64 v2, 0, 1, vcc_lo
	s_delay_alu instid0(VALU_DEP_1) | instskip(NEXT) | instid1(VALU_DEP_3)
	v_and_or_b32 v2, 0xffe, v3, v2
	v_med3_i32 v3, v7, 0, 13
	s_delay_alu instid0(VALU_DEP_2) | instskip(NEXT) | instid1(VALU_DEP_1)
	v_or_b32_e32 v7, 0x1000, v2
	v_lshrrev_b32_e32 v8, v3, v7
	s_delay_alu instid0(VALU_DEP_1) | instskip(NEXT) | instid1(VALU_DEP_1)
	v_lshlrev_b32_e32 v3, v3, v8
	v_cmp_ne_u32_e32 vcc_lo, v3, v7
	v_cndmask_b32_e64 v3, 0, 1, vcc_lo
	s_delay_alu instid0(VALU_DEP_1) | instskip(SKIP_1) | instid1(VALU_DEP_1)
	v_or_b32_e32 v3, v8, v3
	v_add_nc_u32_e32 v6, 0xfffffc10, v6
	v_lshl_or_b32 v7, v6, 12, v2
	v_cmp_gt_i32_e32 vcc_lo, 1, v6
	s_delay_alu instid0(VALU_DEP_2) | instskip(NEXT) | instid1(VALU_DEP_1)
	v_cndmask_b32_e32 v3, v7, v3, vcc_lo
	v_dual_lshrrev_b32 v3, 2, v3 :: v_dual_bitop2_b32 v7, 7, v3 bitop3:0x40
	s_delay_alu instid0(VALU_DEP_1) | instskip(SKIP_4) | instid1(VALU_DEP_2)
	v_cmp_lt_i32_e32 vcc_lo, 5, v7
	v_cndmask_b32_e64 v8, 0, 1, vcc_lo
	v_cmp_eq_u32_e32 vcc_lo, 3, v7
	v_cndmask_b32_e64 v7, 0, 1, vcc_lo
	v_cmp_ne_u32_e32 vcc_lo, 0, v2
	v_or_b32_e32 v7, v7, v8
	s_delay_alu instid0(VALU_DEP_1) | instskip(NEXT) | instid1(VALU_DEP_1)
	v_dual_mov_b32 v8, 0x7e00 :: v_dual_add_nc_u32 v3, v3, v7
	v_cndmask_b32_e32 v2, 0x7c00, v8, vcc_lo
	v_cmp_gt_i32_e32 vcc_lo, 31, v6
	v_lshrrev_b32_e32 v7, 16, v1
	s_delay_alu instid0(VALU_DEP_4) | instskip(SKIP_1) | instid1(VALU_DEP_2)
	v_cndmask_b32_e32 v3, 0x7c00, v3, vcc_lo
	v_cmp_eq_u32_e32 vcc_lo, 0x40f, v6
	v_cndmask_b32_e32 v2, v3, v2, vcc_lo
	s_delay_alu instid0(VALU_DEP_4) | instskip(NEXT) | instid1(VALU_DEP_1)
	v_and_b32_e32 v3, 0x8000, v7
	v_bitop3_b32 v2, v3, 0xffff, v2 bitop3:0xc8
	global_store_b32 v[4:5], v2, off
.LBB11_243:
	s_mov_b32 s2, 0
.LBB11_244:
	s_delay_alu instid0(SALU_CYCLE_1)
	s_and_not1_b32 vcc_lo, exec_lo, s2
	s_cbranch_vccnz .LBB11_253
; %bb.245:
	s_cmp_lt_i32 s1, 6
	s_mov_b32 s2, -1
	s_cbranch_scc1 .LBB11_251
; %bb.246:
	s_cmp_gt_i32 s1, 6
	s_cbranch_scc0 .LBB11_248
; %bb.247:
	s_mov_b32 s2, 0
	global_store_b64 v[4:5], v[0:1], off
.LBB11_248:
	s_and_not1_b32 vcc_lo, exec_lo, s2
	s_cbranch_vccnz .LBB11_250
; %bb.249:
	s_wait_xcnt 0x0
	v_cvt_f32_f64_e32 v2, v[0:1]
	global_store_b32 v[4:5], v2, off
.LBB11_250:
	s_mov_b32 s2, 0
.LBB11_251:
	s_delay_alu instid0(SALU_CYCLE_1)
	s_and_not1_b32 vcc_lo, exec_lo, s2
	s_cbranch_vccnz .LBB11_253
; %bb.252:
	s_wait_xcnt 0x0
	v_and_or_b32 v2, 0x1ff, v1, v0
	v_lshrrev_b32_e32 v3, 8, v1
	v_bfe_u32 v6, v1, 20, 11
	s_delay_alu instid0(VALU_DEP_3) | instskip(NEXT) | instid1(VALU_DEP_2)
	v_cmp_ne_u32_e32 vcc_lo, 0, v2
	v_sub_nc_u32_e32 v7, 0x3f1, v6
	v_cndmask_b32_e64 v2, 0, 1, vcc_lo
	s_delay_alu instid0(VALU_DEP_1) | instskip(NEXT) | instid1(VALU_DEP_3)
	v_and_or_b32 v2, 0xffe, v3, v2
	v_med3_i32 v3, v7, 0, 13
	s_delay_alu instid0(VALU_DEP_2) | instskip(NEXT) | instid1(VALU_DEP_1)
	v_or_b32_e32 v7, 0x1000, v2
	v_lshrrev_b32_e32 v8, v3, v7
	s_delay_alu instid0(VALU_DEP_1) | instskip(NEXT) | instid1(VALU_DEP_1)
	v_lshlrev_b32_e32 v3, v3, v8
	v_cmp_ne_u32_e32 vcc_lo, v3, v7
	v_cndmask_b32_e64 v3, 0, 1, vcc_lo
	s_delay_alu instid0(VALU_DEP_1) | instskip(SKIP_1) | instid1(VALU_DEP_1)
	v_or_b32_e32 v3, v8, v3
	v_add_nc_u32_e32 v6, 0xfffffc10, v6
	v_lshl_or_b32 v7, v6, 12, v2
	v_cmp_gt_i32_e32 vcc_lo, 1, v6
	s_delay_alu instid0(VALU_DEP_2) | instskip(NEXT) | instid1(VALU_DEP_1)
	v_cndmask_b32_e32 v3, v7, v3, vcc_lo
	v_dual_lshrrev_b32 v3, 2, v3 :: v_dual_bitop2_b32 v7, 7, v3 bitop3:0x40
	s_delay_alu instid0(VALU_DEP_1) | instskip(SKIP_4) | instid1(VALU_DEP_2)
	v_cmp_lt_i32_e32 vcc_lo, 5, v7
	v_cndmask_b32_e64 v8, 0, 1, vcc_lo
	v_cmp_eq_u32_e32 vcc_lo, 3, v7
	v_cndmask_b32_e64 v7, 0, 1, vcc_lo
	v_cmp_ne_u32_e32 vcc_lo, 0, v2
	v_or_b32_e32 v7, v7, v8
	s_delay_alu instid0(VALU_DEP_1) | instskip(NEXT) | instid1(VALU_DEP_1)
	v_dual_mov_b32 v8, 0x7e00 :: v_dual_add_nc_u32 v3, v3, v7
	v_cndmask_b32_e32 v2, 0x7c00, v8, vcc_lo
	v_cmp_gt_i32_e32 vcc_lo, 31, v6
	s_delay_alu instid0(VALU_DEP_3) | instskip(SKIP_1) | instid1(VALU_DEP_2)
	v_cndmask_b32_e32 v3, 0x7c00, v3, vcc_lo
	v_cmp_eq_u32_e32 vcc_lo, 0x40f, v6
	v_dual_cndmask_b32 v2, v3, v2 :: v_dual_lshrrev_b32 v3, 16, v1
	s_delay_alu instid0(VALU_DEP_1)
	v_and_or_b32 v2, 0x8000, v3, v2
	global_store_b16 v[4:5], v2, off
.LBB11_253:
	s_mov_b32 s2, 0
.LBB11_254:
	s_delay_alu instid0(SALU_CYCLE_1)
	s_and_not1_b32 vcc_lo, exec_lo, s2
	s_cbranch_vccnz .LBB11_270
; %bb.255:
	s_cmp_lt_i32 s1, 2
	s_mov_b32 s2, -1
	s_cbranch_scc1 .LBB11_265
; %bb.256:
	s_cmp_lt_i32 s1, 3
	s_cbranch_scc1 .LBB11_262
; %bb.257:
	s_cmp_gt_i32 s1, 3
	s_cbranch_scc0 .LBB11_259
; %bb.258:
	s_wait_xcnt 0x0
	v_trunc_f64_e32 v[2:3], v[0:1]
	s_mov_b32 s2, 0
	s_delay_alu instid0(VALU_DEP_1) | instskip(NEXT) | instid1(VALU_DEP_1)
	v_ldexp_f64 v[6:7], v[2:3], 0xffffffe0
	v_floor_f64_e32 v[6:7], v[6:7]
	s_delay_alu instid0(VALU_DEP_1) | instskip(SKIP_1) | instid1(VALU_DEP_2)
	v_fmamk_f64 v[2:3], v[6:7], 0xc1f00000, v[2:3]
	v_cvt_i32_f64_e32 v7, v[6:7]
	v_cvt_u32_f64_e32 v6, v[2:3]
	global_store_b64 v[4:5], v[6:7], off
.LBB11_259:
	s_and_not1_b32 vcc_lo, exec_lo, s2
	s_cbranch_vccnz .LBB11_261
; %bb.260:
	s_wait_xcnt 0x0
	v_cvt_i32_f64_e32 v2, v[0:1]
	global_store_b32 v[4:5], v2, off
.LBB11_261:
	s_mov_b32 s2, 0
.LBB11_262:
	s_delay_alu instid0(SALU_CYCLE_1)
	s_and_not1_b32 vcc_lo, exec_lo, s2
	s_cbranch_vccnz .LBB11_264
; %bb.263:
	s_wait_xcnt 0x0
	v_cvt_i32_f64_e32 v2, v[0:1]
	global_store_b16 v[4:5], v2, off
.LBB11_264:
	s_mov_b32 s2, 0
.LBB11_265:
	s_delay_alu instid0(SALU_CYCLE_1)
	s_and_not1_b32 vcc_lo, exec_lo, s2
	s_cbranch_vccnz .LBB11_270
; %bb.266:
	s_cmp_gt_i32 s1, 0
	s_mov_b32 s1, -1
	s_cbranch_scc0 .LBB11_268
; %bb.267:
	s_wait_xcnt 0x0
	v_cvt_i32_f64_e32 v2, v[0:1]
	s_mov_b32 s1, 0
	global_store_b8 v[4:5], v2, off
.LBB11_268:
	s_and_not1_b32 vcc_lo, exec_lo, s1
	s_cbranch_vccnz .LBB11_270
; %bb.269:
	s_wait_xcnt 0x0
	v_trunc_f64_e32 v[0:1], v[0:1]
	s_delay_alu instid0(VALU_DEP_1) | instskip(NEXT) | instid1(VALU_DEP_1)
	v_ldexp_f64 v[2:3], v[0:1], 0xffffffe0
	v_floor_f64_e32 v[2:3], v[2:3]
	s_delay_alu instid0(VALU_DEP_1) | instskip(NEXT) | instid1(VALU_DEP_1)
	v_fmamk_f64 v[0:1], v[2:3], 0xc1f00000, v[0:1]
	v_cvt_u32_f64_e32 v0, v[0:1]
	global_store_b8 v[4:5], v0, off
.LBB11_270:
	s_mov_b32 s3, -1
.LBB11_271:
	s_delay_alu instid0(SALU_CYCLE_1)
	s_and_not1_b32 vcc_lo, exec_lo, s3
	s_cbranch_vccnz .LBB11_384
; %bb.272:
	v_add_nc_u32_e32 v72, 0x80, v72
	s_mov_b32 s1, -1
	s_branch .LBB11_385
.LBB11_273:
	s_mov_b32 s56, -1
                                        ; implicit-def: $vgpr44_vgpr45
.LBB11_274:
	s_mov_b32 s2, 0
.LBB11_275:
	s_delay_alu instid0(SALU_CYCLE_1)
	s_and_b32 vcc_lo, exec_lo, s2
	s_cbranch_vccz .LBB11_279
; %bb.276:
	s_cmp_eq_u32 s0, 29
	s_cbranch_scc0 .LBB11_278
; %bb.277:
	global_load_b64 v[2:3], v[0:1], off
	s_mov_b32 s1, -1
	s_mov_b32 s56, 0
	s_mov_b32 s2, 0
	s_wait_loadcnt 0x0
	v_cvt_f64_u32_e32 v[4:5], v3
	v_cvt_f64_u32_e32 v[2:3], v2
	s_delay_alu instid0(VALU_DEP_2) | instskip(NEXT) | instid1(VALU_DEP_1)
	v_ldexp_f64 v[4:5], v[4:5], 32
	v_add_f64_e32 v[44:45], v[4:5], v[2:3]
	s_branch .LBB11_280
.LBB11_278:
	s_mov_b32 s56, -1
                                        ; implicit-def: $vgpr44_vgpr45
.LBB11_279:
	s_mov_b32 s2, 0
.LBB11_280:
	s_delay_alu instid0(SALU_CYCLE_1)
	s_and_b32 vcc_lo, exec_lo, s2
	s_cbranch_vccz .LBB11_298
; %bb.281:
	s_cmp_lt_i32 s0, 27
	s_cbranch_scc1 .LBB11_284
; %bb.282:
	s_cmp_gt_i32 s0, 27
	s_cbranch_scc0 .LBB11_285
; %bb.283:
	global_load_b32 v2, v[0:1], off
	s_mov_b32 s1, 0
	s_wait_loadcnt 0x0
	v_cvt_f64_u32_e32 v[44:45], v2
	s_branch .LBB11_286
.LBB11_284:
	s_mov_b32 s1, -1
                                        ; implicit-def: $vgpr44_vgpr45
	s_branch .LBB11_289
.LBB11_285:
	s_mov_b32 s1, -1
                                        ; implicit-def: $vgpr44_vgpr45
.LBB11_286:
	s_delay_alu instid0(SALU_CYCLE_1)
	s_and_not1_b32 vcc_lo, exec_lo, s1
	s_cbranch_vccnz .LBB11_288
; %bb.287:
	global_load_u16 v2, v[0:1], off
	s_wait_loadcnt 0x0
	v_cvt_f64_u32_e32 v[44:45], v2
.LBB11_288:
	s_mov_b32 s1, 0
.LBB11_289:
	s_delay_alu instid0(SALU_CYCLE_1)
	s_and_not1_b32 vcc_lo, exec_lo, s1
	s_cbranch_vccnz .LBB11_297
; %bb.290:
	global_load_u8 v2, v[0:1], off
	s_mov_b32 s1, 0
	s_mov_b32 s2, exec_lo
	s_wait_loadcnt 0x0
	v_cmpx_lt_i16_e32 0x7f, v2
	s_xor_b32 s2, exec_lo, s2
	s_cbranch_execz .LBB11_311
; %bb.291:
	s_mov_b32 s1, -1
	s_mov_b32 s3, exec_lo
	v_cmpx_eq_u16_e32 0x80, v2
; %bb.292:
	s_xor_b32 s1, exec_lo, -1
; %bb.293:
	s_or_b32 exec_lo, exec_lo, s3
	s_delay_alu instid0(SALU_CYCLE_1)
	s_and_b32 s1, s1, exec_lo
	s_or_saveexec_b32 s2, s2
	v_mov_b64_e32 v[44:45], 0x7ff8000020000000
	s_xor_b32 exec_lo, exec_lo, s2
	s_cbranch_execnz .LBB11_312
.LBB11_294:
	s_or_b32 exec_lo, exec_lo, s2
	s_and_saveexec_b32 s2, s1
	s_cbranch_execz .LBB11_296
.LBB11_295:
	v_and_b32_e32 v3, 0xffff, v2
	s_delay_alu instid0(VALU_DEP_1) | instskip(SKIP_1) | instid1(VALU_DEP_2)
	v_and_b32_e32 v4, 7, v3
	v_bfe_u32 v7, v3, 3, 4
	v_clz_i32_u32_e32 v5, v4
	s_delay_alu instid0(VALU_DEP_2) | instskip(NEXT) | instid1(VALU_DEP_2)
	v_cmp_eq_u32_e32 vcc_lo, 0, v7
	v_min_u32_e32 v5, 32, v5
	s_delay_alu instid0(VALU_DEP_1) | instskip(NEXT) | instid1(VALU_DEP_1)
	v_subrev_nc_u32_e32 v6, 28, v5
	v_dual_lshlrev_b32 v3, v6, v3 :: v_dual_sub_nc_u32 v5, 29, v5
	s_delay_alu instid0(VALU_DEP_1) | instskip(NEXT) | instid1(VALU_DEP_1)
	v_dual_lshlrev_b32 v2, 24, v2 :: v_dual_bitop2_b32 v3, 7, v3 bitop3:0x40
	v_dual_cndmask_b32 v5, v7, v5, vcc_lo :: v_dual_cndmask_b32 v3, v4, v3, vcc_lo
	s_delay_alu instid0(VALU_DEP_2) | instskip(NEXT) | instid1(VALU_DEP_2)
	v_and_b32_e32 v2, 0x80000000, v2
	v_lshl_add_u32 v4, v5, 23, 0x3b800000
	s_delay_alu instid0(VALU_DEP_3) | instskip(NEXT) | instid1(VALU_DEP_1)
	v_lshlrev_b32_e32 v3, 20, v3
	v_or3_b32 v2, v2, v4, v3
	s_delay_alu instid0(VALU_DEP_1)
	v_cvt_f64_f32_e32 v[44:45], v2
.LBB11_296:
	s_or_b32 exec_lo, exec_lo, s2
.LBB11_297:
	s_mov_b32 s1, -1
.LBB11_298:
	s_mov_b32 s2, 0
.LBB11_299:
	s_delay_alu instid0(SALU_CYCLE_1)
	s_and_b32 vcc_lo, exec_lo, s2
	s_cbranch_vccz .LBB11_334
; %bb.300:
	s_cmp_gt_i32 s0, 22
	s_cbranch_scc0 .LBB11_310
; %bb.301:
	s_cmp_lt_i32 s0, 24
	s_cbranch_scc1 .LBB11_313
; %bb.302:
	s_cmp_gt_i32 s0, 24
	s_cbranch_scc0 .LBB11_314
; %bb.303:
	global_load_u8 v2, v[0:1], off
	s_mov_b32 s1, 0
	s_mov_b32 s2, exec_lo
	s_wait_loadcnt 0x0
	v_cmpx_lt_i16_e32 0x7f, v2
	s_xor_b32 s2, exec_lo, s2
	s_cbranch_execz .LBB11_326
; %bb.304:
	s_mov_b32 s1, -1
	s_mov_b32 s3, exec_lo
	v_cmpx_eq_u16_e32 0x80, v2
; %bb.305:
	s_xor_b32 s1, exec_lo, -1
; %bb.306:
	s_or_b32 exec_lo, exec_lo, s3
	s_delay_alu instid0(SALU_CYCLE_1)
	s_and_b32 s1, s1, exec_lo
	s_or_saveexec_b32 s2, s2
	v_mov_b64_e32 v[44:45], 0x7ff8000020000000
	s_xor_b32 exec_lo, exec_lo, s2
	s_cbranch_execnz .LBB11_327
.LBB11_307:
	s_or_b32 exec_lo, exec_lo, s2
	s_and_saveexec_b32 s2, s1
	s_cbranch_execz .LBB11_309
.LBB11_308:
	v_and_b32_e32 v3, 0xffff, v2
	s_delay_alu instid0(VALU_DEP_1) | instskip(SKIP_1) | instid1(VALU_DEP_2)
	v_and_b32_e32 v4, 3, v3
	v_bfe_u32 v7, v3, 2, 5
	v_clz_i32_u32_e32 v5, v4
	s_delay_alu instid0(VALU_DEP_2) | instskip(NEXT) | instid1(VALU_DEP_2)
	v_cmp_eq_u32_e32 vcc_lo, 0, v7
	v_min_u32_e32 v5, 32, v5
	s_delay_alu instid0(VALU_DEP_1) | instskip(NEXT) | instid1(VALU_DEP_1)
	v_subrev_nc_u32_e32 v6, 29, v5
	v_dual_lshlrev_b32 v3, v6, v3 :: v_dual_sub_nc_u32 v5, 30, v5
	s_delay_alu instid0(VALU_DEP_1) | instskip(NEXT) | instid1(VALU_DEP_1)
	v_dual_lshlrev_b32 v2, 24, v2 :: v_dual_bitop2_b32 v3, 3, v3 bitop3:0x40
	v_dual_cndmask_b32 v5, v7, v5, vcc_lo :: v_dual_cndmask_b32 v3, v4, v3, vcc_lo
	s_delay_alu instid0(VALU_DEP_2) | instskip(NEXT) | instid1(VALU_DEP_2)
	v_and_b32_e32 v2, 0x80000000, v2
	v_lshl_add_u32 v4, v5, 23, 0x37800000
	s_delay_alu instid0(VALU_DEP_3) | instskip(NEXT) | instid1(VALU_DEP_1)
	v_lshlrev_b32_e32 v3, 21, v3
	v_or3_b32 v2, v2, v4, v3
	s_delay_alu instid0(VALU_DEP_1)
	v_cvt_f64_f32_e32 v[44:45], v2
.LBB11_309:
	s_or_b32 exec_lo, exec_lo, s2
	s_mov_b32 s1, 0
	s_branch .LBB11_315
.LBB11_310:
	s_mov_b32 s2, -1
                                        ; implicit-def: $vgpr44_vgpr45
	s_branch .LBB11_321
.LBB11_311:
	s_or_saveexec_b32 s2, s2
	v_mov_b64_e32 v[44:45], 0x7ff8000020000000
	s_xor_b32 exec_lo, exec_lo, s2
	s_cbranch_execz .LBB11_294
.LBB11_312:
	v_cmp_ne_u16_e32 vcc_lo, 0, v2
	v_mov_b64_e32 v[44:45], 0
	s_and_not1_b32 s1, s1, exec_lo
	s_and_b32 s3, vcc_lo, exec_lo
	s_delay_alu instid0(SALU_CYCLE_1)
	s_or_b32 s1, s1, s3
	s_or_b32 exec_lo, exec_lo, s2
	s_and_saveexec_b32 s2, s1
	s_cbranch_execnz .LBB11_295
	s_branch .LBB11_296
.LBB11_313:
	s_mov_b32 s1, -1
                                        ; implicit-def: $vgpr44_vgpr45
	s_branch .LBB11_318
.LBB11_314:
	s_mov_b32 s1, -1
                                        ; implicit-def: $vgpr44_vgpr45
.LBB11_315:
	s_delay_alu instid0(SALU_CYCLE_1)
	s_and_b32 vcc_lo, exec_lo, s1
	s_cbranch_vccz .LBB11_317
; %bb.316:
	global_load_u8 v2, v[0:1], off
	s_wait_loadcnt 0x0
	v_lshlrev_b32_e32 v2, 24, v2
	s_delay_alu instid0(VALU_DEP_1) | instskip(NEXT) | instid1(VALU_DEP_1)
	v_and_b32_e32 v3, 0x7f000000, v2
	v_clz_i32_u32_e32 v4, v3
	v_cmp_ne_u32_e32 vcc_lo, 0, v3
	v_add_nc_u32_e32 v6, 0x1000000, v3
	s_delay_alu instid0(VALU_DEP_3) | instskip(NEXT) | instid1(VALU_DEP_1)
	v_min_u32_e32 v4, 32, v4
	v_sub_nc_u32_e64 v4, v4, 4 clamp
	s_delay_alu instid0(VALU_DEP_1) | instskip(NEXT) | instid1(VALU_DEP_1)
	v_dual_lshlrev_b32 v5, v4, v3 :: v_dual_lshlrev_b32 v4, 23, v4
	v_lshrrev_b32_e32 v5, 4, v5
	s_delay_alu instid0(VALU_DEP_1) | instskip(NEXT) | instid1(VALU_DEP_1)
	v_dual_sub_nc_u32 v4, v5, v4 :: v_dual_ashrrev_i32 v5, 8, v6
	v_add_nc_u32_e32 v4, 0x3c000000, v4
	s_delay_alu instid0(VALU_DEP_1) | instskip(NEXT) | instid1(VALU_DEP_1)
	v_and_or_b32 v4, 0x7f800000, v5, v4
	v_cndmask_b32_e32 v3, 0, v4, vcc_lo
	s_delay_alu instid0(VALU_DEP_1) | instskip(NEXT) | instid1(VALU_DEP_1)
	v_and_or_b32 v2, 0x80000000, v2, v3
	v_cvt_f64_f32_e32 v[44:45], v2
.LBB11_317:
	s_mov_b32 s1, 0
.LBB11_318:
	s_delay_alu instid0(SALU_CYCLE_1)
	s_and_not1_b32 vcc_lo, exec_lo, s1
	s_cbranch_vccnz .LBB11_320
; %bb.319:
	global_load_u8 v2, v[0:1], off
	s_wait_loadcnt 0x0
	v_lshlrev_b32_e32 v3, 25, v2
	v_lshlrev_b16 v2, 8, v2
	s_delay_alu instid0(VALU_DEP_1) | instskip(SKIP_1) | instid1(VALU_DEP_2)
	v_and_or_b32 v5, 0x7f00, v2, 0.5
	v_bfe_i32 v2, v2, 0, 16
	v_dual_add_f32 v5, -0.5, v5 :: v_dual_lshrrev_b32 v4, 4, v3
	v_cmp_gt_u32_e32 vcc_lo, 0x8000000, v3
	s_delay_alu instid0(VALU_DEP_2) | instskip(NEXT) | instid1(VALU_DEP_1)
	v_or_b32_e32 v4, 0x70000000, v4
	v_mul_f32_e32 v4, 0x7800000, v4
	s_delay_alu instid0(VALU_DEP_1) | instskip(NEXT) | instid1(VALU_DEP_1)
	v_cndmask_b32_e32 v3, v4, v5, vcc_lo
	v_and_or_b32 v2, 0x80000000, v2, v3
	s_delay_alu instid0(VALU_DEP_1)
	v_cvt_f64_f32_e32 v[44:45], v2
.LBB11_320:
	s_mov_b32 s2, 0
	s_mov_b32 s1, -1
.LBB11_321:
	s_and_not1_b32 vcc_lo, exec_lo, s2
	s_cbranch_vccnz .LBB11_334
; %bb.322:
	s_cmp_gt_i32 s0, 14
	s_cbranch_scc0 .LBB11_325
; %bb.323:
	s_cmp_eq_u32 s0, 15
	s_cbranch_scc0 .LBB11_328
; %bb.324:
	global_load_u16 v2, v[0:1], off
	s_mov_b32 s1, -1
	s_mov_b32 s56, 0
	s_wait_loadcnt 0x0
	v_lshlrev_b32_e32 v2, 16, v2
	s_delay_alu instid0(VALU_DEP_1)
	v_cvt_f64_f32_e32 v[44:45], v2
	s_branch .LBB11_329
.LBB11_325:
	s_mov_b32 s2, -1
                                        ; implicit-def: $vgpr44_vgpr45
	s_branch .LBB11_330
.LBB11_326:
	s_or_saveexec_b32 s2, s2
	v_mov_b64_e32 v[44:45], 0x7ff8000020000000
	s_xor_b32 exec_lo, exec_lo, s2
	s_cbranch_execz .LBB11_307
.LBB11_327:
	v_cmp_ne_u16_e32 vcc_lo, 0, v2
	v_mov_b64_e32 v[44:45], 0
	s_and_not1_b32 s1, s1, exec_lo
	s_and_b32 s3, vcc_lo, exec_lo
	s_delay_alu instid0(SALU_CYCLE_1)
	s_or_b32 s1, s1, s3
	s_or_b32 exec_lo, exec_lo, s2
	s_and_saveexec_b32 s2, s1
	s_cbranch_execnz .LBB11_308
	s_branch .LBB11_309
.LBB11_328:
	s_mov_b32 s56, -1
                                        ; implicit-def: $vgpr44_vgpr45
.LBB11_329:
	s_mov_b32 s2, 0
.LBB11_330:
	s_delay_alu instid0(SALU_CYCLE_1)
	s_and_b32 vcc_lo, exec_lo, s2
	s_cbranch_vccz .LBB11_334
; %bb.331:
	s_cmp_eq_u32 s0, 11
	s_cbranch_scc0 .LBB11_333
; %bb.332:
	global_load_u8 v2, v[0:1], off
	v_mov_b32_e32 v44, 0
	s_mov_b32 s56, 0
	s_mov_b32 s1, -1
	s_wait_loadcnt 0x0
	v_cmp_ne_u16_e32 vcc_lo, 0, v2
	v_cndmask_b32_e64 v45, 0, 0x3ff00000, vcc_lo
	s_branch .LBB11_334
.LBB11_333:
	s_mov_b32 s56, -1
                                        ; implicit-def: $vgpr44_vgpr45
.LBB11_334:
	s_branch .LBB11_136
.LBB11_335:
	s_cmp_lt_i32 s0, 5
	s_cbranch_scc1 .LBB11_340
; %bb.336:
	s_cmp_lt_i32 s0, 8
	s_cbranch_scc1 .LBB11_341
; %bb.337:
	;; [unrolled: 3-line block ×3, first 2 shown]
	s_cmp_gt_i32 s0, 9
	s_cbranch_scc0 .LBB11_343
; %bb.339:
	global_load_b64 v[44:45], v[0:1], off
	s_mov_b32 s1, 0
	s_branch .LBB11_344
.LBB11_340:
	s_mov_b32 s1, -1
                                        ; implicit-def: $vgpr44_vgpr45
	s_branch .LBB11_362
.LBB11_341:
	s_mov_b32 s1, -1
                                        ; implicit-def: $vgpr44_vgpr45
	s_branch .LBB11_350
.LBB11_342:
	s_mov_b32 s1, -1
                                        ; implicit-def: $vgpr44_vgpr45
	s_branch .LBB11_347
.LBB11_343:
	s_mov_b32 s1, -1
                                        ; implicit-def: $vgpr44_vgpr45
.LBB11_344:
	s_delay_alu instid0(SALU_CYCLE_1)
	s_and_not1_b32 vcc_lo, exec_lo, s1
	s_cbranch_vccnz .LBB11_346
; %bb.345:
	global_load_b32 v2, v[0:1], off
	s_wait_loadcnt 0x0
	v_cvt_f64_f32_e32 v[44:45], v2
.LBB11_346:
	s_mov_b32 s1, 0
.LBB11_347:
	s_delay_alu instid0(SALU_CYCLE_1)
	s_and_not1_b32 vcc_lo, exec_lo, s1
	s_cbranch_vccnz .LBB11_349
; %bb.348:
	global_load_b32 v2, v[0:1], off
	s_wait_loadcnt 0x0
	v_cvt_f32_f16_e32 v2, v2
	s_delay_alu instid0(VALU_DEP_1)
	v_cvt_f64_f32_e32 v[44:45], v2
.LBB11_349:
	s_mov_b32 s1, 0
.LBB11_350:
	s_delay_alu instid0(SALU_CYCLE_1)
	s_and_not1_b32 vcc_lo, exec_lo, s1
	s_cbranch_vccnz .LBB11_361
; %bb.351:
	s_cmp_lt_i32 s0, 6
	s_cbranch_scc1 .LBB11_354
; %bb.352:
	s_cmp_gt_i32 s0, 6
	s_cbranch_scc0 .LBB11_355
; %bb.353:
	s_wait_loadcnt 0x0
	global_load_b64 v[44:45], v[0:1], off
	s_mov_b32 s1, 0
	s_branch .LBB11_356
.LBB11_354:
	s_mov_b32 s1, -1
                                        ; implicit-def: $vgpr44_vgpr45
	s_branch .LBB11_359
.LBB11_355:
	s_mov_b32 s1, -1
                                        ; implicit-def: $vgpr44_vgpr45
.LBB11_356:
	s_delay_alu instid0(SALU_CYCLE_1)
	s_and_not1_b32 vcc_lo, exec_lo, s1
	s_cbranch_vccnz .LBB11_358
; %bb.357:
	global_load_b32 v2, v[0:1], off
	s_wait_loadcnt 0x0
	v_cvt_f64_f32_e32 v[44:45], v2
.LBB11_358:
	s_mov_b32 s1, 0
.LBB11_359:
	s_delay_alu instid0(SALU_CYCLE_1)
	s_and_not1_b32 vcc_lo, exec_lo, s1
	s_cbranch_vccnz .LBB11_361
; %bb.360:
	global_load_u16 v2, v[0:1], off
	s_wait_loadcnt 0x0
	v_cvt_f32_f16_e32 v2, v2
	s_delay_alu instid0(VALU_DEP_1)
	v_cvt_f64_f32_e32 v[44:45], v2
.LBB11_361:
	s_mov_b32 s1, 0
.LBB11_362:
	s_delay_alu instid0(SALU_CYCLE_1)
	s_and_not1_b32 vcc_lo, exec_lo, s1
	s_cbranch_vccnz .LBB11_382
; %bb.363:
	s_cmp_lt_i32 s0, 2
	s_cbranch_scc1 .LBB11_367
; %bb.364:
	s_cmp_lt_i32 s0, 3
	s_cbranch_scc1 .LBB11_368
; %bb.365:
	s_cmp_gt_i32 s0, 3
	s_cbranch_scc0 .LBB11_369
; %bb.366:
	global_load_b64 v[2:3], v[0:1], off
	s_mov_b32 s1, 0
	s_wait_loadcnt 0x0
	v_cvt_f64_i32_e32 v[4:5], v3
	v_cvt_f64_u32_e32 v[2:3], v2
	s_delay_alu instid0(VALU_DEP_2) | instskip(NEXT) | instid1(VALU_DEP_1)
	v_ldexp_f64 v[4:5], v[4:5], 32
	v_add_f64_e32 v[44:45], v[4:5], v[2:3]
	s_branch .LBB11_370
.LBB11_367:
	s_mov_b32 s1, -1
                                        ; implicit-def: $vgpr44_vgpr45
	s_branch .LBB11_376
.LBB11_368:
	s_mov_b32 s1, -1
                                        ; implicit-def: $vgpr44_vgpr45
	s_branch .LBB11_373
.LBB11_369:
	s_mov_b32 s1, -1
                                        ; implicit-def: $vgpr44_vgpr45
.LBB11_370:
	s_delay_alu instid0(SALU_CYCLE_1)
	s_and_not1_b32 vcc_lo, exec_lo, s1
	s_cbranch_vccnz .LBB11_372
; %bb.371:
	global_load_b32 v2, v[0:1], off
	s_wait_loadcnt 0x0
	v_cvt_f64_i32_e32 v[44:45], v2
.LBB11_372:
	s_mov_b32 s1, 0
.LBB11_373:
	s_delay_alu instid0(SALU_CYCLE_1)
	s_and_not1_b32 vcc_lo, exec_lo, s1
	s_cbranch_vccnz .LBB11_375
; %bb.374:
	global_load_i16 v2, v[0:1], off
	s_wait_loadcnt 0x0
	v_cvt_f64_i32_e32 v[44:45], v2
.LBB11_375:
	s_mov_b32 s1, 0
.LBB11_376:
	s_delay_alu instid0(SALU_CYCLE_1)
	s_and_not1_b32 vcc_lo, exec_lo, s1
	s_cbranch_vccnz .LBB11_382
; %bb.377:
	s_cmp_gt_i32 s0, 0
	s_mov_b32 s0, 0
	s_cbranch_scc0 .LBB11_379
; %bb.378:
	global_load_i8 v2, v[0:1], off
	s_wait_loadcnt 0x0
	v_cvt_f64_i32_e32 v[44:45], v2
	s_branch .LBB11_380
.LBB11_379:
	s_mov_b32 s0, -1
                                        ; implicit-def: $vgpr44_vgpr45
.LBB11_380:
	s_delay_alu instid0(SALU_CYCLE_1)
	s_and_not1_b32 vcc_lo, exec_lo, s0
	s_cbranch_vccnz .LBB11_382
; %bb.381:
	global_load_u8 v0, v[0:1], off
	s_wait_loadcnt 0x0
	v_cvt_f64_u32_e32 v[44:45], v0
.LBB11_382:
	s_branch .LBB11_137
.LBB11_383:
	s_mov_b32 s0, 0
.LBB11_384:
	s_mov_b32 s1, 0
                                        ; implicit-def: $vgpr72
.LBB11_385:
	s_and_b32 s55, s0, exec_lo
	s_and_b32 s56, s56, exec_lo
	;; [unrolled: 1-line block ×3, first 2 shown]
	s_or_not1_b32 s2, s1, exec_lo
.LBB11_386:
	s_wait_xcnt 0x0
	s_or_b32 exec_lo, exec_lo, s58
	s_mov_b32 s3, 0
	s_mov_b32 s1, 0
                                        ; implicit-def: $sgpr0
                                        ; implicit-def: $vgpr0_vgpr1
                                        ; implicit-def: $vgpr42_vgpr43
	s_and_saveexec_b32 s58, s2
	s_cbranch_execz .LBB11_395
; %bb.387:
	s_mov_b32 s1, -1
	s_mov_b32 s59, s57
	s_mov_b32 s61, s56
	s_mov_b32 s60, s55
	s_mov_b32 s62, exec_lo
	v_cmpx_gt_i32_e64 s54, v72
	s_cbranch_execz .LBB11_784
; %bb.388:
	v_mul_lo_u32 v0, v72, s45
	s_and_b32 s0, s51, 0xff
	s_delay_alu instid0(SALU_CYCLE_1) | instskip(NEXT) | instid1(VALU_DEP_1)
	s_cmp_lt_i32 s0, 11
	v_ashrrev_i32_e32 v1, 31, v0
	s_delay_alu instid0(VALU_DEP_1)
	v_add_nc_u64_e32 v[0:1], s[38:39], v[0:1]
	s_cbranch_scc1 .LBB11_398
; %bb.389:
	s_and_b32 s1, 0xffff, s0
	s_delay_alu instid0(SALU_CYCLE_1)
	s_cmp_gt_i32 s1, 25
	s_cbranch_scc0 .LBB11_407
; %bb.390:
	s_cmp_gt_i32 s1, 28
	s_cbranch_scc0 .LBB11_409
; %bb.391:
	;; [unrolled: 3-line block ×4, first 2 shown]
	s_cmp_eq_u32 s1, 46
	s_cbranch_scc0 .LBB11_417
; %bb.394:
	global_load_b32 v2, v[0:1], off
	s_mov_b32 s2, -1
	s_mov_b32 s59, 0
	s_wait_loadcnt 0x0
	v_lshlrev_b32_e32 v2, 16, v2
	s_delay_alu instid0(VALU_DEP_1)
	v_cvt_f64_f32_e32 v[42:43], v2
	s_branch .LBB11_419
.LBB11_395:
	s_or_b32 exec_lo, exec_lo, s58
	s_mov_b32 s54, 0
	s_and_saveexec_b32 s2, s57
	s_cbranch_execnz .LBB11_1265
.LBB11_396:
	s_or_b32 exec_lo, exec_lo, s2
	s_and_saveexec_b32 s2, s59
	s_delay_alu instid0(SALU_CYCLE_1)
	s_xor_b32 s2, exec_lo, s2
	s_cbranch_execz .LBB11_1266
.LBB11_397:
	global_load_u8 v2, v[0:1], off
	s_wait_loadcnt 0x1
	v_mov_b32_e32 v42, 0
	s_or_b32 s1, s1, exec_lo
	s_wait_loadcnt 0x0
	v_cmp_ne_u16_e32 vcc_lo, 0, v2
	v_cndmask_b32_e64 v43, 0, 0x3ff00000, vcc_lo
	s_wait_xcnt 0x0
	s_or_b32 exec_lo, exec_lo, s2
	s_and_saveexec_b32 s2, s3
	s_cbranch_execz .LBB11_1312
	s_branch .LBB11_1267
.LBB11_398:
	s_mov_b32 s2, 0
	s_mov_b32 s59, s57
                                        ; implicit-def: $vgpr42_vgpr43
	s_and_b32 vcc_lo, exec_lo, s1
	s_cbranch_vccnz .LBB11_485
.LBB11_399:
	s_and_not1_b32 vcc_lo, exec_lo, s2
	s_cbranch_vccnz .LBB11_533
.LBB11_400:
	s_wait_xcnt 0x0
	v_mul_lo_u32 v0, v72, s46
	s_and_b32 s0, 0xffff, s49
	s_delay_alu instid0(SALU_CYCLE_1) | instskip(NEXT) | instid1(VALU_DEP_1)
	s_cmp_lt_i32 s0, 11
	v_ashrrev_i32_e32 v1, 31, v0
	s_delay_alu instid0(VALU_DEP_1)
	v_add_nc_u64_e32 v[0:1], s[34:35], v[0:1]
	s_cbranch_scc1 .LBB11_408
; %bb.401:
	s_cmp_gt_i32 s0, 25
	s_cbranch_scc0 .LBB11_410
; %bb.402:
	s_cmp_gt_i32 s0, 28
	s_cbranch_scc0 .LBB11_412
	;; [unrolled: 3-line block ×4, first 2 shown]
; %bb.405:
	s_cmp_eq_u32 s0, 46
	s_mov_b32 s2, 0
	s_cbranch_scc0 .LBB11_536
; %bb.406:
	global_load_b32 v2, v[0:1], off
	s_mov_b32 s1, -1
	s_mov_b32 s61, 0
	s_wait_loadcnt 0x0
	v_lshlrev_b32_e32 v2, 16, v2
	s_delay_alu instid0(VALU_DEP_1)
	v_cvt_f64_f32_e32 v[44:45], v2
	s_branch .LBB11_538
.LBB11_407:
	s_mov_b32 s3, -1
	s_mov_b32 s2, 0
	s_mov_b32 s59, s57
                                        ; implicit-def: $vgpr42_vgpr43
	s_branch .LBB11_449
.LBB11_408:
	s_mov_b32 s2, -1
	s_mov_b32 s1, 0
	s_mov_b32 s61, s56
                                        ; implicit-def: $vgpr44_vgpr45
	s_branch .LBB11_603
.LBB11_409:
	s_mov_b32 s3, -1
	s_mov_b32 s2, 0
	s_mov_b32 s59, s57
                                        ; implicit-def: $vgpr42_vgpr43
	s_branch .LBB11_430
.LBB11_410:
	s_mov_b32 s2, -1
	s_mov_b32 s1, 0
	s_mov_b32 s61, s56
                                        ; implicit-def: $vgpr44_vgpr45
	s_branch .LBB11_567
.LBB11_411:
	s_mov_b32 s3, -1
	s_mov_b32 s2, 0
	s_mov_b32 s59, s57
                                        ; implicit-def: $vgpr42_vgpr43
	s_branch .LBB11_425
.LBB11_412:
	s_mov_b32 s2, -1
	s_mov_b32 s1, 0
	s_mov_b32 s61, s56
                                        ; implicit-def: $vgpr44_vgpr45
	s_branch .LBB11_548
.LBB11_413:
	s_mov_b32 s3, -1
	s_mov_b32 s2, 0
	s_mov_b32 s59, s57
	s_branch .LBB11_418
.LBB11_414:
	s_mov_b32 s2, -1
	s_mov_b32 s1, 0
	s_mov_b32 s61, s56
                                        ; implicit-def: $vgpr44_vgpr45
	s_branch .LBB11_543
.LBB11_415:
	s_and_not1_saveexec_b32 s5, s5
	s_cbranch_execz .LBB11_184
.LBB11_416:
	v_add_f32_e64 v3, 0x46000000, |v2|
	s_and_not1_b32 s4, s4, exec_lo
	s_delay_alu instid0(VALU_DEP_1) | instskip(NEXT) | instid1(VALU_DEP_1)
	v_and_b32_e32 v3, 0xff, v3
	v_cmp_ne_u32_e32 vcc_lo, 0, v3
	s_and_b32 s6, vcc_lo, exec_lo
	s_delay_alu instid0(SALU_CYCLE_1)
	s_or_b32 s4, s4, s6
	s_or_b32 exec_lo, exec_lo, s5
	v_mov_b32_e32 v6, 0
	s_and_saveexec_b32 s5, s4
	s_cbranch_execnz .LBB11_185
	s_branch .LBB11_186
.LBB11_417:
	s_mov_b32 s59, -1
	s_mov_b32 s2, 0
.LBB11_418:
                                        ; implicit-def: $vgpr42_vgpr43
.LBB11_419:
	s_and_b32 vcc_lo, exec_lo, s3
	s_cbranch_vccz .LBB11_424
; %bb.420:
	s_cmp_eq_u32 s1, 44
	s_cbranch_scc0 .LBB11_423
; %bb.421:
	global_load_u8 v4, v[0:1], off
	s_mov_b32 s59, 0
	s_mov_b32 s2, -1
	s_wait_loadcnt 0x0
	v_cmp_ne_u32_e32 vcc_lo, 0xff, v4
	v_lshlrev_b32_e32 v2, 23, v4
	s_delay_alu instid0(VALU_DEP_1) | instskip(NEXT) | instid1(VALU_DEP_1)
	v_cvt_f64_f32_e32 v[2:3], v2
	v_cndmask_b32_e32 v2, 0x20000000, v2, vcc_lo
	s_delay_alu instid0(VALU_DEP_2) | instskip(SKIP_1) | instid1(VALU_DEP_2)
	v_cndmask_b32_e32 v3, 0x7ff80000, v3, vcc_lo
	v_cmp_ne_u32_e32 vcc_lo, 0, v4
	v_cndmask_b32_e32 v43, 0x38000000, v3, vcc_lo
	s_delay_alu instid0(VALU_DEP_4)
	v_cndmask_b32_e32 v42, 0, v2, vcc_lo
	s_branch .LBB11_424
.LBB11_422:
	s_mov_b32 s2, -1
	s_mov_b32 s1, 0
	s_mov_b32 s61, s56
	s_branch .LBB11_537
.LBB11_423:
	s_mov_b32 s59, -1
                                        ; implicit-def: $vgpr42_vgpr43
.LBB11_424:
	s_mov_b32 s3, 0
.LBB11_425:
	s_delay_alu instid0(SALU_CYCLE_1)
	s_and_b32 vcc_lo, exec_lo, s3
	s_cbranch_vccz .LBB11_429
; %bb.426:
	s_cmp_eq_u32 s1, 29
	s_cbranch_scc0 .LBB11_428
; %bb.427:
	global_load_b64 v[2:3], v[0:1], off
	s_mov_b32 s2, -1
	s_mov_b32 s59, 0
	s_mov_b32 s3, 0
	s_wait_loadcnt 0x0
	v_cvt_f64_u32_e32 v[4:5], v3
	v_cvt_f64_u32_e32 v[2:3], v2
	s_delay_alu instid0(VALU_DEP_2) | instskip(NEXT) | instid1(VALU_DEP_1)
	v_ldexp_f64 v[4:5], v[4:5], 32
	v_add_f64_e32 v[42:43], v[4:5], v[2:3]
	s_branch .LBB11_430
.LBB11_428:
	s_mov_b32 s59, -1
                                        ; implicit-def: $vgpr42_vgpr43
.LBB11_429:
	s_mov_b32 s3, 0
.LBB11_430:
	s_delay_alu instid0(SALU_CYCLE_1)
	s_and_b32 vcc_lo, exec_lo, s3
	s_cbranch_vccz .LBB11_448
; %bb.431:
	s_cmp_lt_i32 s1, 27
	s_cbranch_scc1 .LBB11_434
; %bb.432:
	s_cmp_gt_i32 s1, 27
	s_cbranch_scc0 .LBB11_435
; %bb.433:
	global_load_b32 v2, v[0:1], off
	s_mov_b32 s2, 0
	s_wait_loadcnt 0x0
	v_cvt_f64_u32_e32 v[42:43], v2
	s_branch .LBB11_436
.LBB11_434:
	s_mov_b32 s2, -1
                                        ; implicit-def: $vgpr42_vgpr43
	s_branch .LBB11_439
.LBB11_435:
	s_mov_b32 s2, -1
                                        ; implicit-def: $vgpr42_vgpr43
.LBB11_436:
	s_delay_alu instid0(SALU_CYCLE_1)
	s_and_not1_b32 vcc_lo, exec_lo, s2
	s_cbranch_vccnz .LBB11_438
; %bb.437:
	global_load_u16 v2, v[0:1], off
	s_wait_loadcnt 0x0
	v_cvt_f64_u32_e32 v[42:43], v2
.LBB11_438:
	s_mov_b32 s2, 0
.LBB11_439:
	s_delay_alu instid0(SALU_CYCLE_1)
	s_and_not1_b32 vcc_lo, exec_lo, s2
	s_cbranch_vccnz .LBB11_447
; %bb.440:
	global_load_u8 v2, v[0:1], off
	s_mov_b32 s2, 0
	s_mov_b32 s3, exec_lo
	s_wait_loadcnt 0x0
	v_cmpx_lt_i16_e32 0x7f, v2
	s_xor_b32 s3, exec_lo, s3
	s_cbranch_execz .LBB11_461
; %bb.441:
	s_mov_b32 s2, -1
	s_mov_b32 s4, exec_lo
	v_cmpx_eq_u16_e32 0x80, v2
; %bb.442:
	s_xor_b32 s2, exec_lo, -1
; %bb.443:
	s_or_b32 exec_lo, exec_lo, s4
	s_delay_alu instid0(SALU_CYCLE_1)
	s_and_b32 s2, s2, exec_lo
	s_or_saveexec_b32 s3, s3
	v_mov_b64_e32 v[42:43], 0x7ff8000020000000
	s_xor_b32 exec_lo, exec_lo, s3
	s_cbranch_execnz .LBB11_462
.LBB11_444:
	s_or_b32 exec_lo, exec_lo, s3
	s_and_saveexec_b32 s3, s2
	s_cbranch_execz .LBB11_446
.LBB11_445:
	v_and_b32_e32 v3, 0xffff, v2
	s_delay_alu instid0(VALU_DEP_1) | instskip(SKIP_1) | instid1(VALU_DEP_2)
	v_and_b32_e32 v4, 7, v3
	v_bfe_u32 v7, v3, 3, 4
	v_clz_i32_u32_e32 v5, v4
	s_delay_alu instid0(VALU_DEP_2) | instskip(NEXT) | instid1(VALU_DEP_2)
	v_cmp_eq_u32_e32 vcc_lo, 0, v7
	v_min_u32_e32 v5, 32, v5
	s_delay_alu instid0(VALU_DEP_1) | instskip(NEXT) | instid1(VALU_DEP_1)
	v_subrev_nc_u32_e32 v6, 28, v5
	v_dual_lshlrev_b32 v3, v6, v3 :: v_dual_sub_nc_u32 v5, 29, v5
	s_delay_alu instid0(VALU_DEP_1) | instskip(NEXT) | instid1(VALU_DEP_1)
	v_dual_lshlrev_b32 v2, 24, v2 :: v_dual_bitop2_b32 v3, 7, v3 bitop3:0x40
	v_dual_cndmask_b32 v5, v7, v5, vcc_lo :: v_dual_cndmask_b32 v3, v4, v3, vcc_lo
	s_delay_alu instid0(VALU_DEP_2) | instskip(NEXT) | instid1(VALU_DEP_2)
	v_and_b32_e32 v2, 0x80000000, v2
	v_lshl_add_u32 v4, v5, 23, 0x3b800000
	s_delay_alu instid0(VALU_DEP_3) | instskip(NEXT) | instid1(VALU_DEP_1)
	v_lshlrev_b32_e32 v3, 20, v3
	v_or3_b32 v2, v2, v4, v3
	s_delay_alu instid0(VALU_DEP_1)
	v_cvt_f64_f32_e32 v[42:43], v2
.LBB11_446:
	s_or_b32 exec_lo, exec_lo, s3
.LBB11_447:
	s_mov_b32 s2, -1
.LBB11_448:
	s_mov_b32 s3, 0
.LBB11_449:
	s_delay_alu instid0(SALU_CYCLE_1)
	s_and_b32 vcc_lo, exec_lo, s3
	s_cbranch_vccz .LBB11_484
; %bb.450:
	s_cmp_gt_i32 s1, 22
	s_cbranch_scc0 .LBB11_460
; %bb.451:
	s_cmp_lt_i32 s1, 24
	s_cbranch_scc1 .LBB11_463
; %bb.452:
	s_cmp_gt_i32 s1, 24
	s_cbranch_scc0 .LBB11_464
; %bb.453:
	global_load_u8 v2, v[0:1], off
	s_mov_b32 s2, 0
	s_mov_b32 s3, exec_lo
	s_wait_loadcnt 0x0
	v_cmpx_lt_i16_e32 0x7f, v2
	s_xor_b32 s3, exec_lo, s3
	s_cbranch_execz .LBB11_476
; %bb.454:
	s_mov_b32 s2, -1
	s_mov_b32 s4, exec_lo
	v_cmpx_eq_u16_e32 0x80, v2
; %bb.455:
	s_xor_b32 s2, exec_lo, -1
; %bb.456:
	s_or_b32 exec_lo, exec_lo, s4
	s_delay_alu instid0(SALU_CYCLE_1)
	s_and_b32 s2, s2, exec_lo
	s_or_saveexec_b32 s3, s3
	v_mov_b64_e32 v[42:43], 0x7ff8000020000000
	s_xor_b32 exec_lo, exec_lo, s3
	s_cbranch_execnz .LBB11_477
.LBB11_457:
	s_or_b32 exec_lo, exec_lo, s3
	s_and_saveexec_b32 s3, s2
	s_cbranch_execz .LBB11_459
.LBB11_458:
	v_and_b32_e32 v3, 0xffff, v2
	s_delay_alu instid0(VALU_DEP_1) | instskip(SKIP_1) | instid1(VALU_DEP_2)
	v_and_b32_e32 v4, 3, v3
	v_bfe_u32 v7, v3, 2, 5
	v_clz_i32_u32_e32 v5, v4
	s_delay_alu instid0(VALU_DEP_2) | instskip(NEXT) | instid1(VALU_DEP_2)
	v_cmp_eq_u32_e32 vcc_lo, 0, v7
	v_min_u32_e32 v5, 32, v5
	s_delay_alu instid0(VALU_DEP_1) | instskip(NEXT) | instid1(VALU_DEP_1)
	v_subrev_nc_u32_e32 v6, 29, v5
	v_dual_lshlrev_b32 v3, v6, v3 :: v_dual_sub_nc_u32 v5, 30, v5
	s_delay_alu instid0(VALU_DEP_1) | instskip(NEXT) | instid1(VALU_DEP_1)
	v_dual_lshlrev_b32 v2, 24, v2 :: v_dual_bitop2_b32 v3, 3, v3 bitop3:0x40
	v_dual_cndmask_b32 v5, v7, v5, vcc_lo :: v_dual_cndmask_b32 v3, v4, v3, vcc_lo
	s_delay_alu instid0(VALU_DEP_2) | instskip(NEXT) | instid1(VALU_DEP_2)
	v_and_b32_e32 v2, 0x80000000, v2
	v_lshl_add_u32 v4, v5, 23, 0x37800000
	s_delay_alu instid0(VALU_DEP_3) | instskip(NEXT) | instid1(VALU_DEP_1)
	v_lshlrev_b32_e32 v3, 21, v3
	v_or3_b32 v2, v2, v4, v3
	s_delay_alu instid0(VALU_DEP_1)
	v_cvt_f64_f32_e32 v[42:43], v2
.LBB11_459:
	s_or_b32 exec_lo, exec_lo, s3
	s_mov_b32 s2, 0
	s_branch .LBB11_465
.LBB11_460:
	s_mov_b32 s3, -1
                                        ; implicit-def: $vgpr42_vgpr43
	s_branch .LBB11_471
.LBB11_461:
	s_or_saveexec_b32 s3, s3
	v_mov_b64_e32 v[42:43], 0x7ff8000020000000
	s_xor_b32 exec_lo, exec_lo, s3
	s_cbranch_execz .LBB11_444
.LBB11_462:
	v_cmp_ne_u16_e32 vcc_lo, 0, v2
	v_mov_b64_e32 v[42:43], 0
	s_and_not1_b32 s2, s2, exec_lo
	s_and_b32 s4, vcc_lo, exec_lo
	s_delay_alu instid0(SALU_CYCLE_1)
	s_or_b32 s2, s2, s4
	s_or_b32 exec_lo, exec_lo, s3
	s_and_saveexec_b32 s3, s2
	s_cbranch_execnz .LBB11_445
	s_branch .LBB11_446
.LBB11_463:
	s_mov_b32 s2, -1
                                        ; implicit-def: $vgpr42_vgpr43
	s_branch .LBB11_468
.LBB11_464:
	s_mov_b32 s2, -1
                                        ; implicit-def: $vgpr42_vgpr43
.LBB11_465:
	s_delay_alu instid0(SALU_CYCLE_1)
	s_and_b32 vcc_lo, exec_lo, s2
	s_cbranch_vccz .LBB11_467
; %bb.466:
	global_load_u8 v2, v[0:1], off
	s_wait_loadcnt 0x0
	v_lshlrev_b32_e32 v2, 24, v2
	s_delay_alu instid0(VALU_DEP_1) | instskip(NEXT) | instid1(VALU_DEP_1)
	v_and_b32_e32 v3, 0x7f000000, v2
	v_clz_i32_u32_e32 v4, v3
	v_cmp_ne_u32_e32 vcc_lo, 0, v3
	v_add_nc_u32_e32 v6, 0x1000000, v3
	s_delay_alu instid0(VALU_DEP_3) | instskip(NEXT) | instid1(VALU_DEP_1)
	v_min_u32_e32 v4, 32, v4
	v_sub_nc_u32_e64 v4, v4, 4 clamp
	s_delay_alu instid0(VALU_DEP_1) | instskip(NEXT) | instid1(VALU_DEP_1)
	v_dual_lshlrev_b32 v5, v4, v3 :: v_dual_lshlrev_b32 v4, 23, v4
	v_lshrrev_b32_e32 v5, 4, v5
	s_delay_alu instid0(VALU_DEP_1) | instskip(NEXT) | instid1(VALU_DEP_1)
	v_dual_sub_nc_u32 v4, v5, v4 :: v_dual_ashrrev_i32 v5, 8, v6
	v_add_nc_u32_e32 v4, 0x3c000000, v4
	s_delay_alu instid0(VALU_DEP_1) | instskip(NEXT) | instid1(VALU_DEP_1)
	v_and_or_b32 v4, 0x7f800000, v5, v4
	v_cndmask_b32_e32 v3, 0, v4, vcc_lo
	s_delay_alu instid0(VALU_DEP_1) | instskip(NEXT) | instid1(VALU_DEP_1)
	v_and_or_b32 v2, 0x80000000, v2, v3
	v_cvt_f64_f32_e32 v[42:43], v2
.LBB11_467:
	s_mov_b32 s2, 0
.LBB11_468:
	s_delay_alu instid0(SALU_CYCLE_1)
	s_and_not1_b32 vcc_lo, exec_lo, s2
	s_cbranch_vccnz .LBB11_470
; %bb.469:
	global_load_u8 v2, v[0:1], off
	s_wait_loadcnt 0x0
	v_lshlrev_b32_e32 v3, 25, v2
	v_lshlrev_b16 v2, 8, v2
	s_delay_alu instid0(VALU_DEP_1) | instskip(SKIP_1) | instid1(VALU_DEP_2)
	v_and_or_b32 v5, 0x7f00, v2, 0.5
	v_bfe_i32 v2, v2, 0, 16
	v_dual_add_f32 v5, -0.5, v5 :: v_dual_lshrrev_b32 v4, 4, v3
	v_cmp_gt_u32_e32 vcc_lo, 0x8000000, v3
	s_delay_alu instid0(VALU_DEP_2) | instskip(NEXT) | instid1(VALU_DEP_1)
	v_or_b32_e32 v4, 0x70000000, v4
	v_mul_f32_e32 v4, 0x7800000, v4
	s_delay_alu instid0(VALU_DEP_1) | instskip(NEXT) | instid1(VALU_DEP_1)
	v_cndmask_b32_e32 v3, v4, v5, vcc_lo
	v_and_or_b32 v2, 0x80000000, v2, v3
	s_delay_alu instid0(VALU_DEP_1)
	v_cvt_f64_f32_e32 v[42:43], v2
.LBB11_470:
	s_mov_b32 s3, 0
	s_mov_b32 s2, -1
.LBB11_471:
	s_and_not1_b32 vcc_lo, exec_lo, s3
	s_cbranch_vccnz .LBB11_484
; %bb.472:
	s_cmp_gt_i32 s1, 14
	s_cbranch_scc0 .LBB11_475
; %bb.473:
	s_cmp_eq_u32 s1, 15
	s_cbranch_scc0 .LBB11_478
; %bb.474:
	global_load_u16 v2, v[0:1], off
	s_mov_b32 s2, -1
	s_mov_b32 s59, 0
	s_wait_loadcnt 0x0
	v_lshlrev_b32_e32 v2, 16, v2
	s_delay_alu instid0(VALU_DEP_1)
	v_cvt_f64_f32_e32 v[42:43], v2
	s_branch .LBB11_479
.LBB11_475:
	s_mov_b32 s3, -1
                                        ; implicit-def: $vgpr42_vgpr43
	s_branch .LBB11_480
.LBB11_476:
	s_or_saveexec_b32 s3, s3
	v_mov_b64_e32 v[42:43], 0x7ff8000020000000
	s_xor_b32 exec_lo, exec_lo, s3
	s_cbranch_execz .LBB11_457
.LBB11_477:
	v_cmp_ne_u16_e32 vcc_lo, 0, v2
	v_mov_b64_e32 v[42:43], 0
	s_and_not1_b32 s2, s2, exec_lo
	s_and_b32 s4, vcc_lo, exec_lo
	s_delay_alu instid0(SALU_CYCLE_1)
	s_or_b32 s2, s2, s4
	s_or_b32 exec_lo, exec_lo, s3
	s_and_saveexec_b32 s3, s2
	s_cbranch_execnz .LBB11_458
	s_branch .LBB11_459
.LBB11_478:
	s_mov_b32 s59, -1
                                        ; implicit-def: $vgpr42_vgpr43
.LBB11_479:
	s_mov_b32 s3, 0
.LBB11_480:
	s_delay_alu instid0(SALU_CYCLE_1)
	s_and_b32 vcc_lo, exec_lo, s3
	s_cbranch_vccz .LBB11_484
; %bb.481:
	s_cmp_eq_u32 s1, 11
	s_cbranch_scc0 .LBB11_483
; %bb.482:
	global_load_u8 v2, v[0:1], off
	s_wait_loadcnt 0x1
	v_mov_b32_e32 v42, 0
	s_mov_b32 s59, 0
	s_mov_b32 s2, -1
	s_wait_loadcnt 0x0
	v_cmp_ne_u16_e32 vcc_lo, 0, v2
	v_cndmask_b32_e64 v43, 0, 0x3ff00000, vcc_lo
	s_branch .LBB11_484
.LBB11_483:
	s_mov_b32 s59, -1
                                        ; implicit-def: $vgpr42_vgpr43
.LBB11_484:
	s_branch .LBB11_399
.LBB11_485:
	s_and_b32 s0, 0xffff, s0
	s_delay_alu instid0(SALU_CYCLE_1)
	s_cmp_lt_i32 s0, 5
	s_cbranch_scc1 .LBB11_490
; %bb.486:
	s_cmp_lt_i32 s0, 8
	s_cbranch_scc1 .LBB11_491
; %bb.487:
	;; [unrolled: 3-line block ×3, first 2 shown]
	s_cmp_gt_i32 s0, 9
	s_cbranch_scc0 .LBB11_493
; %bb.489:
	s_wait_loadcnt 0x0
	global_load_b64 v[42:43], v[0:1], off
	s_mov_b32 s1, 0
	s_branch .LBB11_494
.LBB11_490:
	s_mov_b32 s1, -1
                                        ; implicit-def: $vgpr42_vgpr43
	s_branch .LBB11_512
.LBB11_491:
	s_mov_b32 s1, -1
                                        ; implicit-def: $vgpr42_vgpr43
	s_branch .LBB11_500
.LBB11_492:
	s_mov_b32 s1, -1
                                        ; implicit-def: $vgpr42_vgpr43
	s_branch .LBB11_497
.LBB11_493:
	s_mov_b32 s1, -1
                                        ; implicit-def: $vgpr42_vgpr43
.LBB11_494:
	s_delay_alu instid0(SALU_CYCLE_1)
	s_and_not1_b32 vcc_lo, exec_lo, s1
	s_cbranch_vccnz .LBB11_496
; %bb.495:
	global_load_b32 v2, v[0:1], off
	s_wait_loadcnt 0x0
	v_cvt_f64_f32_e32 v[42:43], v2
.LBB11_496:
	s_mov_b32 s1, 0
.LBB11_497:
	s_delay_alu instid0(SALU_CYCLE_1)
	s_and_not1_b32 vcc_lo, exec_lo, s1
	s_cbranch_vccnz .LBB11_499
; %bb.498:
	global_load_b32 v2, v[0:1], off
	s_wait_loadcnt 0x0
	v_cvt_f32_f16_e32 v2, v2
	s_delay_alu instid0(VALU_DEP_1)
	v_cvt_f64_f32_e32 v[42:43], v2
.LBB11_499:
	s_mov_b32 s1, 0
.LBB11_500:
	s_delay_alu instid0(SALU_CYCLE_1)
	s_and_not1_b32 vcc_lo, exec_lo, s1
	s_cbranch_vccnz .LBB11_511
; %bb.501:
	s_cmp_lt_i32 s0, 6
	s_cbranch_scc1 .LBB11_504
; %bb.502:
	s_cmp_gt_i32 s0, 6
	s_cbranch_scc0 .LBB11_505
; %bb.503:
	s_wait_loadcnt 0x0
	global_load_b64 v[42:43], v[0:1], off
	s_mov_b32 s1, 0
	s_branch .LBB11_506
.LBB11_504:
	s_mov_b32 s1, -1
                                        ; implicit-def: $vgpr42_vgpr43
	s_branch .LBB11_509
.LBB11_505:
	s_mov_b32 s1, -1
                                        ; implicit-def: $vgpr42_vgpr43
.LBB11_506:
	s_delay_alu instid0(SALU_CYCLE_1)
	s_and_not1_b32 vcc_lo, exec_lo, s1
	s_cbranch_vccnz .LBB11_508
; %bb.507:
	global_load_b32 v2, v[0:1], off
	s_wait_loadcnt 0x0
	v_cvt_f64_f32_e32 v[42:43], v2
.LBB11_508:
	s_mov_b32 s1, 0
.LBB11_509:
	s_delay_alu instid0(SALU_CYCLE_1)
	s_and_not1_b32 vcc_lo, exec_lo, s1
	s_cbranch_vccnz .LBB11_511
; %bb.510:
	global_load_u16 v2, v[0:1], off
	s_wait_loadcnt 0x0
	v_cvt_f32_f16_e32 v2, v2
	s_delay_alu instid0(VALU_DEP_1)
	v_cvt_f64_f32_e32 v[42:43], v2
.LBB11_511:
	s_mov_b32 s1, 0
.LBB11_512:
	s_delay_alu instid0(SALU_CYCLE_1)
	s_and_not1_b32 vcc_lo, exec_lo, s1
	s_cbranch_vccnz .LBB11_532
; %bb.513:
	s_cmp_lt_i32 s0, 2
	s_cbranch_scc1 .LBB11_517
; %bb.514:
	s_cmp_lt_i32 s0, 3
	s_cbranch_scc1 .LBB11_518
; %bb.515:
	s_cmp_gt_i32 s0, 3
	s_cbranch_scc0 .LBB11_519
; %bb.516:
	global_load_b64 v[2:3], v[0:1], off
	s_mov_b32 s1, 0
	s_wait_loadcnt 0x0
	v_cvt_f64_i32_e32 v[4:5], v3
	v_cvt_f64_u32_e32 v[2:3], v2
	s_delay_alu instid0(VALU_DEP_2) | instskip(NEXT) | instid1(VALU_DEP_1)
	v_ldexp_f64 v[4:5], v[4:5], 32
	v_add_f64_e32 v[42:43], v[4:5], v[2:3]
	s_branch .LBB11_520
.LBB11_517:
	s_mov_b32 s1, -1
                                        ; implicit-def: $vgpr42_vgpr43
	s_branch .LBB11_526
.LBB11_518:
	s_mov_b32 s1, -1
                                        ; implicit-def: $vgpr42_vgpr43
	s_branch .LBB11_523
.LBB11_519:
	s_mov_b32 s1, -1
                                        ; implicit-def: $vgpr42_vgpr43
.LBB11_520:
	s_delay_alu instid0(SALU_CYCLE_1)
	s_and_not1_b32 vcc_lo, exec_lo, s1
	s_cbranch_vccnz .LBB11_522
; %bb.521:
	global_load_b32 v2, v[0:1], off
	s_wait_loadcnt 0x0
	v_cvt_f64_i32_e32 v[42:43], v2
.LBB11_522:
	s_mov_b32 s1, 0
.LBB11_523:
	s_delay_alu instid0(SALU_CYCLE_1)
	s_and_not1_b32 vcc_lo, exec_lo, s1
	s_cbranch_vccnz .LBB11_525
; %bb.524:
	global_load_i16 v2, v[0:1], off
	s_wait_loadcnt 0x0
	v_cvt_f64_i32_e32 v[42:43], v2
.LBB11_525:
	s_mov_b32 s1, 0
.LBB11_526:
	s_delay_alu instid0(SALU_CYCLE_1)
	s_and_not1_b32 vcc_lo, exec_lo, s1
	s_cbranch_vccnz .LBB11_532
; %bb.527:
	s_cmp_gt_i32 s0, 0
	s_mov_b32 s0, 0
	s_cbranch_scc0 .LBB11_529
; %bb.528:
	global_load_i8 v2, v[0:1], off
	s_wait_loadcnt 0x0
	v_cvt_f64_i32_e32 v[42:43], v2
	s_branch .LBB11_530
.LBB11_529:
	s_mov_b32 s0, -1
                                        ; implicit-def: $vgpr42_vgpr43
.LBB11_530:
	s_delay_alu instid0(SALU_CYCLE_1)
	s_and_not1_b32 vcc_lo, exec_lo, s0
	s_cbranch_vccnz .LBB11_532
; %bb.531:
	global_load_u8 v0, v[0:1], off
	s_wait_loadcnt 0x0
	v_cvt_f64_u32_e32 v[42:43], v0
.LBB11_532:
	s_branch .LBB11_400
.LBB11_533:
	s_mov_b32 s1, 0
	s_mov_b32 s0, s55
	;; [unrolled: 1-line block ×3, first 2 shown]
	s_branch .LBB11_782
.LBB11_534:
	s_and_not1_saveexec_b32 s5, s5
	s_cbranch_execz .LBB11_197
.LBB11_535:
	v_add_f32_e64 v3, 0x42800000, |v2|
	s_and_not1_b32 s4, s4, exec_lo
	s_delay_alu instid0(VALU_DEP_1) | instskip(NEXT) | instid1(VALU_DEP_1)
	v_and_b32_e32 v3, 0xff, v3
	v_cmp_ne_u32_e32 vcc_lo, 0, v3
	s_and_b32 s6, vcc_lo, exec_lo
	s_delay_alu instid0(SALU_CYCLE_1)
	s_or_b32 s4, s4, s6
	s_or_b32 exec_lo, exec_lo, s5
	v_mov_b32_e32 v6, 0
	s_and_saveexec_b32 s5, s4
	s_cbranch_execnz .LBB11_198
	s_branch .LBB11_199
.LBB11_536:
	s_mov_b32 s61, -1
	s_mov_b32 s1, 0
.LBB11_537:
                                        ; implicit-def: $vgpr44_vgpr45
.LBB11_538:
	s_and_b32 vcc_lo, exec_lo, s2
	s_cbranch_vccz .LBB11_542
; %bb.539:
	s_cmp_eq_u32 s0, 44
	s_cbranch_scc0 .LBB11_541
; %bb.540:
	global_load_u8 v4, v[0:1], off
	s_mov_b32 s61, 0
	s_mov_b32 s1, -1
	s_wait_loadcnt 0x0
	v_cmp_ne_u32_e32 vcc_lo, 0xff, v4
	v_lshlrev_b32_e32 v2, 23, v4
	s_delay_alu instid0(VALU_DEP_1) | instskip(NEXT) | instid1(VALU_DEP_1)
	v_cvt_f64_f32_e32 v[2:3], v2
	v_cndmask_b32_e32 v2, 0x20000000, v2, vcc_lo
	s_delay_alu instid0(VALU_DEP_2) | instskip(SKIP_1) | instid1(VALU_DEP_2)
	v_cndmask_b32_e32 v3, 0x7ff80000, v3, vcc_lo
	v_cmp_ne_u32_e32 vcc_lo, 0, v4
	v_cndmask_b32_e32 v45, 0x38000000, v3, vcc_lo
	s_delay_alu instid0(VALU_DEP_4)
	v_cndmask_b32_e32 v44, 0, v2, vcc_lo
	s_branch .LBB11_542
.LBB11_541:
	s_mov_b32 s61, -1
                                        ; implicit-def: $vgpr44_vgpr45
.LBB11_542:
	s_mov_b32 s2, 0
.LBB11_543:
	s_delay_alu instid0(SALU_CYCLE_1)
	s_and_b32 vcc_lo, exec_lo, s2
	s_cbranch_vccz .LBB11_547
; %bb.544:
	s_cmp_eq_u32 s0, 29
	s_cbranch_scc0 .LBB11_546
; %bb.545:
	global_load_b64 v[2:3], v[0:1], off
	s_mov_b32 s1, -1
	s_mov_b32 s61, 0
	s_mov_b32 s2, 0
	s_wait_loadcnt 0x0
	v_cvt_f64_u32_e32 v[4:5], v3
	v_cvt_f64_u32_e32 v[2:3], v2
	s_delay_alu instid0(VALU_DEP_2) | instskip(NEXT) | instid1(VALU_DEP_1)
	v_ldexp_f64 v[4:5], v[4:5], 32
	v_add_f64_e32 v[44:45], v[4:5], v[2:3]
	s_branch .LBB11_548
.LBB11_546:
	s_mov_b32 s61, -1
                                        ; implicit-def: $vgpr44_vgpr45
.LBB11_547:
	s_mov_b32 s2, 0
.LBB11_548:
	s_delay_alu instid0(SALU_CYCLE_1)
	s_and_b32 vcc_lo, exec_lo, s2
	s_cbranch_vccz .LBB11_566
; %bb.549:
	s_cmp_lt_i32 s0, 27
	s_cbranch_scc1 .LBB11_552
; %bb.550:
	s_cmp_gt_i32 s0, 27
	s_cbranch_scc0 .LBB11_553
; %bb.551:
	global_load_b32 v2, v[0:1], off
	s_mov_b32 s1, 0
	s_wait_loadcnt 0x0
	v_cvt_f64_u32_e32 v[44:45], v2
	s_branch .LBB11_554
.LBB11_552:
	s_mov_b32 s1, -1
                                        ; implicit-def: $vgpr44_vgpr45
	s_branch .LBB11_557
.LBB11_553:
	s_mov_b32 s1, -1
                                        ; implicit-def: $vgpr44_vgpr45
.LBB11_554:
	s_delay_alu instid0(SALU_CYCLE_1)
	s_and_not1_b32 vcc_lo, exec_lo, s1
	s_cbranch_vccnz .LBB11_556
; %bb.555:
	global_load_u16 v2, v[0:1], off
	s_wait_loadcnt 0x0
	v_cvt_f64_u32_e32 v[44:45], v2
.LBB11_556:
	s_mov_b32 s1, 0
.LBB11_557:
	s_delay_alu instid0(SALU_CYCLE_1)
	s_and_not1_b32 vcc_lo, exec_lo, s1
	s_cbranch_vccnz .LBB11_565
; %bb.558:
	global_load_u8 v2, v[0:1], off
	s_mov_b32 s1, 0
	s_mov_b32 s2, exec_lo
	s_wait_loadcnt 0x0
	v_cmpx_lt_i16_e32 0x7f, v2
	s_xor_b32 s2, exec_lo, s2
	s_cbranch_execz .LBB11_579
; %bb.559:
	s_mov_b32 s1, -1
	s_mov_b32 s3, exec_lo
	v_cmpx_eq_u16_e32 0x80, v2
; %bb.560:
	s_xor_b32 s1, exec_lo, -1
; %bb.561:
	s_or_b32 exec_lo, exec_lo, s3
	s_delay_alu instid0(SALU_CYCLE_1)
	s_and_b32 s1, s1, exec_lo
	s_or_saveexec_b32 s2, s2
	v_mov_b64_e32 v[44:45], 0x7ff8000020000000
	s_xor_b32 exec_lo, exec_lo, s2
	s_cbranch_execnz .LBB11_580
.LBB11_562:
	s_or_b32 exec_lo, exec_lo, s2
	s_and_saveexec_b32 s2, s1
	s_cbranch_execz .LBB11_564
.LBB11_563:
	v_and_b32_e32 v3, 0xffff, v2
	s_delay_alu instid0(VALU_DEP_1) | instskip(SKIP_1) | instid1(VALU_DEP_2)
	v_and_b32_e32 v4, 7, v3
	v_bfe_u32 v7, v3, 3, 4
	v_clz_i32_u32_e32 v5, v4
	s_delay_alu instid0(VALU_DEP_2) | instskip(NEXT) | instid1(VALU_DEP_2)
	v_cmp_eq_u32_e32 vcc_lo, 0, v7
	v_min_u32_e32 v5, 32, v5
	s_delay_alu instid0(VALU_DEP_1) | instskip(NEXT) | instid1(VALU_DEP_1)
	v_subrev_nc_u32_e32 v6, 28, v5
	v_dual_lshlrev_b32 v3, v6, v3 :: v_dual_sub_nc_u32 v5, 29, v5
	s_delay_alu instid0(VALU_DEP_1) | instskip(NEXT) | instid1(VALU_DEP_1)
	v_dual_lshlrev_b32 v2, 24, v2 :: v_dual_bitop2_b32 v3, 7, v3 bitop3:0x40
	v_dual_cndmask_b32 v5, v7, v5, vcc_lo :: v_dual_cndmask_b32 v3, v4, v3, vcc_lo
	s_delay_alu instid0(VALU_DEP_2) | instskip(NEXT) | instid1(VALU_DEP_2)
	v_and_b32_e32 v2, 0x80000000, v2
	v_lshl_add_u32 v4, v5, 23, 0x3b800000
	s_delay_alu instid0(VALU_DEP_3) | instskip(NEXT) | instid1(VALU_DEP_1)
	v_lshlrev_b32_e32 v3, 20, v3
	v_or3_b32 v2, v2, v4, v3
	s_delay_alu instid0(VALU_DEP_1)
	v_cvt_f64_f32_e32 v[44:45], v2
.LBB11_564:
	s_or_b32 exec_lo, exec_lo, s2
.LBB11_565:
	s_mov_b32 s1, -1
.LBB11_566:
	s_mov_b32 s2, 0
.LBB11_567:
	s_delay_alu instid0(SALU_CYCLE_1)
	s_and_b32 vcc_lo, exec_lo, s2
	s_cbranch_vccz .LBB11_602
; %bb.568:
	s_cmp_gt_i32 s0, 22
	s_cbranch_scc0 .LBB11_578
; %bb.569:
	s_cmp_lt_i32 s0, 24
	s_cbranch_scc1 .LBB11_581
; %bb.570:
	s_cmp_gt_i32 s0, 24
	s_cbranch_scc0 .LBB11_582
; %bb.571:
	global_load_u8 v2, v[0:1], off
	s_mov_b32 s1, 0
	s_mov_b32 s2, exec_lo
	s_wait_loadcnt 0x0
	v_cmpx_lt_i16_e32 0x7f, v2
	s_xor_b32 s2, exec_lo, s2
	s_cbranch_execz .LBB11_594
; %bb.572:
	s_mov_b32 s1, -1
	s_mov_b32 s3, exec_lo
	v_cmpx_eq_u16_e32 0x80, v2
; %bb.573:
	s_xor_b32 s1, exec_lo, -1
; %bb.574:
	s_or_b32 exec_lo, exec_lo, s3
	s_delay_alu instid0(SALU_CYCLE_1)
	s_and_b32 s1, s1, exec_lo
	s_or_saveexec_b32 s2, s2
	v_mov_b64_e32 v[44:45], 0x7ff8000020000000
	s_xor_b32 exec_lo, exec_lo, s2
	s_cbranch_execnz .LBB11_595
.LBB11_575:
	s_or_b32 exec_lo, exec_lo, s2
	s_and_saveexec_b32 s2, s1
	s_cbranch_execz .LBB11_577
.LBB11_576:
	v_and_b32_e32 v3, 0xffff, v2
	s_delay_alu instid0(VALU_DEP_1) | instskip(SKIP_1) | instid1(VALU_DEP_2)
	v_and_b32_e32 v4, 3, v3
	v_bfe_u32 v7, v3, 2, 5
	v_clz_i32_u32_e32 v5, v4
	s_delay_alu instid0(VALU_DEP_2) | instskip(NEXT) | instid1(VALU_DEP_2)
	v_cmp_eq_u32_e32 vcc_lo, 0, v7
	v_min_u32_e32 v5, 32, v5
	s_delay_alu instid0(VALU_DEP_1) | instskip(NEXT) | instid1(VALU_DEP_1)
	v_subrev_nc_u32_e32 v6, 29, v5
	v_dual_lshlrev_b32 v3, v6, v3 :: v_dual_sub_nc_u32 v5, 30, v5
	s_delay_alu instid0(VALU_DEP_1) | instskip(NEXT) | instid1(VALU_DEP_1)
	v_dual_lshlrev_b32 v2, 24, v2 :: v_dual_bitop2_b32 v3, 3, v3 bitop3:0x40
	v_dual_cndmask_b32 v5, v7, v5, vcc_lo :: v_dual_cndmask_b32 v3, v4, v3, vcc_lo
	s_delay_alu instid0(VALU_DEP_2) | instskip(NEXT) | instid1(VALU_DEP_2)
	v_and_b32_e32 v2, 0x80000000, v2
	v_lshl_add_u32 v4, v5, 23, 0x37800000
	s_delay_alu instid0(VALU_DEP_3) | instskip(NEXT) | instid1(VALU_DEP_1)
	v_lshlrev_b32_e32 v3, 21, v3
	v_or3_b32 v2, v2, v4, v3
	s_delay_alu instid0(VALU_DEP_1)
	v_cvt_f64_f32_e32 v[44:45], v2
.LBB11_577:
	s_or_b32 exec_lo, exec_lo, s2
	s_mov_b32 s1, 0
	s_branch .LBB11_583
.LBB11_578:
	s_mov_b32 s2, -1
                                        ; implicit-def: $vgpr44_vgpr45
	s_branch .LBB11_589
.LBB11_579:
	s_or_saveexec_b32 s2, s2
	v_mov_b64_e32 v[44:45], 0x7ff8000020000000
	s_xor_b32 exec_lo, exec_lo, s2
	s_cbranch_execz .LBB11_562
.LBB11_580:
	v_cmp_ne_u16_e32 vcc_lo, 0, v2
	v_mov_b64_e32 v[44:45], 0
	s_and_not1_b32 s1, s1, exec_lo
	s_and_b32 s3, vcc_lo, exec_lo
	s_delay_alu instid0(SALU_CYCLE_1)
	s_or_b32 s1, s1, s3
	s_or_b32 exec_lo, exec_lo, s2
	s_and_saveexec_b32 s2, s1
	s_cbranch_execnz .LBB11_563
	s_branch .LBB11_564
.LBB11_581:
	s_mov_b32 s1, -1
                                        ; implicit-def: $vgpr44_vgpr45
	s_branch .LBB11_586
.LBB11_582:
	s_mov_b32 s1, -1
                                        ; implicit-def: $vgpr44_vgpr45
.LBB11_583:
	s_delay_alu instid0(SALU_CYCLE_1)
	s_and_b32 vcc_lo, exec_lo, s1
	s_cbranch_vccz .LBB11_585
; %bb.584:
	global_load_u8 v2, v[0:1], off
	s_wait_loadcnt 0x0
	v_lshlrev_b32_e32 v2, 24, v2
	s_delay_alu instid0(VALU_DEP_1) | instskip(NEXT) | instid1(VALU_DEP_1)
	v_and_b32_e32 v3, 0x7f000000, v2
	v_clz_i32_u32_e32 v4, v3
	v_cmp_ne_u32_e32 vcc_lo, 0, v3
	v_add_nc_u32_e32 v6, 0x1000000, v3
	s_delay_alu instid0(VALU_DEP_3) | instskip(NEXT) | instid1(VALU_DEP_1)
	v_min_u32_e32 v4, 32, v4
	v_sub_nc_u32_e64 v4, v4, 4 clamp
	s_delay_alu instid0(VALU_DEP_1) | instskip(NEXT) | instid1(VALU_DEP_1)
	v_dual_lshlrev_b32 v5, v4, v3 :: v_dual_lshlrev_b32 v4, 23, v4
	v_lshrrev_b32_e32 v5, 4, v5
	s_delay_alu instid0(VALU_DEP_1) | instskip(NEXT) | instid1(VALU_DEP_1)
	v_dual_sub_nc_u32 v4, v5, v4 :: v_dual_ashrrev_i32 v5, 8, v6
	v_add_nc_u32_e32 v4, 0x3c000000, v4
	s_delay_alu instid0(VALU_DEP_1) | instskip(NEXT) | instid1(VALU_DEP_1)
	v_and_or_b32 v4, 0x7f800000, v5, v4
	v_cndmask_b32_e32 v3, 0, v4, vcc_lo
	s_delay_alu instid0(VALU_DEP_1) | instskip(NEXT) | instid1(VALU_DEP_1)
	v_and_or_b32 v2, 0x80000000, v2, v3
	v_cvt_f64_f32_e32 v[44:45], v2
.LBB11_585:
	s_mov_b32 s1, 0
.LBB11_586:
	s_delay_alu instid0(SALU_CYCLE_1)
	s_and_not1_b32 vcc_lo, exec_lo, s1
	s_cbranch_vccnz .LBB11_588
; %bb.587:
	global_load_u8 v2, v[0:1], off
	s_wait_loadcnt 0x0
	v_lshlrev_b32_e32 v3, 25, v2
	v_lshlrev_b16 v2, 8, v2
	s_delay_alu instid0(VALU_DEP_1) | instskip(SKIP_1) | instid1(VALU_DEP_2)
	v_and_or_b32 v5, 0x7f00, v2, 0.5
	v_bfe_i32 v2, v2, 0, 16
	v_dual_add_f32 v5, -0.5, v5 :: v_dual_lshrrev_b32 v4, 4, v3
	v_cmp_gt_u32_e32 vcc_lo, 0x8000000, v3
	s_delay_alu instid0(VALU_DEP_2) | instskip(NEXT) | instid1(VALU_DEP_1)
	v_or_b32_e32 v4, 0x70000000, v4
	v_mul_f32_e32 v4, 0x7800000, v4
	s_delay_alu instid0(VALU_DEP_1) | instskip(NEXT) | instid1(VALU_DEP_1)
	v_cndmask_b32_e32 v3, v4, v5, vcc_lo
	v_and_or_b32 v2, 0x80000000, v2, v3
	s_delay_alu instid0(VALU_DEP_1)
	v_cvt_f64_f32_e32 v[44:45], v2
.LBB11_588:
	s_mov_b32 s2, 0
	s_mov_b32 s1, -1
.LBB11_589:
	s_and_not1_b32 vcc_lo, exec_lo, s2
	s_cbranch_vccnz .LBB11_602
; %bb.590:
	s_cmp_gt_i32 s0, 14
	s_cbranch_scc0 .LBB11_593
; %bb.591:
	s_cmp_eq_u32 s0, 15
	s_cbranch_scc0 .LBB11_596
; %bb.592:
	global_load_u16 v2, v[0:1], off
	s_mov_b32 s1, -1
	s_mov_b32 s61, 0
	s_wait_loadcnt 0x0
	v_lshlrev_b32_e32 v2, 16, v2
	s_delay_alu instid0(VALU_DEP_1)
	v_cvt_f64_f32_e32 v[44:45], v2
	s_branch .LBB11_597
.LBB11_593:
	s_mov_b32 s2, -1
                                        ; implicit-def: $vgpr44_vgpr45
	s_branch .LBB11_598
.LBB11_594:
	s_or_saveexec_b32 s2, s2
	v_mov_b64_e32 v[44:45], 0x7ff8000020000000
	s_xor_b32 exec_lo, exec_lo, s2
	s_cbranch_execz .LBB11_575
.LBB11_595:
	v_cmp_ne_u16_e32 vcc_lo, 0, v2
	v_mov_b64_e32 v[44:45], 0
	s_and_not1_b32 s1, s1, exec_lo
	s_and_b32 s3, vcc_lo, exec_lo
	s_delay_alu instid0(SALU_CYCLE_1)
	s_or_b32 s1, s1, s3
	s_or_b32 exec_lo, exec_lo, s2
	s_and_saveexec_b32 s2, s1
	s_cbranch_execnz .LBB11_576
	s_branch .LBB11_577
.LBB11_596:
	s_mov_b32 s61, -1
                                        ; implicit-def: $vgpr44_vgpr45
.LBB11_597:
	s_mov_b32 s2, 0
.LBB11_598:
	s_delay_alu instid0(SALU_CYCLE_1)
	s_and_b32 vcc_lo, exec_lo, s2
	s_cbranch_vccz .LBB11_602
; %bb.599:
	s_cmp_eq_u32 s0, 11
	s_cbranch_scc0 .LBB11_601
; %bb.600:
	global_load_u8 v2, v[0:1], off
	s_wait_loadcnt 0x1
	v_mov_b32_e32 v44, 0
	s_mov_b32 s61, 0
	s_mov_b32 s1, -1
	s_wait_loadcnt 0x0
	v_cmp_ne_u16_e32 vcc_lo, 0, v2
	v_cndmask_b32_e64 v45, 0, 0x3ff00000, vcc_lo
	s_branch .LBB11_602
.LBB11_601:
	s_mov_b32 s61, -1
                                        ; implicit-def: $vgpr44_vgpr45
.LBB11_602:
	s_mov_b32 s2, 0
.LBB11_603:
	s_delay_alu instid0(SALU_CYCLE_1)
	s_and_b32 vcc_lo, exec_lo, s2
	s_cbranch_vccz .LBB11_652
; %bb.604:
	s_cmp_lt_i32 s0, 5
	s_cbranch_scc1 .LBB11_609
; %bb.605:
	s_cmp_lt_i32 s0, 8
	s_cbranch_scc1 .LBB11_610
	;; [unrolled: 3-line block ×3, first 2 shown]
; %bb.607:
	s_cmp_gt_i32 s0, 9
	s_cbranch_scc0 .LBB11_612
; %bb.608:
	s_wait_loadcnt 0x0
	global_load_b64 v[44:45], v[0:1], off
	s_mov_b32 s1, 0
	s_branch .LBB11_613
.LBB11_609:
	s_mov_b32 s1, -1
                                        ; implicit-def: $vgpr44_vgpr45
	s_branch .LBB11_631
.LBB11_610:
	s_mov_b32 s1, -1
                                        ; implicit-def: $vgpr44_vgpr45
	s_branch .LBB11_619
.LBB11_611:
	s_mov_b32 s1, -1
                                        ; implicit-def: $vgpr44_vgpr45
	s_branch .LBB11_616
.LBB11_612:
	s_mov_b32 s1, -1
                                        ; implicit-def: $vgpr44_vgpr45
.LBB11_613:
	s_delay_alu instid0(SALU_CYCLE_1)
	s_and_not1_b32 vcc_lo, exec_lo, s1
	s_cbranch_vccnz .LBB11_615
; %bb.614:
	global_load_b32 v2, v[0:1], off
	s_wait_loadcnt 0x0
	v_cvt_f64_f32_e32 v[44:45], v2
.LBB11_615:
	s_mov_b32 s1, 0
.LBB11_616:
	s_delay_alu instid0(SALU_CYCLE_1)
	s_and_not1_b32 vcc_lo, exec_lo, s1
	s_cbranch_vccnz .LBB11_618
; %bb.617:
	global_load_b32 v2, v[0:1], off
	s_wait_loadcnt 0x0
	v_cvt_f32_f16_e32 v2, v2
	s_delay_alu instid0(VALU_DEP_1)
	v_cvt_f64_f32_e32 v[44:45], v2
.LBB11_618:
	s_mov_b32 s1, 0
.LBB11_619:
	s_delay_alu instid0(SALU_CYCLE_1)
	s_and_not1_b32 vcc_lo, exec_lo, s1
	s_cbranch_vccnz .LBB11_630
; %bb.620:
	s_cmp_lt_i32 s0, 6
	s_cbranch_scc1 .LBB11_623
; %bb.621:
	s_cmp_gt_i32 s0, 6
	s_cbranch_scc0 .LBB11_624
; %bb.622:
	s_wait_loadcnt 0x0
	global_load_b64 v[44:45], v[0:1], off
	s_mov_b32 s1, 0
	s_branch .LBB11_625
.LBB11_623:
	s_mov_b32 s1, -1
                                        ; implicit-def: $vgpr44_vgpr45
	s_branch .LBB11_628
.LBB11_624:
	s_mov_b32 s1, -1
                                        ; implicit-def: $vgpr44_vgpr45
.LBB11_625:
	s_delay_alu instid0(SALU_CYCLE_1)
	s_and_not1_b32 vcc_lo, exec_lo, s1
	s_cbranch_vccnz .LBB11_627
; %bb.626:
	global_load_b32 v2, v[0:1], off
	s_wait_loadcnt 0x0
	v_cvt_f64_f32_e32 v[44:45], v2
.LBB11_627:
	s_mov_b32 s1, 0
.LBB11_628:
	s_delay_alu instid0(SALU_CYCLE_1)
	s_and_not1_b32 vcc_lo, exec_lo, s1
	s_cbranch_vccnz .LBB11_630
; %bb.629:
	global_load_u16 v2, v[0:1], off
	s_wait_loadcnt 0x0
	v_cvt_f32_f16_e32 v2, v2
	s_delay_alu instid0(VALU_DEP_1)
	v_cvt_f64_f32_e32 v[44:45], v2
.LBB11_630:
	s_mov_b32 s1, 0
.LBB11_631:
	s_delay_alu instid0(SALU_CYCLE_1)
	s_and_not1_b32 vcc_lo, exec_lo, s1
	s_cbranch_vccnz .LBB11_651
; %bb.632:
	s_cmp_lt_i32 s0, 2
	s_cbranch_scc1 .LBB11_636
; %bb.633:
	s_cmp_lt_i32 s0, 3
	s_cbranch_scc1 .LBB11_637
; %bb.634:
	s_cmp_gt_i32 s0, 3
	s_cbranch_scc0 .LBB11_638
; %bb.635:
	global_load_b64 v[2:3], v[0:1], off
	s_mov_b32 s1, 0
	s_wait_loadcnt 0x0
	v_cvt_f64_i32_e32 v[4:5], v3
	v_cvt_f64_u32_e32 v[2:3], v2
	s_delay_alu instid0(VALU_DEP_2) | instskip(NEXT) | instid1(VALU_DEP_1)
	v_ldexp_f64 v[4:5], v[4:5], 32
	v_add_f64_e32 v[44:45], v[4:5], v[2:3]
	s_branch .LBB11_639
.LBB11_636:
	s_mov_b32 s1, -1
                                        ; implicit-def: $vgpr44_vgpr45
	s_branch .LBB11_645
.LBB11_637:
	s_mov_b32 s1, -1
                                        ; implicit-def: $vgpr44_vgpr45
	s_branch .LBB11_642
.LBB11_638:
	s_mov_b32 s1, -1
                                        ; implicit-def: $vgpr44_vgpr45
.LBB11_639:
	s_delay_alu instid0(SALU_CYCLE_1)
	s_and_not1_b32 vcc_lo, exec_lo, s1
	s_cbranch_vccnz .LBB11_641
; %bb.640:
	global_load_b32 v2, v[0:1], off
	s_wait_loadcnt 0x0
	v_cvt_f64_i32_e32 v[44:45], v2
.LBB11_641:
	s_mov_b32 s1, 0
.LBB11_642:
	s_delay_alu instid0(SALU_CYCLE_1)
	s_and_not1_b32 vcc_lo, exec_lo, s1
	s_cbranch_vccnz .LBB11_644
; %bb.643:
	global_load_i16 v2, v[0:1], off
	s_wait_loadcnt 0x0
	v_cvt_f64_i32_e32 v[44:45], v2
.LBB11_644:
	s_mov_b32 s1, 0
.LBB11_645:
	s_delay_alu instid0(SALU_CYCLE_1)
	s_and_not1_b32 vcc_lo, exec_lo, s1
	s_cbranch_vccnz .LBB11_651
; %bb.646:
	s_cmp_gt_i32 s0, 0
	s_mov_b32 s0, 0
	s_cbranch_scc0 .LBB11_648
; %bb.647:
	global_load_i8 v2, v[0:1], off
	s_wait_loadcnt 0x0
	v_cvt_f64_i32_e32 v[44:45], v2
	s_branch .LBB11_649
.LBB11_648:
	s_mov_b32 s0, -1
                                        ; implicit-def: $vgpr44_vgpr45
.LBB11_649:
	s_delay_alu instid0(SALU_CYCLE_1)
	s_and_not1_b32 vcc_lo, exec_lo, s0
	s_cbranch_vccnz .LBB11_651
; %bb.650:
	global_load_u8 v0, v[0:1], off
	s_wait_loadcnt 0x0
	v_cvt_f64_u32_e32 v[44:45], v0
.LBB11_651:
	s_mov_b32 s1, -1
.LBB11_652:
	s_delay_alu instid0(SALU_CYCLE_1)
	s_and_not1_b32 vcc_lo, exec_lo, s1
	s_cbranch_vccnz .LBB11_655
; %bb.653:
	s_and_not1_b32 vcc_lo, exec_lo, s53
	s_cbranch_vccnz .LBB11_656
; %bb.654:
	s_wait_loadcnt 0x0
	s_delay_alu instid0(VALU_DEP_4) | instskip(NEXT) | instid1(VALU_DEP_2)
	v_dual_mov_b32 v0, v42 :: v_dual_mov_b32 v1, v43
	v_dual_mov_b32 v2, v44 :: v_dual_mov_b32 v3, v45
	s_get_pc_i64 s[0:1]
	s_add_nc_u64 s[0:1], s[0:1], _ZN12_GLOBAL__N_111calc_igammaIdEET_S1_S1_@rel64+4
	s_delay_alu instid0(SALU_CYCLE_1)
	s_swap_pc_i64 s[30:31], s[0:1]
	s_mov_b32 s0, 0
	s_branch .LBB11_657
.LBB11_655:
	s_mov_b32 s1, 0
	s_mov_b32 s0, s55
	s_branch .LBB11_782
.LBB11_656:
	s_mov_b32 s0, -1
                                        ; implicit-def: $vgpr0_vgpr1
.LBB11_657:
	s_delay_alu instid0(SALU_CYCLE_1)
	s_and_not1_b32 vcc_lo, exec_lo, s0
	s_cbranch_vccnz .LBB11_659
; %bb.658:
	s_wait_loadcnt 0x0
	s_delay_alu instid0(VALU_DEP_4) | instskip(NEXT) | instid1(VALU_DEP_2)
	v_dual_mov_b32 v0, v42 :: v_dual_mov_b32 v1, v43
	v_dual_mov_b32 v2, v44 :: v_dual_mov_b32 v3, v45
	s_get_pc_i64 s[0:1]
	s_add_nc_u64 s[0:1], s[0:1], _ZN12_GLOBAL__N_112calc_igammacIdEET_S1_S1_@rel64+4
	s_delay_alu instid0(SALU_CYCLE_1)
	s_swap_pc_i64 s[30:31], s[0:1]
.LBB11_659:
	v_mul_lo_u32 v2, v72, s44
	s_and_b32 s1, s48, 0xff
	s_delay_alu instid0(SALU_CYCLE_1) | instskip(NEXT) | instid1(VALU_DEP_1)
	s_cmp_lt_i32 s1, 11
	v_ashrrev_i32_e32 v3, 31, v2
	s_delay_alu instid0(VALU_DEP_1)
	v_add_nc_u64_e32 v[4:5], s[36:37], v[2:3]
	s_cbranch_scc1 .LBB11_666
; %bb.660:
	s_and_b32 s2, 0xffff, s1
	s_delay_alu instid0(SALU_CYCLE_1)
	s_cmp_gt_i32 s2, 25
	s_cbranch_scc0 .LBB11_667
; %bb.661:
	s_cmp_gt_i32 s2, 28
	s_cbranch_scc0 .LBB11_668
; %bb.662:
	;; [unrolled: 3-line block ×4, first 2 shown]
	s_mov_b32 s4, 0
	s_mov_b32 s0, -1
	s_cmp_eq_u32 s2, 46
	s_mov_b32 s3, 0
	s_cbranch_scc0 .LBB11_671
; %bb.665:
	v_cvt_f32_f64_e32 v2, v[0:1]
	s_mov_b32 s3, -1
	s_mov_b32 s0, 0
	s_delay_alu instid0(VALU_DEP_1) | instskip(SKIP_1) | instid1(VALU_DEP_2)
	v_bfe_u32 v3, v2, 16, 1
	v_cmp_o_f32_e32 vcc_lo, v2, v2
	v_add3_u32 v3, v2, v3, 0x7fff
	s_delay_alu instid0(VALU_DEP_1) | instskip(NEXT) | instid1(VALU_DEP_1)
	v_lshrrev_b32_e32 v3, 16, v3
	v_cndmask_b32_e32 v2, 0x7fc0, v3, vcc_lo
	global_store_b32 v[4:5], v2, off
	s_branch .LBB11_671
.LBB11_666:
	s_mov_b32 s2, -1
	s_mov_b32 s3, 0
	s_mov_b32 s0, s55
	s_branch .LBB11_740
.LBB11_667:
	s_mov_b32 s4, -1
	s_mov_b32 s3, 0
	s_mov_b32 s0, s55
	s_branch .LBB11_698
.LBB11_668:
	s_mov_b32 s4, -1
	s_mov_b32 s3, 0
	s_mov_b32 s0, s55
	s_branch .LBB11_681
.LBB11_669:
	s_mov_b32 s4, -1
	s_mov_b32 s3, 0
	s_mov_b32 s0, s55
	s_branch .LBB11_677
.LBB11_670:
	s_mov_b32 s4, -1
	s_mov_b32 s3, 0
	s_mov_b32 s0, s55
.LBB11_671:
	s_and_b32 vcc_lo, exec_lo, s4
	s_cbranch_vccz .LBB11_676
; %bb.672:
	s_cmp_eq_u32 s2, 44
	s_mov_b32 s0, -1
	s_cbranch_scc0 .LBB11_676
; %bb.673:
	s_wait_xcnt 0x0
	v_cvt_f32_f64_e32 v2, v[0:1]
	v_mov_b32_e32 v3, 0xff
	s_mov_b32 s3, exec_lo
	s_delay_alu instid0(VALU_DEP_2) | instskip(NEXT) | instid1(VALU_DEP_1)
	v_bfe_u32 v6, v2, 23, 8
	v_cmpx_ne_u32_e32 0xff, v6
	s_cbranch_execz .LBB11_675
; %bb.674:
	v_and_b32_e32 v3, 0x400000, v2
	v_and_or_b32 v6, 0x3fffff, v2, v6
	v_lshrrev_b32_e32 v2, 23, v2
	s_delay_alu instid0(VALU_DEP_3) | instskip(NEXT) | instid1(VALU_DEP_3)
	v_cmp_ne_u32_e32 vcc_lo, 0, v3
	v_cmp_ne_u32_e64 s0, 0, v6
	s_and_b32 s0, vcc_lo, s0
	s_delay_alu instid0(SALU_CYCLE_1) | instskip(NEXT) | instid1(VALU_DEP_1)
	v_cndmask_b32_e64 v3, 0, 1, s0
	v_add_nc_u32_e32 v3, v2, v3
.LBB11_675:
	s_or_b32 exec_lo, exec_lo, s3
	s_mov_b32 s3, -1
	s_mov_b32 s0, 0
	global_store_b8 v[4:5], v3, off
.LBB11_676:
	s_mov_b32 s4, 0
.LBB11_677:
	s_delay_alu instid0(SALU_CYCLE_1)
	s_and_b32 vcc_lo, exec_lo, s4
	s_cbranch_vccz .LBB11_680
; %bb.678:
	s_cmp_eq_u32 s2, 29
	s_mov_b32 s0, -1
	s_cbranch_scc0 .LBB11_680
; %bb.679:
	s_wait_xcnt 0x0
	v_trunc_f64_e32 v[2:3], v[0:1]
	s_mov_b32 s3, -1
	s_mov_b32 s0, 0
	s_mov_b32 s4, 0
	s_delay_alu instid0(VALU_DEP_1) | instskip(NEXT) | instid1(VALU_DEP_1)
	v_ldexp_f64 v[6:7], v[2:3], 0xffffffe0
	v_floor_f64_e32 v[6:7], v[6:7]
	s_delay_alu instid0(VALU_DEP_1) | instskip(SKIP_1) | instid1(VALU_DEP_2)
	v_fmamk_f64 v[2:3], v[6:7], 0xc1f00000, v[2:3]
	v_cvt_u32_f64_e32 v7, v[6:7]
	v_cvt_u32_f64_e32 v6, v[2:3]
	global_store_b64 v[4:5], v[6:7], off
	s_branch .LBB11_681
.LBB11_680:
	s_mov_b32 s4, 0
.LBB11_681:
	s_delay_alu instid0(SALU_CYCLE_1)
	s_and_b32 vcc_lo, exec_lo, s4
	s_cbranch_vccz .LBB11_697
; %bb.682:
	s_cmp_lt_i32 s2, 27
	s_mov_b32 s3, -1
	s_cbranch_scc1 .LBB11_688
; %bb.683:
	s_wait_xcnt 0x0
	v_cvt_u32_f64_e32 v2, v[0:1]
	s_cmp_gt_i32 s2, 27
	s_cbranch_scc0 .LBB11_685
; %bb.684:
	s_mov_b32 s3, 0
	global_store_b32 v[4:5], v2, off
.LBB11_685:
	s_and_not1_b32 vcc_lo, exec_lo, s3
	s_cbranch_vccnz .LBB11_687
; %bb.686:
	global_store_b16 v[4:5], v2, off
.LBB11_687:
	s_mov_b32 s3, 0
.LBB11_688:
	s_delay_alu instid0(SALU_CYCLE_1)
	s_and_not1_b32 vcc_lo, exec_lo, s3
	s_cbranch_vccnz .LBB11_696
; %bb.689:
	s_wait_xcnt 0x0
	v_cvt_f32_f64_e32 v2, v[0:1]
	v_mov_b32_e32 v6, 0x80
	s_mov_b32 s3, exec_lo
	s_delay_alu instid0(VALU_DEP_2) | instskip(NEXT) | instid1(VALU_DEP_1)
	v_and_b32_e32 v3, 0x7fffffff, v2
	v_cmpx_gt_u32_e32 0x43800000, v3
	s_cbranch_execz .LBB11_695
; %bb.690:
	v_cmp_lt_u32_e32 vcc_lo, 0x3bffffff, v3
	s_mov_b32 s4, 0
                                        ; implicit-def: $vgpr3
	s_and_saveexec_b32 s5, vcc_lo
	s_delay_alu instid0(SALU_CYCLE_1)
	s_xor_b32 s5, exec_lo, s5
	s_cbranch_execz .LBB11_798
; %bb.691:
	v_bfe_u32 v3, v2, 20, 1
	s_mov_b32 s4, exec_lo
	s_delay_alu instid0(VALU_DEP_1) | instskip(NEXT) | instid1(VALU_DEP_1)
	v_add3_u32 v3, v2, v3, 0x487ffff
	v_lshrrev_b32_e32 v3, 20, v3
	s_and_not1_saveexec_b32 s5, s5
	s_cbranch_execnz .LBB11_799
.LBB11_692:
	s_or_b32 exec_lo, exec_lo, s5
	v_mov_b32_e32 v6, 0
	s_and_saveexec_b32 s5, s4
.LBB11_693:
	v_lshrrev_b32_e32 v2, 24, v2
	s_delay_alu instid0(VALU_DEP_1)
	v_and_or_b32 v6, 0x80, v2, v3
.LBB11_694:
	s_or_b32 exec_lo, exec_lo, s5
.LBB11_695:
	s_delay_alu instid0(SALU_CYCLE_1)
	s_or_b32 exec_lo, exec_lo, s3
	global_store_b8 v[4:5], v6, off
.LBB11_696:
	s_mov_b32 s3, -1
.LBB11_697:
	s_mov_b32 s4, 0
.LBB11_698:
	s_delay_alu instid0(SALU_CYCLE_1)
	s_and_b32 vcc_lo, exec_lo, s4
	s_cbranch_vccz .LBB11_739
; %bb.699:
	s_cmp_gt_i32 s2, 22
	s_mov_b32 s4, -1
	s_cbranch_scc0 .LBB11_731
; %bb.700:
	s_cmp_lt_i32 s2, 24
	s_mov_b32 s3, -1
	s_cbranch_scc1 .LBB11_720
; %bb.701:
	s_cmp_gt_i32 s2, 24
	s_cbranch_scc0 .LBB11_709
; %bb.702:
	s_wait_xcnt 0x0
	v_cvt_f32_f64_e32 v2, v[0:1]
	v_mov_b32_e32 v6, 0x80
	s_mov_b32 s3, exec_lo
	s_delay_alu instid0(VALU_DEP_2) | instskip(NEXT) | instid1(VALU_DEP_1)
	v_and_b32_e32 v3, 0x7fffffff, v2
	v_cmpx_gt_u32_e32 0x47800000, v3
	s_cbranch_execz .LBB11_708
; %bb.703:
	v_cmp_lt_u32_e32 vcc_lo, 0x37ffffff, v3
	s_mov_b32 s4, 0
                                        ; implicit-def: $vgpr3
	s_and_saveexec_b32 s5, vcc_lo
	s_delay_alu instid0(SALU_CYCLE_1)
	s_xor_b32 s5, exec_lo, s5
	s_cbranch_execz .LBB11_930
; %bb.704:
	v_bfe_u32 v3, v2, 21, 1
	s_mov_b32 s4, exec_lo
	s_delay_alu instid0(VALU_DEP_1) | instskip(NEXT) | instid1(VALU_DEP_1)
	v_add3_u32 v3, v2, v3, 0x88fffff
	v_lshrrev_b32_e32 v3, 21, v3
	s_and_not1_saveexec_b32 s5, s5
	s_cbranch_execnz .LBB11_931
.LBB11_705:
	s_or_b32 exec_lo, exec_lo, s5
	v_mov_b32_e32 v6, 0
	s_and_saveexec_b32 s5, s4
.LBB11_706:
	v_lshrrev_b32_e32 v2, 24, v2
	s_delay_alu instid0(VALU_DEP_1)
	v_and_or_b32 v6, 0x80, v2, v3
.LBB11_707:
	s_or_b32 exec_lo, exec_lo, s5
.LBB11_708:
	s_delay_alu instid0(SALU_CYCLE_1)
	s_or_b32 exec_lo, exec_lo, s3
	s_mov_b32 s3, 0
	global_store_b8 v[4:5], v6, off
.LBB11_709:
	s_and_b32 vcc_lo, exec_lo, s3
	s_cbranch_vccz .LBB11_719
; %bb.710:
	s_wait_xcnt 0x0
	v_cvt_f32_f64_e32 v2, v[0:1]
	s_mov_b32 s3, exec_lo
                                        ; implicit-def: $vgpr3
	s_delay_alu instid0(VALU_DEP_1) | instskip(NEXT) | instid1(VALU_DEP_1)
	v_and_b32_e32 v6, 0x7fffffff, v2
	v_cmpx_gt_u32_e32 0x43f00000, v6
	s_xor_b32 s3, exec_lo, s3
	s_cbranch_execz .LBB11_716
; %bb.711:
	s_mov_b32 s4, exec_lo
                                        ; implicit-def: $vgpr3
	v_cmpx_lt_u32_e32 0x3c7fffff, v6
	s_xor_b32 s4, exec_lo, s4
; %bb.712:
	v_bfe_u32 v3, v2, 20, 1
	s_delay_alu instid0(VALU_DEP_1) | instskip(NEXT) | instid1(VALU_DEP_1)
	v_add3_u32 v3, v2, v3, 0x407ffff
	v_and_b32_e32 v6, 0xff00000, v3
	v_lshrrev_b32_e32 v3, 20, v3
	s_delay_alu instid0(VALU_DEP_2) | instskip(NEXT) | instid1(VALU_DEP_2)
	v_cmp_ne_u32_e32 vcc_lo, 0x7f00000, v6
	v_cndmask_b32_e32 v3, 0x7e, v3, vcc_lo
; %bb.713:
	s_and_not1_saveexec_b32 s4, s4
; %bb.714:
	v_add_f32_e64 v3, 0x46800000, |v2|
; %bb.715:
	s_or_b32 exec_lo, exec_lo, s4
                                        ; implicit-def: $vgpr6
.LBB11_716:
	s_and_not1_saveexec_b32 s3, s3
; %bb.717:
	v_mov_b32_e32 v3, 0x7f
	v_cmp_lt_u32_e32 vcc_lo, 0x7f800000, v6
	s_delay_alu instid0(VALU_DEP_2)
	v_cndmask_b32_e32 v3, 0x7e, v3, vcc_lo
; %bb.718:
	s_or_b32 exec_lo, exec_lo, s3
	v_lshrrev_b32_e32 v2, 24, v2
	s_delay_alu instid0(VALU_DEP_1)
	v_and_or_b32 v2, 0x80, v2, v3
	global_store_b8 v[4:5], v2, off
.LBB11_719:
	s_mov_b32 s3, 0
.LBB11_720:
	s_delay_alu instid0(SALU_CYCLE_1)
	s_and_not1_b32 vcc_lo, exec_lo, s3
	s_cbranch_vccnz .LBB11_730
; %bb.721:
	s_wait_xcnt 0x0
	v_cvt_f32_f64_e32 v2, v[0:1]
	s_mov_b32 s3, exec_lo
                                        ; implicit-def: $vgpr3
	s_delay_alu instid0(VALU_DEP_1) | instskip(NEXT) | instid1(VALU_DEP_1)
	v_and_b32_e32 v6, 0x7fffffff, v2
	v_cmpx_gt_u32_e32 0x47800000, v6
	s_xor_b32 s3, exec_lo, s3
	s_cbranch_execz .LBB11_727
; %bb.722:
	s_mov_b32 s4, exec_lo
                                        ; implicit-def: $vgpr3
	v_cmpx_lt_u32_e32 0x387fffff, v6
	s_xor_b32 s4, exec_lo, s4
; %bb.723:
	v_bfe_u32 v3, v2, 21, 1
	s_delay_alu instid0(VALU_DEP_1) | instskip(NEXT) | instid1(VALU_DEP_1)
	v_add3_u32 v3, v2, v3, 0x80fffff
	v_lshrrev_b32_e32 v3, 21, v3
; %bb.724:
	s_and_not1_saveexec_b32 s4, s4
; %bb.725:
	v_add_f32_e64 v3, 0x43000000, |v2|
; %bb.726:
	s_or_b32 exec_lo, exec_lo, s4
                                        ; implicit-def: $vgpr6
.LBB11_727:
	s_and_not1_saveexec_b32 s3, s3
; %bb.728:
	v_mov_b32_e32 v3, 0x7f
	v_cmp_lt_u32_e32 vcc_lo, 0x7f800000, v6
	s_delay_alu instid0(VALU_DEP_2)
	v_cndmask_b32_e32 v3, 0x7c, v3, vcc_lo
; %bb.729:
	s_or_b32 exec_lo, exec_lo, s3
	v_lshrrev_b32_e32 v2, 24, v2
	s_delay_alu instid0(VALU_DEP_1)
	v_and_or_b32 v2, 0x80, v2, v3
	global_store_b8 v[4:5], v2, off
.LBB11_730:
	s_mov_b32 s4, 0
	s_mov_b32 s3, -1
.LBB11_731:
	s_and_not1_b32 vcc_lo, exec_lo, s4
	s_cbranch_vccnz .LBB11_739
; %bb.732:
	s_cmp_gt_i32 s2, 14
	s_mov_b32 s4, -1
	s_cbranch_scc0 .LBB11_736
; %bb.733:
	s_cmp_eq_u32 s2, 15
	s_mov_b32 s0, -1
	s_cbranch_scc0 .LBB11_735
; %bb.734:
	s_wait_xcnt 0x0
	v_cvt_f32_f64_e32 v2, v[0:1]
	s_mov_b32 s3, -1
	s_mov_b32 s0, 0
	s_delay_alu instid0(VALU_DEP_1) | instskip(SKIP_1) | instid1(VALU_DEP_2)
	v_bfe_u32 v3, v2, 16, 1
	v_cmp_o_f32_e32 vcc_lo, v2, v2
	v_add3_u32 v3, v2, v3, 0x7fff
	s_delay_alu instid0(VALU_DEP_1) | instskip(NEXT) | instid1(VALU_DEP_1)
	v_lshrrev_b32_e32 v3, 16, v3
	v_cndmask_b32_e32 v2, 0x7fc0, v3, vcc_lo
	global_store_b16 v[4:5], v2, off
.LBB11_735:
	s_mov_b32 s4, 0
.LBB11_736:
	s_delay_alu instid0(SALU_CYCLE_1)
	s_and_b32 vcc_lo, exec_lo, s4
	s_cbranch_vccz .LBB11_739
; %bb.737:
	s_cmp_eq_u32 s2, 11
	s_mov_b32 s0, -1
	s_cbranch_scc0 .LBB11_739
; %bb.738:
	v_cmp_neq_f64_e32 vcc_lo, 0, v[0:1]
	s_mov_b32 s3, -1
	s_mov_b32 s0, 0
	s_wait_xcnt 0x0
	v_cndmask_b32_e64 v2, 0, 1, vcc_lo
	global_store_b8 v[4:5], v2, off
.LBB11_739:
	s_mov_b32 s2, 0
.LBB11_740:
	s_delay_alu instid0(SALU_CYCLE_1)
	s_and_b32 vcc_lo, exec_lo, s2
	s_cbranch_vccz .LBB11_779
; %bb.741:
	s_and_b32 s1, 0xffff, s1
	s_mov_b32 s2, -1
	s_cmp_lt_i32 s1, 5
	s_cbranch_scc1 .LBB11_762
; %bb.742:
	s_cmp_lt_i32 s1, 8
	s_cbranch_scc1 .LBB11_752
; %bb.743:
	s_cmp_lt_i32 s1, 9
	s_cbranch_scc1 .LBB11_749
; %bb.744:
	s_cmp_gt_i32 s1, 9
	s_cbranch_scc0 .LBB11_746
; %bb.745:
	s_wait_xcnt 0x0
	v_mov_b32_e32 v2, 0
	s_mov_b32 s2, 0
	s_delay_alu instid0(VALU_DEP_1)
	v_mov_b32_e32 v3, v2
	global_store_b128 v[4:5], v[0:3], off
.LBB11_746:
	s_and_not1_b32 vcc_lo, exec_lo, s2
	s_cbranch_vccnz .LBB11_748
; %bb.747:
	s_wait_xcnt 0x0
	v_cvt_f32_f64_e32 v2, v[0:1]
	v_mov_b32_e32 v3, 0
	global_store_b64 v[4:5], v[2:3], off
.LBB11_748:
	s_mov_b32 s2, 0
.LBB11_749:
	s_delay_alu instid0(SALU_CYCLE_1)
	s_and_not1_b32 vcc_lo, exec_lo, s2
	s_cbranch_vccnz .LBB11_751
; %bb.750:
	s_wait_xcnt 0x0
	v_and_or_b32 v2, 0x1ff, v1, v0
	v_lshrrev_b32_e32 v3, 8, v1
	v_bfe_u32 v6, v1, 20, 11
	s_delay_alu instid0(VALU_DEP_3) | instskip(NEXT) | instid1(VALU_DEP_2)
	v_cmp_ne_u32_e32 vcc_lo, 0, v2
	v_sub_nc_u32_e32 v7, 0x3f1, v6
	v_cndmask_b32_e64 v2, 0, 1, vcc_lo
	s_delay_alu instid0(VALU_DEP_1) | instskip(NEXT) | instid1(VALU_DEP_3)
	v_and_or_b32 v2, 0xffe, v3, v2
	v_med3_i32 v3, v7, 0, 13
	s_delay_alu instid0(VALU_DEP_2) | instskip(NEXT) | instid1(VALU_DEP_1)
	v_or_b32_e32 v7, 0x1000, v2
	v_lshrrev_b32_e32 v8, v3, v7
	s_delay_alu instid0(VALU_DEP_1) | instskip(NEXT) | instid1(VALU_DEP_1)
	v_lshlrev_b32_e32 v3, v3, v8
	v_cmp_ne_u32_e32 vcc_lo, v3, v7
	v_cndmask_b32_e64 v3, 0, 1, vcc_lo
	s_delay_alu instid0(VALU_DEP_1) | instskip(SKIP_1) | instid1(VALU_DEP_1)
	v_or_b32_e32 v3, v8, v3
	v_add_nc_u32_e32 v6, 0xfffffc10, v6
	v_lshl_or_b32 v7, v6, 12, v2
	v_cmp_gt_i32_e32 vcc_lo, 1, v6
	s_delay_alu instid0(VALU_DEP_2) | instskip(NEXT) | instid1(VALU_DEP_1)
	v_cndmask_b32_e32 v3, v7, v3, vcc_lo
	v_dual_lshrrev_b32 v3, 2, v3 :: v_dual_bitop2_b32 v7, 7, v3 bitop3:0x40
	s_delay_alu instid0(VALU_DEP_1) | instskip(SKIP_4) | instid1(VALU_DEP_2)
	v_cmp_lt_i32_e32 vcc_lo, 5, v7
	v_cndmask_b32_e64 v8, 0, 1, vcc_lo
	v_cmp_eq_u32_e32 vcc_lo, 3, v7
	v_cndmask_b32_e64 v7, 0, 1, vcc_lo
	v_cmp_ne_u32_e32 vcc_lo, 0, v2
	v_or_b32_e32 v7, v7, v8
	s_delay_alu instid0(VALU_DEP_1) | instskip(NEXT) | instid1(VALU_DEP_1)
	v_dual_mov_b32 v8, 0x7e00 :: v_dual_add_nc_u32 v3, v3, v7
	v_cndmask_b32_e32 v2, 0x7c00, v8, vcc_lo
	v_cmp_gt_i32_e32 vcc_lo, 31, v6
	v_lshrrev_b32_e32 v7, 16, v1
	s_delay_alu instid0(VALU_DEP_4) | instskip(SKIP_1) | instid1(VALU_DEP_2)
	v_cndmask_b32_e32 v3, 0x7c00, v3, vcc_lo
	v_cmp_eq_u32_e32 vcc_lo, 0x40f, v6
	v_cndmask_b32_e32 v2, v3, v2, vcc_lo
	s_delay_alu instid0(VALU_DEP_4) | instskip(NEXT) | instid1(VALU_DEP_1)
	v_and_b32_e32 v3, 0x8000, v7
	v_bitop3_b32 v2, v3, 0xffff, v2 bitop3:0xc8
	global_store_b32 v[4:5], v2, off
.LBB11_751:
	s_mov_b32 s2, 0
.LBB11_752:
	s_delay_alu instid0(SALU_CYCLE_1)
	s_and_not1_b32 vcc_lo, exec_lo, s2
	s_cbranch_vccnz .LBB11_761
; %bb.753:
	s_cmp_lt_i32 s1, 6
	s_mov_b32 s2, -1
	s_cbranch_scc1 .LBB11_759
; %bb.754:
	s_cmp_gt_i32 s1, 6
	s_cbranch_scc0 .LBB11_756
; %bb.755:
	s_mov_b32 s2, 0
	global_store_b64 v[4:5], v[0:1], off
.LBB11_756:
	s_and_not1_b32 vcc_lo, exec_lo, s2
	s_cbranch_vccnz .LBB11_758
; %bb.757:
	s_wait_xcnt 0x0
	v_cvt_f32_f64_e32 v2, v[0:1]
	global_store_b32 v[4:5], v2, off
.LBB11_758:
	s_mov_b32 s2, 0
.LBB11_759:
	s_delay_alu instid0(SALU_CYCLE_1)
	s_and_not1_b32 vcc_lo, exec_lo, s2
	s_cbranch_vccnz .LBB11_761
; %bb.760:
	s_wait_xcnt 0x0
	v_and_or_b32 v2, 0x1ff, v1, v0
	v_lshrrev_b32_e32 v3, 8, v1
	v_bfe_u32 v6, v1, 20, 11
	s_delay_alu instid0(VALU_DEP_3) | instskip(NEXT) | instid1(VALU_DEP_2)
	v_cmp_ne_u32_e32 vcc_lo, 0, v2
	v_sub_nc_u32_e32 v7, 0x3f1, v6
	v_cndmask_b32_e64 v2, 0, 1, vcc_lo
	s_delay_alu instid0(VALU_DEP_1) | instskip(NEXT) | instid1(VALU_DEP_3)
	v_and_or_b32 v2, 0xffe, v3, v2
	v_med3_i32 v3, v7, 0, 13
	s_delay_alu instid0(VALU_DEP_2) | instskip(NEXT) | instid1(VALU_DEP_1)
	v_or_b32_e32 v7, 0x1000, v2
	v_lshrrev_b32_e32 v8, v3, v7
	s_delay_alu instid0(VALU_DEP_1) | instskip(NEXT) | instid1(VALU_DEP_1)
	v_lshlrev_b32_e32 v3, v3, v8
	v_cmp_ne_u32_e32 vcc_lo, v3, v7
	v_cndmask_b32_e64 v3, 0, 1, vcc_lo
	s_delay_alu instid0(VALU_DEP_1) | instskip(SKIP_1) | instid1(VALU_DEP_1)
	v_or_b32_e32 v3, v8, v3
	v_add_nc_u32_e32 v6, 0xfffffc10, v6
	v_lshl_or_b32 v7, v6, 12, v2
	v_cmp_gt_i32_e32 vcc_lo, 1, v6
	s_delay_alu instid0(VALU_DEP_2) | instskip(NEXT) | instid1(VALU_DEP_1)
	v_cndmask_b32_e32 v3, v7, v3, vcc_lo
	v_dual_lshrrev_b32 v3, 2, v3 :: v_dual_bitop2_b32 v7, 7, v3 bitop3:0x40
	s_delay_alu instid0(VALU_DEP_1) | instskip(SKIP_4) | instid1(VALU_DEP_2)
	v_cmp_lt_i32_e32 vcc_lo, 5, v7
	v_cndmask_b32_e64 v8, 0, 1, vcc_lo
	v_cmp_eq_u32_e32 vcc_lo, 3, v7
	v_cndmask_b32_e64 v7, 0, 1, vcc_lo
	v_cmp_ne_u32_e32 vcc_lo, 0, v2
	v_or_b32_e32 v7, v7, v8
	s_delay_alu instid0(VALU_DEP_1) | instskip(NEXT) | instid1(VALU_DEP_1)
	v_dual_mov_b32 v8, 0x7e00 :: v_dual_add_nc_u32 v3, v3, v7
	v_cndmask_b32_e32 v2, 0x7c00, v8, vcc_lo
	v_cmp_gt_i32_e32 vcc_lo, 31, v6
	s_delay_alu instid0(VALU_DEP_3) | instskip(SKIP_1) | instid1(VALU_DEP_2)
	v_cndmask_b32_e32 v3, 0x7c00, v3, vcc_lo
	v_cmp_eq_u32_e32 vcc_lo, 0x40f, v6
	v_dual_cndmask_b32 v2, v3, v2 :: v_dual_lshrrev_b32 v3, 16, v1
	s_delay_alu instid0(VALU_DEP_1)
	v_and_or_b32 v2, 0x8000, v3, v2
	global_store_b16 v[4:5], v2, off
.LBB11_761:
	s_mov_b32 s2, 0
.LBB11_762:
	s_delay_alu instid0(SALU_CYCLE_1)
	s_and_not1_b32 vcc_lo, exec_lo, s2
	s_cbranch_vccnz .LBB11_778
; %bb.763:
	s_cmp_lt_i32 s1, 2
	s_mov_b32 s2, -1
	s_cbranch_scc1 .LBB11_773
; %bb.764:
	s_cmp_lt_i32 s1, 3
	s_cbranch_scc1 .LBB11_770
; %bb.765:
	s_cmp_gt_i32 s1, 3
	s_cbranch_scc0 .LBB11_767
; %bb.766:
	s_wait_xcnt 0x0
	v_trunc_f64_e32 v[2:3], v[0:1]
	s_mov_b32 s2, 0
	s_delay_alu instid0(VALU_DEP_1) | instskip(NEXT) | instid1(VALU_DEP_1)
	v_ldexp_f64 v[6:7], v[2:3], 0xffffffe0
	v_floor_f64_e32 v[6:7], v[6:7]
	s_delay_alu instid0(VALU_DEP_1) | instskip(SKIP_1) | instid1(VALU_DEP_2)
	v_fmamk_f64 v[2:3], v[6:7], 0xc1f00000, v[2:3]
	v_cvt_i32_f64_e32 v7, v[6:7]
	v_cvt_u32_f64_e32 v6, v[2:3]
	global_store_b64 v[4:5], v[6:7], off
.LBB11_767:
	s_and_not1_b32 vcc_lo, exec_lo, s2
	s_cbranch_vccnz .LBB11_769
; %bb.768:
	s_wait_xcnt 0x0
	v_cvt_i32_f64_e32 v2, v[0:1]
	global_store_b32 v[4:5], v2, off
.LBB11_769:
	s_mov_b32 s2, 0
.LBB11_770:
	s_delay_alu instid0(SALU_CYCLE_1)
	s_and_not1_b32 vcc_lo, exec_lo, s2
	s_cbranch_vccnz .LBB11_772
; %bb.771:
	s_wait_xcnt 0x0
	v_cvt_i32_f64_e32 v2, v[0:1]
	global_store_b16 v[4:5], v2, off
.LBB11_772:
	s_mov_b32 s2, 0
.LBB11_773:
	s_delay_alu instid0(SALU_CYCLE_1)
	s_and_not1_b32 vcc_lo, exec_lo, s2
	s_cbranch_vccnz .LBB11_778
; %bb.774:
	s_cmp_gt_i32 s1, 0
	s_mov_b32 s1, -1
	s_cbranch_scc0 .LBB11_776
; %bb.775:
	s_wait_xcnt 0x0
	v_cvt_i32_f64_e32 v2, v[0:1]
	s_mov_b32 s1, 0
	global_store_b8 v[4:5], v2, off
.LBB11_776:
	s_and_not1_b32 vcc_lo, exec_lo, s1
	s_cbranch_vccnz .LBB11_778
; %bb.777:
	s_wait_xcnt 0x0
	v_trunc_f64_e32 v[0:1], v[0:1]
	s_delay_alu instid0(VALU_DEP_1) | instskip(NEXT) | instid1(VALU_DEP_1)
	v_ldexp_f64 v[2:3], v[0:1], 0xffffffe0
	v_floor_f64_e32 v[2:3], v[2:3]
	s_delay_alu instid0(VALU_DEP_1) | instskip(NEXT) | instid1(VALU_DEP_1)
	v_fmamk_f64 v[0:1], v[2:3], 0xc1f00000, v[0:1]
	v_cvt_u32_f64_e32 v0, v[0:1]
	global_store_b8 v[4:5], v0, off
.LBB11_778:
	s_mov_b32 s3, -1
.LBB11_779:
	s_delay_alu instid0(SALU_CYCLE_1)
	s_and_not1_b32 vcc_lo, exec_lo, s3
	s_cbranch_vccnz .LBB11_781
; %bb.780:
	v_add_nc_u32_e32 v72, 0x80, v72
	s_mov_b32 s1, -1
	s_branch .LBB11_783
.LBB11_781:
	s_mov_b32 s1, 0
.LBB11_782:
                                        ; implicit-def: $vgpr72
.LBB11_783:
	s_and_not1_b32 s2, s55, exec_lo
	s_and_b32 s0, s0, exec_lo
	s_and_not1_b32 s3, s57, exec_lo
	s_or_b32 s60, s2, s0
	s_and_not1_b32 s0, s56, exec_lo
	s_and_b32 s2, s61, exec_lo
	s_and_b32 s4, s59, exec_lo
	s_or_b32 s61, s0, s2
	s_or_b32 s59, s3, s4
	s_or_not1_b32 s1, s1, exec_lo
.LBB11_784:
	s_wait_xcnt 0x0
	s_or_b32 exec_lo, exec_lo, s62
	s_mov_b32 s2, 0
	s_mov_b32 s3, 0
	;; [unrolled: 1-line block ×3, first 2 shown]
                                        ; implicit-def: $sgpr0
                                        ; implicit-def: $vgpr0_vgpr1
                                        ; implicit-def: $vgpr42_vgpr43
	s_and_saveexec_b32 s62, s1
	s_cbranch_execz .LBB11_1264
; %bb.785:
	s_mov_b32 s8, -1
	s_mov_b32 s1, s59
	s_mov_b32 s3, s61
	s_mov_b32 s2, s60
	s_mov_b32 s63, exec_lo
	v_cmpx_gt_i32_e64 s54, v72
	s_cbranch_execz .LBB11_1180
; %bb.786:
	v_mul_lo_u32 v0, v72, s45
	s_and_b32 s0, s51, 0xff
	s_delay_alu instid0(SALU_CYCLE_1) | instskip(NEXT) | instid1(VALU_DEP_1)
	s_cmp_lt_i32 s0, 11
	v_ashrrev_i32_e32 v1, 31, v0
	s_delay_alu instid0(VALU_DEP_1)
	v_add_nc_u64_e32 v[0:1], s[38:39], v[0:1]
	s_cbranch_scc1 .LBB11_793
; %bb.787:
	s_and_b32 s1, 0xffff, s0
	s_delay_alu instid0(SALU_CYCLE_1)
	s_cmp_gt_i32 s1, 25
	s_cbranch_scc0 .LBB11_794
; %bb.788:
	s_cmp_gt_i32 s1, 28
	s_cbranch_scc0 .LBB11_795
; %bb.789:
	;; [unrolled: 3-line block ×4, first 2 shown]
	s_cmp_eq_u32 s1, 46
	s_mov_b32 s3, 0
	s_cbranch_scc0 .LBB11_800
; %bb.792:
	global_load_b32 v2, v[0:1], off
	s_mov_b32 s2, -1
	s_mov_b32 s64, 0
	s_wait_loadcnt 0x0
	v_lshlrev_b32_e32 v2, 16, v2
	s_delay_alu instid0(VALU_DEP_1)
	v_cvt_f64_f32_e32 v[42:43], v2
	s_branch .LBB11_802
.LBB11_793:
	s_mov_b32 s1, -1
	s_mov_b32 s2, 0
	s_mov_b32 s64, s59
                                        ; implicit-def: $vgpr42_vgpr43
	s_branch .LBB11_867
.LBB11_794:
	s_mov_b32 s3, -1
	s_mov_b32 s2, 0
	s_mov_b32 s64, s59
                                        ; implicit-def: $vgpr42_vgpr43
	s_branch .LBB11_831
.LBB11_795:
	s_mov_b32 s3, -1
	s_mov_b32 s2, 0
	s_mov_b32 s64, s59
                                        ; implicit-def: $vgpr42_vgpr43
	s_branch .LBB11_812
.LBB11_796:
	s_mov_b32 s3, -1
	s_mov_b32 s2, 0
	s_mov_b32 s64, s59
                                        ; implicit-def: $vgpr42_vgpr43
	s_branch .LBB11_807
.LBB11_797:
	s_mov_b32 s3, -1
	s_mov_b32 s2, 0
	s_mov_b32 s64, s59
	s_branch .LBB11_801
.LBB11_798:
	s_and_not1_saveexec_b32 s5, s5
	s_cbranch_execz .LBB11_692
.LBB11_799:
	v_add_f32_e64 v3, 0x46000000, |v2|
	s_and_not1_b32 s4, s4, exec_lo
	s_delay_alu instid0(VALU_DEP_1) | instskip(NEXT) | instid1(VALU_DEP_1)
	v_and_b32_e32 v3, 0xff, v3
	v_cmp_ne_u32_e32 vcc_lo, 0, v3
	s_and_b32 s6, vcc_lo, exec_lo
	s_delay_alu instid0(SALU_CYCLE_1)
	s_or_b32 s4, s4, s6
	s_or_b32 exec_lo, exec_lo, s5
	v_mov_b32_e32 v6, 0
	s_and_saveexec_b32 s5, s4
	s_cbranch_execnz .LBB11_693
	s_branch .LBB11_694
.LBB11_800:
	s_mov_b32 s64, -1
	s_mov_b32 s2, 0
.LBB11_801:
                                        ; implicit-def: $vgpr42_vgpr43
.LBB11_802:
	s_and_b32 vcc_lo, exec_lo, s3
	s_cbranch_vccz .LBB11_806
; %bb.803:
	s_cmp_eq_u32 s1, 44
	s_cbranch_scc0 .LBB11_805
; %bb.804:
	global_load_u8 v4, v[0:1], off
	s_mov_b32 s64, 0
	s_mov_b32 s2, -1
	s_wait_loadcnt 0x0
	v_cmp_ne_u32_e32 vcc_lo, 0xff, v4
	v_lshlrev_b32_e32 v2, 23, v4
	s_delay_alu instid0(VALU_DEP_1) | instskip(NEXT) | instid1(VALU_DEP_1)
	v_cvt_f64_f32_e32 v[2:3], v2
	v_cndmask_b32_e32 v2, 0x20000000, v2, vcc_lo
	s_delay_alu instid0(VALU_DEP_2) | instskip(SKIP_1) | instid1(VALU_DEP_2)
	v_cndmask_b32_e32 v3, 0x7ff80000, v3, vcc_lo
	v_cmp_ne_u32_e32 vcc_lo, 0, v4
	v_cndmask_b32_e32 v43, 0x38000000, v3, vcc_lo
	s_delay_alu instid0(VALU_DEP_4)
	v_cndmask_b32_e32 v42, 0, v2, vcc_lo
	s_branch .LBB11_806
.LBB11_805:
	s_mov_b32 s64, -1
                                        ; implicit-def: $vgpr42_vgpr43
.LBB11_806:
	s_mov_b32 s3, 0
.LBB11_807:
	s_delay_alu instid0(SALU_CYCLE_1)
	s_and_b32 vcc_lo, exec_lo, s3
	s_cbranch_vccz .LBB11_811
; %bb.808:
	s_cmp_eq_u32 s1, 29
	s_cbranch_scc0 .LBB11_810
; %bb.809:
	global_load_b64 v[2:3], v[0:1], off
	s_mov_b32 s2, -1
	s_mov_b32 s64, 0
	s_mov_b32 s3, 0
	s_wait_loadcnt 0x0
	v_cvt_f64_u32_e32 v[4:5], v3
	v_cvt_f64_u32_e32 v[2:3], v2
	s_delay_alu instid0(VALU_DEP_2) | instskip(NEXT) | instid1(VALU_DEP_1)
	v_ldexp_f64 v[4:5], v[4:5], 32
	v_add_f64_e32 v[42:43], v[4:5], v[2:3]
	s_branch .LBB11_812
.LBB11_810:
	s_mov_b32 s64, -1
                                        ; implicit-def: $vgpr42_vgpr43
.LBB11_811:
	s_mov_b32 s3, 0
.LBB11_812:
	s_delay_alu instid0(SALU_CYCLE_1)
	s_and_b32 vcc_lo, exec_lo, s3
	s_cbranch_vccz .LBB11_830
; %bb.813:
	s_cmp_lt_i32 s1, 27
	s_cbranch_scc1 .LBB11_816
; %bb.814:
	s_cmp_gt_i32 s1, 27
	s_cbranch_scc0 .LBB11_817
; %bb.815:
	global_load_b32 v2, v[0:1], off
	s_mov_b32 s2, 0
	s_wait_loadcnt 0x0
	v_cvt_f64_u32_e32 v[42:43], v2
	s_branch .LBB11_818
.LBB11_816:
	s_mov_b32 s2, -1
                                        ; implicit-def: $vgpr42_vgpr43
	s_branch .LBB11_821
.LBB11_817:
	s_mov_b32 s2, -1
                                        ; implicit-def: $vgpr42_vgpr43
.LBB11_818:
	s_delay_alu instid0(SALU_CYCLE_1)
	s_and_not1_b32 vcc_lo, exec_lo, s2
	s_cbranch_vccnz .LBB11_820
; %bb.819:
	global_load_u16 v2, v[0:1], off
	s_wait_loadcnt 0x0
	v_cvt_f64_u32_e32 v[42:43], v2
.LBB11_820:
	s_mov_b32 s2, 0
.LBB11_821:
	s_delay_alu instid0(SALU_CYCLE_1)
	s_and_not1_b32 vcc_lo, exec_lo, s2
	s_cbranch_vccnz .LBB11_829
; %bb.822:
	global_load_u8 v2, v[0:1], off
	s_mov_b32 s2, 0
	s_mov_b32 s3, exec_lo
	s_wait_loadcnt 0x0
	v_cmpx_lt_i16_e32 0x7f, v2
	s_xor_b32 s3, exec_lo, s3
	s_cbranch_execz .LBB11_843
; %bb.823:
	s_mov_b32 s2, -1
	s_mov_b32 s4, exec_lo
	v_cmpx_eq_u16_e32 0x80, v2
; %bb.824:
	s_xor_b32 s2, exec_lo, -1
; %bb.825:
	s_or_b32 exec_lo, exec_lo, s4
	s_delay_alu instid0(SALU_CYCLE_1)
	s_and_b32 s2, s2, exec_lo
	s_or_saveexec_b32 s3, s3
	v_mov_b64_e32 v[42:43], 0x7ff8000020000000
	s_xor_b32 exec_lo, exec_lo, s3
	s_cbranch_execnz .LBB11_844
.LBB11_826:
	s_or_b32 exec_lo, exec_lo, s3
	s_and_saveexec_b32 s3, s2
	s_cbranch_execz .LBB11_828
.LBB11_827:
	v_and_b32_e32 v3, 0xffff, v2
	s_delay_alu instid0(VALU_DEP_1) | instskip(SKIP_1) | instid1(VALU_DEP_2)
	v_and_b32_e32 v4, 7, v3
	v_bfe_u32 v7, v3, 3, 4
	v_clz_i32_u32_e32 v5, v4
	s_delay_alu instid0(VALU_DEP_2) | instskip(NEXT) | instid1(VALU_DEP_2)
	v_cmp_eq_u32_e32 vcc_lo, 0, v7
	v_min_u32_e32 v5, 32, v5
	s_delay_alu instid0(VALU_DEP_1) | instskip(NEXT) | instid1(VALU_DEP_1)
	v_subrev_nc_u32_e32 v6, 28, v5
	v_dual_lshlrev_b32 v3, v6, v3 :: v_dual_sub_nc_u32 v5, 29, v5
	s_delay_alu instid0(VALU_DEP_1) | instskip(NEXT) | instid1(VALU_DEP_1)
	v_dual_lshlrev_b32 v2, 24, v2 :: v_dual_bitop2_b32 v3, 7, v3 bitop3:0x40
	v_dual_cndmask_b32 v5, v7, v5, vcc_lo :: v_dual_cndmask_b32 v3, v4, v3, vcc_lo
	s_delay_alu instid0(VALU_DEP_2) | instskip(NEXT) | instid1(VALU_DEP_2)
	v_and_b32_e32 v2, 0x80000000, v2
	v_lshl_add_u32 v4, v5, 23, 0x3b800000
	s_delay_alu instid0(VALU_DEP_3) | instskip(NEXT) | instid1(VALU_DEP_1)
	v_lshlrev_b32_e32 v3, 20, v3
	v_or3_b32 v2, v2, v4, v3
	s_delay_alu instid0(VALU_DEP_1)
	v_cvt_f64_f32_e32 v[42:43], v2
.LBB11_828:
	s_or_b32 exec_lo, exec_lo, s3
.LBB11_829:
	s_mov_b32 s2, -1
.LBB11_830:
	s_mov_b32 s3, 0
.LBB11_831:
	s_delay_alu instid0(SALU_CYCLE_1)
	s_and_b32 vcc_lo, exec_lo, s3
	s_cbranch_vccz .LBB11_866
; %bb.832:
	s_cmp_gt_i32 s1, 22
	s_cbranch_scc0 .LBB11_842
; %bb.833:
	s_cmp_lt_i32 s1, 24
	s_cbranch_scc1 .LBB11_845
; %bb.834:
	s_cmp_gt_i32 s1, 24
	s_cbranch_scc0 .LBB11_846
; %bb.835:
	global_load_u8 v2, v[0:1], off
	s_mov_b32 s2, 0
	s_mov_b32 s3, exec_lo
	s_wait_loadcnt 0x0
	v_cmpx_lt_i16_e32 0x7f, v2
	s_xor_b32 s3, exec_lo, s3
	s_cbranch_execz .LBB11_858
; %bb.836:
	s_mov_b32 s2, -1
	s_mov_b32 s4, exec_lo
	v_cmpx_eq_u16_e32 0x80, v2
; %bb.837:
	s_xor_b32 s2, exec_lo, -1
; %bb.838:
	s_or_b32 exec_lo, exec_lo, s4
	s_delay_alu instid0(SALU_CYCLE_1)
	s_and_b32 s2, s2, exec_lo
	s_or_saveexec_b32 s3, s3
	v_mov_b64_e32 v[42:43], 0x7ff8000020000000
	s_xor_b32 exec_lo, exec_lo, s3
	s_cbranch_execnz .LBB11_859
.LBB11_839:
	s_or_b32 exec_lo, exec_lo, s3
	s_and_saveexec_b32 s3, s2
	s_cbranch_execz .LBB11_841
.LBB11_840:
	v_and_b32_e32 v3, 0xffff, v2
	s_delay_alu instid0(VALU_DEP_1) | instskip(SKIP_1) | instid1(VALU_DEP_2)
	v_and_b32_e32 v4, 3, v3
	v_bfe_u32 v7, v3, 2, 5
	v_clz_i32_u32_e32 v5, v4
	s_delay_alu instid0(VALU_DEP_2) | instskip(NEXT) | instid1(VALU_DEP_2)
	v_cmp_eq_u32_e32 vcc_lo, 0, v7
	v_min_u32_e32 v5, 32, v5
	s_delay_alu instid0(VALU_DEP_1) | instskip(NEXT) | instid1(VALU_DEP_1)
	v_subrev_nc_u32_e32 v6, 29, v5
	v_dual_lshlrev_b32 v3, v6, v3 :: v_dual_sub_nc_u32 v5, 30, v5
	s_delay_alu instid0(VALU_DEP_1) | instskip(NEXT) | instid1(VALU_DEP_1)
	v_dual_lshlrev_b32 v2, 24, v2 :: v_dual_bitop2_b32 v3, 3, v3 bitop3:0x40
	v_dual_cndmask_b32 v5, v7, v5, vcc_lo :: v_dual_cndmask_b32 v3, v4, v3, vcc_lo
	s_delay_alu instid0(VALU_DEP_2) | instskip(NEXT) | instid1(VALU_DEP_2)
	v_and_b32_e32 v2, 0x80000000, v2
	v_lshl_add_u32 v4, v5, 23, 0x37800000
	s_delay_alu instid0(VALU_DEP_3) | instskip(NEXT) | instid1(VALU_DEP_1)
	v_lshlrev_b32_e32 v3, 21, v3
	v_or3_b32 v2, v2, v4, v3
	s_delay_alu instid0(VALU_DEP_1)
	v_cvt_f64_f32_e32 v[42:43], v2
.LBB11_841:
	s_or_b32 exec_lo, exec_lo, s3
	s_mov_b32 s2, 0
	s_branch .LBB11_847
.LBB11_842:
	s_mov_b32 s3, -1
                                        ; implicit-def: $vgpr42_vgpr43
	s_branch .LBB11_853
.LBB11_843:
	s_or_saveexec_b32 s3, s3
	v_mov_b64_e32 v[42:43], 0x7ff8000020000000
	s_xor_b32 exec_lo, exec_lo, s3
	s_cbranch_execz .LBB11_826
.LBB11_844:
	v_cmp_ne_u16_e32 vcc_lo, 0, v2
	v_mov_b64_e32 v[42:43], 0
	s_and_not1_b32 s2, s2, exec_lo
	s_and_b32 s4, vcc_lo, exec_lo
	s_delay_alu instid0(SALU_CYCLE_1)
	s_or_b32 s2, s2, s4
	s_or_b32 exec_lo, exec_lo, s3
	s_and_saveexec_b32 s3, s2
	s_cbranch_execnz .LBB11_827
	s_branch .LBB11_828
.LBB11_845:
	s_mov_b32 s2, -1
                                        ; implicit-def: $vgpr42_vgpr43
	s_branch .LBB11_850
.LBB11_846:
	s_mov_b32 s2, -1
                                        ; implicit-def: $vgpr42_vgpr43
.LBB11_847:
	s_delay_alu instid0(SALU_CYCLE_1)
	s_and_b32 vcc_lo, exec_lo, s2
	s_cbranch_vccz .LBB11_849
; %bb.848:
	global_load_u8 v2, v[0:1], off
	s_wait_loadcnt 0x0
	v_lshlrev_b32_e32 v2, 24, v2
	s_delay_alu instid0(VALU_DEP_1) | instskip(NEXT) | instid1(VALU_DEP_1)
	v_and_b32_e32 v3, 0x7f000000, v2
	v_clz_i32_u32_e32 v4, v3
	v_cmp_ne_u32_e32 vcc_lo, 0, v3
	v_add_nc_u32_e32 v6, 0x1000000, v3
	s_delay_alu instid0(VALU_DEP_3) | instskip(NEXT) | instid1(VALU_DEP_1)
	v_min_u32_e32 v4, 32, v4
	v_sub_nc_u32_e64 v4, v4, 4 clamp
	s_delay_alu instid0(VALU_DEP_1) | instskip(NEXT) | instid1(VALU_DEP_1)
	v_dual_lshlrev_b32 v5, v4, v3 :: v_dual_lshlrev_b32 v4, 23, v4
	v_lshrrev_b32_e32 v5, 4, v5
	s_delay_alu instid0(VALU_DEP_1) | instskip(NEXT) | instid1(VALU_DEP_1)
	v_dual_sub_nc_u32 v4, v5, v4 :: v_dual_ashrrev_i32 v5, 8, v6
	v_add_nc_u32_e32 v4, 0x3c000000, v4
	s_delay_alu instid0(VALU_DEP_1) | instskip(NEXT) | instid1(VALU_DEP_1)
	v_and_or_b32 v4, 0x7f800000, v5, v4
	v_cndmask_b32_e32 v3, 0, v4, vcc_lo
	s_delay_alu instid0(VALU_DEP_1) | instskip(NEXT) | instid1(VALU_DEP_1)
	v_and_or_b32 v2, 0x80000000, v2, v3
	v_cvt_f64_f32_e32 v[42:43], v2
.LBB11_849:
	s_mov_b32 s2, 0
.LBB11_850:
	s_delay_alu instid0(SALU_CYCLE_1)
	s_and_not1_b32 vcc_lo, exec_lo, s2
	s_cbranch_vccnz .LBB11_852
; %bb.851:
	global_load_u8 v2, v[0:1], off
	s_wait_loadcnt 0x0
	v_lshlrev_b32_e32 v3, 25, v2
	v_lshlrev_b16 v2, 8, v2
	s_delay_alu instid0(VALU_DEP_1) | instskip(SKIP_1) | instid1(VALU_DEP_2)
	v_and_or_b32 v5, 0x7f00, v2, 0.5
	v_bfe_i32 v2, v2, 0, 16
	v_dual_add_f32 v5, -0.5, v5 :: v_dual_lshrrev_b32 v4, 4, v3
	v_cmp_gt_u32_e32 vcc_lo, 0x8000000, v3
	s_delay_alu instid0(VALU_DEP_2) | instskip(NEXT) | instid1(VALU_DEP_1)
	v_or_b32_e32 v4, 0x70000000, v4
	v_mul_f32_e32 v4, 0x7800000, v4
	s_delay_alu instid0(VALU_DEP_1) | instskip(NEXT) | instid1(VALU_DEP_1)
	v_cndmask_b32_e32 v3, v4, v5, vcc_lo
	v_and_or_b32 v2, 0x80000000, v2, v3
	s_delay_alu instid0(VALU_DEP_1)
	v_cvt_f64_f32_e32 v[42:43], v2
.LBB11_852:
	s_mov_b32 s3, 0
	s_mov_b32 s2, -1
.LBB11_853:
	s_and_not1_b32 vcc_lo, exec_lo, s3
	s_cbranch_vccnz .LBB11_866
; %bb.854:
	s_cmp_gt_i32 s1, 14
	s_cbranch_scc0 .LBB11_857
; %bb.855:
	s_cmp_eq_u32 s1, 15
	s_cbranch_scc0 .LBB11_860
; %bb.856:
	global_load_u16 v2, v[0:1], off
	s_mov_b32 s2, -1
	s_mov_b32 s64, 0
	s_wait_loadcnt 0x0
	v_lshlrev_b32_e32 v2, 16, v2
	s_delay_alu instid0(VALU_DEP_1)
	v_cvt_f64_f32_e32 v[42:43], v2
	s_branch .LBB11_861
.LBB11_857:
	s_mov_b32 s3, -1
                                        ; implicit-def: $vgpr42_vgpr43
	s_branch .LBB11_862
.LBB11_858:
	s_or_saveexec_b32 s3, s3
	v_mov_b64_e32 v[42:43], 0x7ff8000020000000
	s_xor_b32 exec_lo, exec_lo, s3
	s_cbranch_execz .LBB11_839
.LBB11_859:
	v_cmp_ne_u16_e32 vcc_lo, 0, v2
	v_mov_b64_e32 v[42:43], 0
	s_and_not1_b32 s2, s2, exec_lo
	s_and_b32 s4, vcc_lo, exec_lo
	s_delay_alu instid0(SALU_CYCLE_1)
	s_or_b32 s2, s2, s4
	s_or_b32 exec_lo, exec_lo, s3
	s_and_saveexec_b32 s3, s2
	s_cbranch_execnz .LBB11_840
	s_branch .LBB11_841
.LBB11_860:
	s_mov_b32 s64, -1
                                        ; implicit-def: $vgpr42_vgpr43
.LBB11_861:
	s_mov_b32 s3, 0
.LBB11_862:
	s_delay_alu instid0(SALU_CYCLE_1)
	s_and_b32 vcc_lo, exec_lo, s3
	s_cbranch_vccz .LBB11_866
; %bb.863:
	s_cmp_eq_u32 s1, 11
	s_cbranch_scc0 .LBB11_865
; %bb.864:
	global_load_u8 v2, v[0:1], off
	s_wait_loadcnt 0x1
	v_mov_b32_e32 v42, 0
	s_mov_b32 s64, 0
	s_mov_b32 s2, -1
	s_wait_loadcnt 0x0
	v_cmp_ne_u16_e32 vcc_lo, 0, v2
	v_cndmask_b32_e64 v43, 0, 0x3ff00000, vcc_lo
	s_branch .LBB11_866
.LBB11_865:
	s_mov_b32 s64, -1
                                        ; implicit-def: $vgpr42_vgpr43
.LBB11_866:
	s_mov_b32 s1, 0
.LBB11_867:
	s_delay_alu instid0(SALU_CYCLE_1)
	s_and_b32 vcc_lo, exec_lo, s1
	s_cbranch_vccz .LBB11_916
; %bb.868:
	s_and_b32 s0, 0xffff, s0
	s_delay_alu instid0(SALU_CYCLE_1)
	s_cmp_lt_i32 s0, 5
	s_cbranch_scc1 .LBB11_873
; %bb.869:
	s_cmp_lt_i32 s0, 8
	s_cbranch_scc1 .LBB11_874
; %bb.870:
	;; [unrolled: 3-line block ×3, first 2 shown]
	s_cmp_gt_i32 s0, 9
	s_cbranch_scc0 .LBB11_876
; %bb.872:
	s_wait_loadcnt 0x0
	global_load_b64 v[42:43], v[0:1], off
	s_mov_b32 s1, 0
	s_branch .LBB11_877
.LBB11_873:
	s_mov_b32 s1, -1
                                        ; implicit-def: $vgpr42_vgpr43
	s_branch .LBB11_895
.LBB11_874:
	s_mov_b32 s1, -1
                                        ; implicit-def: $vgpr42_vgpr43
	s_branch .LBB11_883
.LBB11_875:
	s_mov_b32 s1, -1
                                        ; implicit-def: $vgpr42_vgpr43
	s_branch .LBB11_880
.LBB11_876:
	s_mov_b32 s1, -1
                                        ; implicit-def: $vgpr42_vgpr43
.LBB11_877:
	s_delay_alu instid0(SALU_CYCLE_1)
	s_and_not1_b32 vcc_lo, exec_lo, s1
	s_cbranch_vccnz .LBB11_879
; %bb.878:
	global_load_b32 v2, v[0:1], off
	s_wait_loadcnt 0x0
	v_cvt_f64_f32_e32 v[42:43], v2
.LBB11_879:
	s_mov_b32 s1, 0
.LBB11_880:
	s_delay_alu instid0(SALU_CYCLE_1)
	s_and_not1_b32 vcc_lo, exec_lo, s1
	s_cbranch_vccnz .LBB11_882
; %bb.881:
	global_load_b32 v2, v[0:1], off
	s_wait_loadcnt 0x0
	v_cvt_f32_f16_e32 v2, v2
	s_delay_alu instid0(VALU_DEP_1)
	v_cvt_f64_f32_e32 v[42:43], v2
.LBB11_882:
	s_mov_b32 s1, 0
.LBB11_883:
	s_delay_alu instid0(SALU_CYCLE_1)
	s_and_not1_b32 vcc_lo, exec_lo, s1
	s_cbranch_vccnz .LBB11_894
; %bb.884:
	s_cmp_lt_i32 s0, 6
	s_cbranch_scc1 .LBB11_887
; %bb.885:
	s_cmp_gt_i32 s0, 6
	s_cbranch_scc0 .LBB11_888
; %bb.886:
	s_wait_loadcnt 0x0
	global_load_b64 v[42:43], v[0:1], off
	s_mov_b32 s1, 0
	s_branch .LBB11_889
.LBB11_887:
	s_mov_b32 s1, -1
                                        ; implicit-def: $vgpr42_vgpr43
	s_branch .LBB11_892
.LBB11_888:
	s_mov_b32 s1, -1
                                        ; implicit-def: $vgpr42_vgpr43
.LBB11_889:
	s_delay_alu instid0(SALU_CYCLE_1)
	s_and_not1_b32 vcc_lo, exec_lo, s1
	s_cbranch_vccnz .LBB11_891
; %bb.890:
	global_load_b32 v2, v[0:1], off
	s_wait_loadcnt 0x0
	v_cvt_f64_f32_e32 v[42:43], v2
.LBB11_891:
	s_mov_b32 s1, 0
.LBB11_892:
	s_delay_alu instid0(SALU_CYCLE_1)
	s_and_not1_b32 vcc_lo, exec_lo, s1
	s_cbranch_vccnz .LBB11_894
; %bb.893:
	global_load_u16 v2, v[0:1], off
	s_wait_loadcnt 0x0
	v_cvt_f32_f16_e32 v2, v2
	s_delay_alu instid0(VALU_DEP_1)
	v_cvt_f64_f32_e32 v[42:43], v2
.LBB11_894:
	s_mov_b32 s1, 0
.LBB11_895:
	s_delay_alu instid0(SALU_CYCLE_1)
	s_and_not1_b32 vcc_lo, exec_lo, s1
	s_cbranch_vccnz .LBB11_915
; %bb.896:
	s_cmp_lt_i32 s0, 2
	s_cbranch_scc1 .LBB11_900
; %bb.897:
	s_cmp_lt_i32 s0, 3
	s_cbranch_scc1 .LBB11_901
; %bb.898:
	s_cmp_gt_i32 s0, 3
	s_cbranch_scc0 .LBB11_902
; %bb.899:
	global_load_b64 v[2:3], v[0:1], off
	s_mov_b32 s1, 0
	s_wait_loadcnt 0x0
	v_cvt_f64_i32_e32 v[4:5], v3
	v_cvt_f64_u32_e32 v[2:3], v2
	s_delay_alu instid0(VALU_DEP_2) | instskip(NEXT) | instid1(VALU_DEP_1)
	v_ldexp_f64 v[4:5], v[4:5], 32
	v_add_f64_e32 v[42:43], v[4:5], v[2:3]
	s_branch .LBB11_903
.LBB11_900:
	s_mov_b32 s1, -1
                                        ; implicit-def: $vgpr42_vgpr43
	s_branch .LBB11_909
.LBB11_901:
	s_mov_b32 s1, -1
                                        ; implicit-def: $vgpr42_vgpr43
	s_branch .LBB11_906
.LBB11_902:
	s_mov_b32 s1, -1
                                        ; implicit-def: $vgpr42_vgpr43
.LBB11_903:
	s_delay_alu instid0(SALU_CYCLE_1)
	s_and_not1_b32 vcc_lo, exec_lo, s1
	s_cbranch_vccnz .LBB11_905
; %bb.904:
	global_load_b32 v2, v[0:1], off
	s_wait_loadcnt 0x0
	v_cvt_f64_i32_e32 v[42:43], v2
.LBB11_905:
	s_mov_b32 s1, 0
.LBB11_906:
	s_delay_alu instid0(SALU_CYCLE_1)
	s_and_not1_b32 vcc_lo, exec_lo, s1
	s_cbranch_vccnz .LBB11_908
; %bb.907:
	global_load_i16 v2, v[0:1], off
	s_wait_loadcnt 0x0
	v_cvt_f64_i32_e32 v[42:43], v2
.LBB11_908:
	s_mov_b32 s1, 0
.LBB11_909:
	s_delay_alu instid0(SALU_CYCLE_1)
	s_and_not1_b32 vcc_lo, exec_lo, s1
	s_cbranch_vccnz .LBB11_915
; %bb.910:
	s_cmp_gt_i32 s0, 0
	s_mov_b32 s0, 0
	s_cbranch_scc0 .LBB11_912
; %bb.911:
	global_load_i8 v2, v[0:1], off
	s_wait_loadcnt 0x0
	v_cvt_f64_i32_e32 v[42:43], v2
	s_branch .LBB11_913
.LBB11_912:
	s_mov_b32 s0, -1
                                        ; implicit-def: $vgpr42_vgpr43
.LBB11_913:
	s_delay_alu instid0(SALU_CYCLE_1)
	s_and_not1_b32 vcc_lo, exec_lo, s0
	s_cbranch_vccnz .LBB11_915
; %bb.914:
	global_load_u8 v0, v[0:1], off
	s_wait_loadcnt 0x0
	v_cvt_f64_u32_e32 v[42:43], v0
.LBB11_915:
	s_mov_b32 s2, -1
.LBB11_916:
	s_delay_alu instid0(SALU_CYCLE_1)
	s_and_not1_b32 vcc_lo, exec_lo, s2
	s_cbranch_vccnz .LBB11_924
; %bb.917:
	s_wait_xcnt 0x0
	v_mul_lo_u32 v0, v72, s46
	s_and_b32 s0, 0xffff, s49
	s_delay_alu instid0(SALU_CYCLE_1) | instskip(NEXT) | instid1(VALU_DEP_1)
	s_cmp_lt_i32 s0, 11
	v_ashrrev_i32_e32 v1, 31, v0
	s_delay_alu instid0(VALU_DEP_1)
	v_add_nc_u64_e32 v[0:1], s[34:35], v[0:1]
	s_cbranch_scc1 .LBB11_925
; %bb.918:
	s_cmp_gt_i32 s0, 25
	s_cbranch_scc0 .LBB11_926
; %bb.919:
	s_cmp_gt_i32 s0, 28
	s_cbranch_scc0 .LBB11_927
	;; [unrolled: 3-line block ×4, first 2 shown]
; %bb.922:
	s_cmp_eq_u32 s0, 46
	s_mov_b32 s2, 0
	s_cbranch_scc0 .LBB11_932
; %bb.923:
	global_load_b32 v2, v[0:1], off
	s_mov_b32 s1, -1
	s_mov_b32 s65, 0
	s_wait_loadcnt 0x0
	v_lshlrev_b32_e32 v2, 16, v2
	s_delay_alu instid0(VALU_DEP_1)
	v_cvt_f64_f32_e32 v[44:45], v2
	s_branch .LBB11_934
.LBB11_924:
	s_mov_b32 s4, 0
	s_mov_b32 s0, s60
	;; [unrolled: 1-line block ×3, first 2 shown]
	s_branch .LBB11_1178
.LBB11_925:
	s_mov_b32 s2, -1
	s_mov_b32 s1, 0
	s_mov_b32 s65, s61
                                        ; implicit-def: $vgpr44_vgpr45
	s_branch .LBB11_999
.LBB11_926:
	s_mov_b32 s2, -1
	s_mov_b32 s1, 0
	s_mov_b32 s65, s61
                                        ; implicit-def: $vgpr44_vgpr45
	s_branch .LBB11_963
.LBB11_927:
	s_mov_b32 s2, -1
	s_mov_b32 s1, 0
	s_mov_b32 s65, s61
                                        ; implicit-def: $vgpr44_vgpr45
	s_branch .LBB11_944
.LBB11_928:
	s_mov_b32 s2, -1
	s_mov_b32 s1, 0
	s_mov_b32 s65, s61
                                        ; implicit-def: $vgpr44_vgpr45
	s_branch .LBB11_939
.LBB11_929:
	s_mov_b32 s2, -1
	s_mov_b32 s1, 0
	s_mov_b32 s65, s61
	s_branch .LBB11_933
.LBB11_930:
	s_and_not1_saveexec_b32 s5, s5
	s_cbranch_execz .LBB11_705
.LBB11_931:
	v_add_f32_e64 v3, 0x42800000, |v2|
	s_and_not1_b32 s4, s4, exec_lo
	s_delay_alu instid0(VALU_DEP_1) | instskip(NEXT) | instid1(VALU_DEP_1)
	v_and_b32_e32 v3, 0xff, v3
	v_cmp_ne_u32_e32 vcc_lo, 0, v3
	s_and_b32 s6, vcc_lo, exec_lo
	s_delay_alu instid0(SALU_CYCLE_1)
	s_or_b32 s4, s4, s6
	s_or_b32 exec_lo, exec_lo, s5
	v_mov_b32_e32 v6, 0
	s_and_saveexec_b32 s5, s4
	s_cbranch_execnz .LBB11_706
	s_branch .LBB11_707
.LBB11_932:
	s_mov_b32 s65, -1
	s_mov_b32 s1, 0
.LBB11_933:
                                        ; implicit-def: $vgpr44_vgpr45
.LBB11_934:
	s_and_b32 vcc_lo, exec_lo, s2
	s_cbranch_vccz .LBB11_938
; %bb.935:
	s_cmp_eq_u32 s0, 44
	s_cbranch_scc0 .LBB11_937
; %bb.936:
	global_load_u8 v4, v[0:1], off
	s_mov_b32 s65, 0
	s_mov_b32 s1, -1
	s_wait_loadcnt 0x0
	v_cmp_ne_u32_e32 vcc_lo, 0xff, v4
	v_lshlrev_b32_e32 v2, 23, v4
	s_delay_alu instid0(VALU_DEP_1) | instskip(NEXT) | instid1(VALU_DEP_1)
	v_cvt_f64_f32_e32 v[2:3], v2
	v_cndmask_b32_e32 v2, 0x20000000, v2, vcc_lo
	s_delay_alu instid0(VALU_DEP_2) | instskip(SKIP_1) | instid1(VALU_DEP_2)
	v_cndmask_b32_e32 v3, 0x7ff80000, v3, vcc_lo
	v_cmp_ne_u32_e32 vcc_lo, 0, v4
	v_cndmask_b32_e32 v45, 0x38000000, v3, vcc_lo
	s_delay_alu instid0(VALU_DEP_4)
	v_cndmask_b32_e32 v44, 0, v2, vcc_lo
	s_branch .LBB11_938
.LBB11_937:
	s_mov_b32 s65, -1
                                        ; implicit-def: $vgpr44_vgpr45
.LBB11_938:
	s_mov_b32 s2, 0
.LBB11_939:
	s_delay_alu instid0(SALU_CYCLE_1)
	s_and_b32 vcc_lo, exec_lo, s2
	s_cbranch_vccz .LBB11_943
; %bb.940:
	s_cmp_eq_u32 s0, 29
	s_cbranch_scc0 .LBB11_942
; %bb.941:
	global_load_b64 v[2:3], v[0:1], off
	s_mov_b32 s1, -1
	s_mov_b32 s65, 0
	s_mov_b32 s2, 0
	s_wait_loadcnt 0x0
	v_cvt_f64_u32_e32 v[4:5], v3
	v_cvt_f64_u32_e32 v[2:3], v2
	s_delay_alu instid0(VALU_DEP_2) | instskip(NEXT) | instid1(VALU_DEP_1)
	v_ldexp_f64 v[4:5], v[4:5], 32
	v_add_f64_e32 v[44:45], v[4:5], v[2:3]
	s_branch .LBB11_944
.LBB11_942:
	s_mov_b32 s65, -1
                                        ; implicit-def: $vgpr44_vgpr45
.LBB11_943:
	s_mov_b32 s2, 0
.LBB11_944:
	s_delay_alu instid0(SALU_CYCLE_1)
	s_and_b32 vcc_lo, exec_lo, s2
	s_cbranch_vccz .LBB11_962
; %bb.945:
	s_cmp_lt_i32 s0, 27
	s_cbranch_scc1 .LBB11_948
; %bb.946:
	s_cmp_gt_i32 s0, 27
	s_cbranch_scc0 .LBB11_949
; %bb.947:
	global_load_b32 v2, v[0:1], off
	s_mov_b32 s1, 0
	s_wait_loadcnt 0x0
	v_cvt_f64_u32_e32 v[44:45], v2
	s_branch .LBB11_950
.LBB11_948:
	s_mov_b32 s1, -1
                                        ; implicit-def: $vgpr44_vgpr45
	s_branch .LBB11_953
.LBB11_949:
	s_mov_b32 s1, -1
                                        ; implicit-def: $vgpr44_vgpr45
.LBB11_950:
	s_delay_alu instid0(SALU_CYCLE_1)
	s_and_not1_b32 vcc_lo, exec_lo, s1
	s_cbranch_vccnz .LBB11_952
; %bb.951:
	global_load_u16 v2, v[0:1], off
	s_wait_loadcnt 0x0
	v_cvt_f64_u32_e32 v[44:45], v2
.LBB11_952:
	s_mov_b32 s1, 0
.LBB11_953:
	s_delay_alu instid0(SALU_CYCLE_1)
	s_and_not1_b32 vcc_lo, exec_lo, s1
	s_cbranch_vccnz .LBB11_961
; %bb.954:
	global_load_u8 v2, v[0:1], off
	s_mov_b32 s1, 0
	s_mov_b32 s2, exec_lo
	s_wait_loadcnt 0x0
	v_cmpx_lt_i16_e32 0x7f, v2
	s_xor_b32 s2, exec_lo, s2
	s_cbranch_execz .LBB11_975
; %bb.955:
	s_mov_b32 s1, -1
	s_mov_b32 s3, exec_lo
	v_cmpx_eq_u16_e32 0x80, v2
; %bb.956:
	s_xor_b32 s1, exec_lo, -1
; %bb.957:
	s_or_b32 exec_lo, exec_lo, s3
	s_delay_alu instid0(SALU_CYCLE_1)
	s_and_b32 s1, s1, exec_lo
	s_or_saveexec_b32 s2, s2
	v_mov_b64_e32 v[44:45], 0x7ff8000020000000
	s_xor_b32 exec_lo, exec_lo, s2
	s_cbranch_execnz .LBB11_976
.LBB11_958:
	s_or_b32 exec_lo, exec_lo, s2
	s_and_saveexec_b32 s2, s1
	s_cbranch_execz .LBB11_960
.LBB11_959:
	v_and_b32_e32 v3, 0xffff, v2
	s_delay_alu instid0(VALU_DEP_1) | instskip(SKIP_1) | instid1(VALU_DEP_2)
	v_and_b32_e32 v4, 7, v3
	v_bfe_u32 v7, v3, 3, 4
	v_clz_i32_u32_e32 v5, v4
	s_delay_alu instid0(VALU_DEP_2) | instskip(NEXT) | instid1(VALU_DEP_2)
	v_cmp_eq_u32_e32 vcc_lo, 0, v7
	v_min_u32_e32 v5, 32, v5
	s_delay_alu instid0(VALU_DEP_1) | instskip(NEXT) | instid1(VALU_DEP_1)
	v_subrev_nc_u32_e32 v6, 28, v5
	v_dual_lshlrev_b32 v3, v6, v3 :: v_dual_sub_nc_u32 v5, 29, v5
	s_delay_alu instid0(VALU_DEP_1) | instskip(NEXT) | instid1(VALU_DEP_1)
	v_dual_lshlrev_b32 v2, 24, v2 :: v_dual_bitop2_b32 v3, 7, v3 bitop3:0x40
	v_dual_cndmask_b32 v5, v7, v5, vcc_lo :: v_dual_cndmask_b32 v3, v4, v3, vcc_lo
	s_delay_alu instid0(VALU_DEP_2) | instskip(NEXT) | instid1(VALU_DEP_2)
	v_and_b32_e32 v2, 0x80000000, v2
	v_lshl_add_u32 v4, v5, 23, 0x3b800000
	s_delay_alu instid0(VALU_DEP_3) | instskip(NEXT) | instid1(VALU_DEP_1)
	v_lshlrev_b32_e32 v3, 20, v3
	v_or3_b32 v2, v2, v4, v3
	s_delay_alu instid0(VALU_DEP_1)
	v_cvt_f64_f32_e32 v[44:45], v2
.LBB11_960:
	s_or_b32 exec_lo, exec_lo, s2
.LBB11_961:
	s_mov_b32 s1, -1
.LBB11_962:
	s_mov_b32 s2, 0
.LBB11_963:
	s_delay_alu instid0(SALU_CYCLE_1)
	s_and_b32 vcc_lo, exec_lo, s2
	s_cbranch_vccz .LBB11_998
; %bb.964:
	s_cmp_gt_i32 s0, 22
	s_cbranch_scc0 .LBB11_974
; %bb.965:
	s_cmp_lt_i32 s0, 24
	s_cbranch_scc1 .LBB11_977
; %bb.966:
	s_cmp_gt_i32 s0, 24
	s_cbranch_scc0 .LBB11_978
; %bb.967:
	global_load_u8 v2, v[0:1], off
	s_mov_b32 s1, 0
	s_mov_b32 s2, exec_lo
	s_wait_loadcnt 0x0
	v_cmpx_lt_i16_e32 0x7f, v2
	s_xor_b32 s2, exec_lo, s2
	s_cbranch_execz .LBB11_990
; %bb.968:
	s_mov_b32 s1, -1
	s_mov_b32 s3, exec_lo
	v_cmpx_eq_u16_e32 0x80, v2
; %bb.969:
	s_xor_b32 s1, exec_lo, -1
; %bb.970:
	s_or_b32 exec_lo, exec_lo, s3
	s_delay_alu instid0(SALU_CYCLE_1)
	s_and_b32 s1, s1, exec_lo
	s_or_saveexec_b32 s2, s2
	v_mov_b64_e32 v[44:45], 0x7ff8000020000000
	s_xor_b32 exec_lo, exec_lo, s2
	s_cbranch_execnz .LBB11_991
.LBB11_971:
	s_or_b32 exec_lo, exec_lo, s2
	s_and_saveexec_b32 s2, s1
	s_cbranch_execz .LBB11_973
.LBB11_972:
	v_and_b32_e32 v3, 0xffff, v2
	s_delay_alu instid0(VALU_DEP_1) | instskip(SKIP_1) | instid1(VALU_DEP_2)
	v_and_b32_e32 v4, 3, v3
	v_bfe_u32 v7, v3, 2, 5
	v_clz_i32_u32_e32 v5, v4
	s_delay_alu instid0(VALU_DEP_2) | instskip(NEXT) | instid1(VALU_DEP_2)
	v_cmp_eq_u32_e32 vcc_lo, 0, v7
	v_min_u32_e32 v5, 32, v5
	s_delay_alu instid0(VALU_DEP_1) | instskip(NEXT) | instid1(VALU_DEP_1)
	v_subrev_nc_u32_e32 v6, 29, v5
	v_dual_lshlrev_b32 v3, v6, v3 :: v_dual_sub_nc_u32 v5, 30, v5
	s_delay_alu instid0(VALU_DEP_1) | instskip(NEXT) | instid1(VALU_DEP_1)
	v_dual_lshlrev_b32 v2, 24, v2 :: v_dual_bitop2_b32 v3, 3, v3 bitop3:0x40
	v_dual_cndmask_b32 v5, v7, v5, vcc_lo :: v_dual_cndmask_b32 v3, v4, v3, vcc_lo
	s_delay_alu instid0(VALU_DEP_2) | instskip(NEXT) | instid1(VALU_DEP_2)
	v_and_b32_e32 v2, 0x80000000, v2
	v_lshl_add_u32 v4, v5, 23, 0x37800000
	s_delay_alu instid0(VALU_DEP_3) | instskip(NEXT) | instid1(VALU_DEP_1)
	v_lshlrev_b32_e32 v3, 21, v3
	v_or3_b32 v2, v2, v4, v3
	s_delay_alu instid0(VALU_DEP_1)
	v_cvt_f64_f32_e32 v[44:45], v2
.LBB11_973:
	s_or_b32 exec_lo, exec_lo, s2
	s_mov_b32 s1, 0
	s_branch .LBB11_979
.LBB11_974:
	s_mov_b32 s2, -1
                                        ; implicit-def: $vgpr44_vgpr45
	s_branch .LBB11_985
.LBB11_975:
	s_or_saveexec_b32 s2, s2
	v_mov_b64_e32 v[44:45], 0x7ff8000020000000
	s_xor_b32 exec_lo, exec_lo, s2
	s_cbranch_execz .LBB11_958
.LBB11_976:
	v_cmp_ne_u16_e32 vcc_lo, 0, v2
	v_mov_b64_e32 v[44:45], 0
	s_and_not1_b32 s1, s1, exec_lo
	s_and_b32 s3, vcc_lo, exec_lo
	s_delay_alu instid0(SALU_CYCLE_1)
	s_or_b32 s1, s1, s3
	s_or_b32 exec_lo, exec_lo, s2
	s_and_saveexec_b32 s2, s1
	s_cbranch_execnz .LBB11_959
	s_branch .LBB11_960
.LBB11_977:
	s_mov_b32 s1, -1
                                        ; implicit-def: $vgpr44_vgpr45
	s_branch .LBB11_982
.LBB11_978:
	s_mov_b32 s1, -1
                                        ; implicit-def: $vgpr44_vgpr45
.LBB11_979:
	s_delay_alu instid0(SALU_CYCLE_1)
	s_and_b32 vcc_lo, exec_lo, s1
	s_cbranch_vccz .LBB11_981
; %bb.980:
	global_load_u8 v2, v[0:1], off
	s_wait_loadcnt 0x0
	v_lshlrev_b32_e32 v2, 24, v2
	s_delay_alu instid0(VALU_DEP_1) | instskip(NEXT) | instid1(VALU_DEP_1)
	v_and_b32_e32 v3, 0x7f000000, v2
	v_clz_i32_u32_e32 v4, v3
	v_cmp_ne_u32_e32 vcc_lo, 0, v3
	v_add_nc_u32_e32 v6, 0x1000000, v3
	s_delay_alu instid0(VALU_DEP_3) | instskip(NEXT) | instid1(VALU_DEP_1)
	v_min_u32_e32 v4, 32, v4
	v_sub_nc_u32_e64 v4, v4, 4 clamp
	s_delay_alu instid0(VALU_DEP_1) | instskip(NEXT) | instid1(VALU_DEP_1)
	v_dual_lshlrev_b32 v5, v4, v3 :: v_dual_lshlrev_b32 v4, 23, v4
	v_lshrrev_b32_e32 v5, 4, v5
	s_delay_alu instid0(VALU_DEP_1) | instskip(NEXT) | instid1(VALU_DEP_1)
	v_dual_sub_nc_u32 v4, v5, v4 :: v_dual_ashrrev_i32 v5, 8, v6
	v_add_nc_u32_e32 v4, 0x3c000000, v4
	s_delay_alu instid0(VALU_DEP_1) | instskip(NEXT) | instid1(VALU_DEP_1)
	v_and_or_b32 v4, 0x7f800000, v5, v4
	v_cndmask_b32_e32 v3, 0, v4, vcc_lo
	s_delay_alu instid0(VALU_DEP_1) | instskip(NEXT) | instid1(VALU_DEP_1)
	v_and_or_b32 v2, 0x80000000, v2, v3
	v_cvt_f64_f32_e32 v[44:45], v2
.LBB11_981:
	s_mov_b32 s1, 0
.LBB11_982:
	s_delay_alu instid0(SALU_CYCLE_1)
	s_and_not1_b32 vcc_lo, exec_lo, s1
	s_cbranch_vccnz .LBB11_984
; %bb.983:
	global_load_u8 v2, v[0:1], off
	s_wait_loadcnt 0x0
	v_lshlrev_b32_e32 v3, 25, v2
	v_lshlrev_b16 v2, 8, v2
	s_delay_alu instid0(VALU_DEP_1) | instskip(SKIP_1) | instid1(VALU_DEP_2)
	v_and_or_b32 v5, 0x7f00, v2, 0.5
	v_bfe_i32 v2, v2, 0, 16
	v_dual_add_f32 v5, -0.5, v5 :: v_dual_lshrrev_b32 v4, 4, v3
	v_cmp_gt_u32_e32 vcc_lo, 0x8000000, v3
	s_delay_alu instid0(VALU_DEP_2) | instskip(NEXT) | instid1(VALU_DEP_1)
	v_or_b32_e32 v4, 0x70000000, v4
	v_mul_f32_e32 v4, 0x7800000, v4
	s_delay_alu instid0(VALU_DEP_1) | instskip(NEXT) | instid1(VALU_DEP_1)
	v_cndmask_b32_e32 v3, v4, v5, vcc_lo
	v_and_or_b32 v2, 0x80000000, v2, v3
	s_delay_alu instid0(VALU_DEP_1)
	v_cvt_f64_f32_e32 v[44:45], v2
.LBB11_984:
	s_mov_b32 s2, 0
	s_mov_b32 s1, -1
.LBB11_985:
	s_and_not1_b32 vcc_lo, exec_lo, s2
	s_cbranch_vccnz .LBB11_998
; %bb.986:
	s_cmp_gt_i32 s0, 14
	s_cbranch_scc0 .LBB11_989
; %bb.987:
	s_cmp_eq_u32 s0, 15
	s_cbranch_scc0 .LBB11_992
; %bb.988:
	global_load_u16 v2, v[0:1], off
	s_mov_b32 s1, -1
	s_mov_b32 s65, 0
	s_wait_loadcnt 0x0
	v_lshlrev_b32_e32 v2, 16, v2
	s_delay_alu instid0(VALU_DEP_1)
	v_cvt_f64_f32_e32 v[44:45], v2
	s_branch .LBB11_993
.LBB11_989:
	s_mov_b32 s2, -1
                                        ; implicit-def: $vgpr44_vgpr45
	s_branch .LBB11_994
.LBB11_990:
	s_or_saveexec_b32 s2, s2
	v_mov_b64_e32 v[44:45], 0x7ff8000020000000
	s_xor_b32 exec_lo, exec_lo, s2
	s_cbranch_execz .LBB11_971
.LBB11_991:
	v_cmp_ne_u16_e32 vcc_lo, 0, v2
	v_mov_b64_e32 v[44:45], 0
	s_and_not1_b32 s1, s1, exec_lo
	s_and_b32 s3, vcc_lo, exec_lo
	s_delay_alu instid0(SALU_CYCLE_1)
	s_or_b32 s1, s1, s3
	s_or_b32 exec_lo, exec_lo, s2
	s_and_saveexec_b32 s2, s1
	s_cbranch_execnz .LBB11_972
	s_branch .LBB11_973
.LBB11_992:
	s_mov_b32 s65, -1
                                        ; implicit-def: $vgpr44_vgpr45
.LBB11_993:
	s_mov_b32 s2, 0
.LBB11_994:
	s_delay_alu instid0(SALU_CYCLE_1)
	s_and_b32 vcc_lo, exec_lo, s2
	s_cbranch_vccz .LBB11_998
; %bb.995:
	s_cmp_eq_u32 s0, 11
	s_cbranch_scc0 .LBB11_997
; %bb.996:
	global_load_u8 v2, v[0:1], off
	s_wait_loadcnt 0x1
	v_mov_b32_e32 v44, 0
	s_mov_b32 s65, 0
	s_mov_b32 s1, -1
	s_wait_loadcnt 0x0
	v_cmp_ne_u16_e32 vcc_lo, 0, v2
	v_cndmask_b32_e64 v45, 0, 0x3ff00000, vcc_lo
	s_branch .LBB11_998
.LBB11_997:
	s_mov_b32 s65, -1
                                        ; implicit-def: $vgpr44_vgpr45
.LBB11_998:
	s_mov_b32 s2, 0
.LBB11_999:
	s_delay_alu instid0(SALU_CYCLE_1)
	s_and_b32 vcc_lo, exec_lo, s2
	s_cbranch_vccz .LBB11_1048
; %bb.1000:
	s_cmp_lt_i32 s0, 5
	s_cbranch_scc1 .LBB11_1005
; %bb.1001:
	s_cmp_lt_i32 s0, 8
	s_cbranch_scc1 .LBB11_1006
	;; [unrolled: 3-line block ×3, first 2 shown]
; %bb.1003:
	s_cmp_gt_i32 s0, 9
	s_cbranch_scc0 .LBB11_1008
; %bb.1004:
	s_wait_loadcnt 0x0
	global_load_b64 v[44:45], v[0:1], off
	s_mov_b32 s1, 0
	s_branch .LBB11_1009
.LBB11_1005:
	s_mov_b32 s1, -1
                                        ; implicit-def: $vgpr44_vgpr45
	s_branch .LBB11_1027
.LBB11_1006:
	s_mov_b32 s1, -1
                                        ; implicit-def: $vgpr44_vgpr45
	s_branch .LBB11_1015
.LBB11_1007:
	s_mov_b32 s1, -1
                                        ; implicit-def: $vgpr44_vgpr45
	s_branch .LBB11_1012
.LBB11_1008:
	s_mov_b32 s1, -1
                                        ; implicit-def: $vgpr44_vgpr45
.LBB11_1009:
	s_delay_alu instid0(SALU_CYCLE_1)
	s_and_not1_b32 vcc_lo, exec_lo, s1
	s_cbranch_vccnz .LBB11_1011
; %bb.1010:
	global_load_b32 v2, v[0:1], off
	s_wait_loadcnt 0x0
	v_cvt_f64_f32_e32 v[44:45], v2
.LBB11_1011:
	s_mov_b32 s1, 0
.LBB11_1012:
	s_delay_alu instid0(SALU_CYCLE_1)
	s_and_not1_b32 vcc_lo, exec_lo, s1
	s_cbranch_vccnz .LBB11_1014
; %bb.1013:
	global_load_b32 v2, v[0:1], off
	s_wait_loadcnt 0x0
	v_cvt_f32_f16_e32 v2, v2
	s_delay_alu instid0(VALU_DEP_1)
	v_cvt_f64_f32_e32 v[44:45], v2
.LBB11_1014:
	s_mov_b32 s1, 0
.LBB11_1015:
	s_delay_alu instid0(SALU_CYCLE_1)
	s_and_not1_b32 vcc_lo, exec_lo, s1
	s_cbranch_vccnz .LBB11_1026
; %bb.1016:
	s_cmp_lt_i32 s0, 6
	s_cbranch_scc1 .LBB11_1019
; %bb.1017:
	s_cmp_gt_i32 s0, 6
	s_cbranch_scc0 .LBB11_1020
; %bb.1018:
	s_wait_loadcnt 0x0
	global_load_b64 v[44:45], v[0:1], off
	s_mov_b32 s1, 0
	s_branch .LBB11_1021
.LBB11_1019:
	s_mov_b32 s1, -1
                                        ; implicit-def: $vgpr44_vgpr45
	s_branch .LBB11_1024
.LBB11_1020:
	s_mov_b32 s1, -1
                                        ; implicit-def: $vgpr44_vgpr45
.LBB11_1021:
	s_delay_alu instid0(SALU_CYCLE_1)
	s_and_not1_b32 vcc_lo, exec_lo, s1
	s_cbranch_vccnz .LBB11_1023
; %bb.1022:
	global_load_b32 v2, v[0:1], off
	s_wait_loadcnt 0x0
	v_cvt_f64_f32_e32 v[44:45], v2
.LBB11_1023:
	s_mov_b32 s1, 0
.LBB11_1024:
	s_delay_alu instid0(SALU_CYCLE_1)
	s_and_not1_b32 vcc_lo, exec_lo, s1
	s_cbranch_vccnz .LBB11_1026
; %bb.1025:
	global_load_u16 v2, v[0:1], off
	s_wait_loadcnt 0x0
	v_cvt_f32_f16_e32 v2, v2
	s_delay_alu instid0(VALU_DEP_1)
	v_cvt_f64_f32_e32 v[44:45], v2
.LBB11_1026:
	s_mov_b32 s1, 0
.LBB11_1027:
	s_delay_alu instid0(SALU_CYCLE_1)
	s_and_not1_b32 vcc_lo, exec_lo, s1
	s_cbranch_vccnz .LBB11_1047
; %bb.1028:
	s_cmp_lt_i32 s0, 2
	s_cbranch_scc1 .LBB11_1032
; %bb.1029:
	s_cmp_lt_i32 s0, 3
	s_cbranch_scc1 .LBB11_1033
; %bb.1030:
	s_cmp_gt_i32 s0, 3
	s_cbranch_scc0 .LBB11_1034
; %bb.1031:
	global_load_b64 v[2:3], v[0:1], off
	s_mov_b32 s1, 0
	s_wait_loadcnt 0x0
	v_cvt_f64_i32_e32 v[4:5], v3
	v_cvt_f64_u32_e32 v[2:3], v2
	s_delay_alu instid0(VALU_DEP_2) | instskip(NEXT) | instid1(VALU_DEP_1)
	v_ldexp_f64 v[4:5], v[4:5], 32
	v_add_f64_e32 v[44:45], v[4:5], v[2:3]
	s_branch .LBB11_1035
.LBB11_1032:
	s_mov_b32 s1, -1
                                        ; implicit-def: $vgpr44_vgpr45
	s_branch .LBB11_1041
.LBB11_1033:
	s_mov_b32 s1, -1
                                        ; implicit-def: $vgpr44_vgpr45
	s_branch .LBB11_1038
.LBB11_1034:
	s_mov_b32 s1, -1
                                        ; implicit-def: $vgpr44_vgpr45
.LBB11_1035:
	s_delay_alu instid0(SALU_CYCLE_1)
	s_and_not1_b32 vcc_lo, exec_lo, s1
	s_cbranch_vccnz .LBB11_1037
; %bb.1036:
	global_load_b32 v2, v[0:1], off
	s_wait_loadcnt 0x0
	v_cvt_f64_i32_e32 v[44:45], v2
.LBB11_1037:
	s_mov_b32 s1, 0
.LBB11_1038:
	s_delay_alu instid0(SALU_CYCLE_1)
	s_and_not1_b32 vcc_lo, exec_lo, s1
	s_cbranch_vccnz .LBB11_1040
; %bb.1039:
	global_load_i16 v2, v[0:1], off
	s_wait_loadcnt 0x0
	v_cvt_f64_i32_e32 v[44:45], v2
.LBB11_1040:
	s_mov_b32 s1, 0
.LBB11_1041:
	s_delay_alu instid0(SALU_CYCLE_1)
	s_and_not1_b32 vcc_lo, exec_lo, s1
	s_cbranch_vccnz .LBB11_1047
; %bb.1042:
	s_cmp_gt_i32 s0, 0
	s_mov_b32 s0, 0
	s_cbranch_scc0 .LBB11_1044
; %bb.1043:
	global_load_i8 v2, v[0:1], off
	s_wait_loadcnt 0x0
	v_cvt_f64_i32_e32 v[44:45], v2
	s_branch .LBB11_1045
.LBB11_1044:
	s_mov_b32 s0, -1
                                        ; implicit-def: $vgpr44_vgpr45
.LBB11_1045:
	s_delay_alu instid0(SALU_CYCLE_1)
	s_and_not1_b32 vcc_lo, exec_lo, s0
	s_cbranch_vccnz .LBB11_1047
; %bb.1046:
	global_load_u8 v0, v[0:1], off
	s_wait_loadcnt 0x0
	v_cvt_f64_u32_e32 v[44:45], v0
.LBB11_1047:
	s_mov_b32 s1, -1
.LBB11_1048:
	s_delay_alu instid0(SALU_CYCLE_1)
	s_and_not1_b32 vcc_lo, exec_lo, s1
	s_cbranch_vccnz .LBB11_1051
; %bb.1049:
	s_and_not1_b32 vcc_lo, exec_lo, s53
	s_cbranch_vccnz .LBB11_1052
; %bb.1050:
	s_wait_loadcnt 0x0
	s_delay_alu instid0(VALU_DEP_4) | instskip(NEXT) | instid1(VALU_DEP_2)
	v_dual_mov_b32 v0, v42 :: v_dual_mov_b32 v1, v43
	v_dual_mov_b32 v2, v44 :: v_dual_mov_b32 v3, v45
	s_get_pc_i64 s[0:1]
	s_add_nc_u64 s[0:1], s[0:1], _ZN12_GLOBAL__N_111calc_igammaIdEET_S1_S1_@rel64+4
	s_delay_alu instid0(SALU_CYCLE_1)
	s_swap_pc_i64 s[30:31], s[0:1]
	s_mov_b32 s0, 0
	s_branch .LBB11_1053
.LBB11_1051:
	s_mov_b32 s4, 0
	s_mov_b32 s0, s60
	s_branch .LBB11_1178
.LBB11_1052:
	s_mov_b32 s0, -1
                                        ; implicit-def: $vgpr0_vgpr1
.LBB11_1053:
	s_delay_alu instid0(SALU_CYCLE_1)
	s_and_not1_b32 vcc_lo, exec_lo, s0
	s_cbranch_vccnz .LBB11_1055
; %bb.1054:
	s_wait_loadcnt 0x0
	s_delay_alu instid0(VALU_DEP_4) | instskip(NEXT) | instid1(VALU_DEP_2)
	v_dual_mov_b32 v0, v42 :: v_dual_mov_b32 v1, v43
	v_dual_mov_b32 v2, v44 :: v_dual_mov_b32 v3, v45
	s_get_pc_i64 s[0:1]
	s_add_nc_u64 s[0:1], s[0:1], _ZN12_GLOBAL__N_112calc_igammacIdEET_S1_S1_@rel64+4
	s_delay_alu instid0(SALU_CYCLE_1)
	s_swap_pc_i64 s[30:31], s[0:1]
.LBB11_1055:
	v_mul_lo_u32 v2, v72, s44
	s_and_b32 s1, s48, 0xff
	s_delay_alu instid0(SALU_CYCLE_1) | instskip(NEXT) | instid1(VALU_DEP_1)
	s_cmp_lt_i32 s1, 11
	v_ashrrev_i32_e32 v3, 31, v2
	s_delay_alu instid0(VALU_DEP_1)
	v_add_nc_u64_e32 v[4:5], s[36:37], v[2:3]
	s_cbranch_scc1 .LBB11_1062
; %bb.1056:
	s_and_b32 s2, 0xffff, s1
	s_delay_alu instid0(SALU_CYCLE_1)
	s_cmp_gt_i32 s2, 25
	s_cbranch_scc0 .LBB11_1063
; %bb.1057:
	s_cmp_gt_i32 s2, 28
	s_cbranch_scc0 .LBB11_1064
; %bb.1058:
	;; [unrolled: 3-line block ×4, first 2 shown]
	s_mov_b32 s4, 0
	s_mov_b32 s0, -1
	s_cmp_eq_u32 s2, 46
	s_mov_b32 s3, 0
	s_cbranch_scc0 .LBB11_1067
; %bb.1061:
	v_cvt_f32_f64_e32 v2, v[0:1]
	s_mov_b32 s3, -1
	s_mov_b32 s0, 0
	s_delay_alu instid0(VALU_DEP_1) | instskip(SKIP_1) | instid1(VALU_DEP_2)
	v_bfe_u32 v3, v2, 16, 1
	v_cmp_o_f32_e32 vcc_lo, v2, v2
	v_add3_u32 v3, v2, v3, 0x7fff
	s_delay_alu instid0(VALU_DEP_1) | instskip(NEXT) | instid1(VALU_DEP_1)
	v_lshrrev_b32_e32 v3, 16, v3
	v_cndmask_b32_e32 v2, 0x7fc0, v3, vcc_lo
	global_store_b32 v[4:5], v2, off
	s_branch .LBB11_1067
.LBB11_1062:
	s_mov_b32 s2, -1
	s_mov_b32 s3, 0
	s_mov_b32 s0, s60
	s_branch .LBB11_1136
.LBB11_1063:
	s_mov_b32 s4, -1
	s_mov_b32 s3, 0
	s_mov_b32 s0, s60
	s_branch .LBB11_1094
.LBB11_1064:
	s_mov_b32 s4, -1
	s_mov_b32 s3, 0
	s_mov_b32 s0, s60
	s_branch .LBB11_1077
.LBB11_1065:
	s_mov_b32 s4, -1
	s_mov_b32 s3, 0
	s_mov_b32 s0, s60
	s_branch .LBB11_1073
.LBB11_1066:
	s_mov_b32 s4, -1
	s_mov_b32 s3, 0
	s_mov_b32 s0, s60
.LBB11_1067:
	s_and_b32 vcc_lo, exec_lo, s4
	s_cbranch_vccz .LBB11_1072
; %bb.1068:
	s_cmp_eq_u32 s2, 44
	s_mov_b32 s0, -1
	s_cbranch_scc0 .LBB11_1072
; %bb.1069:
	s_wait_xcnt 0x0
	v_cvt_f32_f64_e32 v2, v[0:1]
	v_mov_b32_e32 v3, 0xff
	s_mov_b32 s3, exec_lo
	s_delay_alu instid0(VALU_DEP_2) | instskip(NEXT) | instid1(VALU_DEP_1)
	v_bfe_u32 v6, v2, 23, 8
	v_cmpx_ne_u32_e32 0xff, v6
	s_cbranch_execz .LBB11_1071
; %bb.1070:
	v_and_b32_e32 v3, 0x400000, v2
	v_and_or_b32 v6, 0x3fffff, v2, v6
	v_lshrrev_b32_e32 v2, 23, v2
	s_delay_alu instid0(VALU_DEP_3) | instskip(NEXT) | instid1(VALU_DEP_3)
	v_cmp_ne_u32_e32 vcc_lo, 0, v3
	v_cmp_ne_u32_e64 s0, 0, v6
	s_and_b32 s0, vcc_lo, s0
	s_delay_alu instid0(SALU_CYCLE_1) | instskip(NEXT) | instid1(VALU_DEP_1)
	v_cndmask_b32_e64 v3, 0, 1, s0
	v_add_nc_u32_e32 v3, v2, v3
.LBB11_1071:
	s_or_b32 exec_lo, exec_lo, s3
	s_mov_b32 s3, -1
	s_mov_b32 s0, 0
	global_store_b8 v[4:5], v3, off
.LBB11_1072:
	s_mov_b32 s4, 0
.LBB11_1073:
	s_delay_alu instid0(SALU_CYCLE_1)
	s_and_b32 vcc_lo, exec_lo, s4
	s_cbranch_vccz .LBB11_1076
; %bb.1074:
	s_cmp_eq_u32 s2, 29
	s_mov_b32 s0, -1
	s_cbranch_scc0 .LBB11_1076
; %bb.1075:
	s_wait_xcnt 0x0
	v_trunc_f64_e32 v[2:3], v[0:1]
	s_mov_b32 s3, -1
	s_mov_b32 s0, 0
	s_mov_b32 s4, 0
	s_delay_alu instid0(VALU_DEP_1) | instskip(NEXT) | instid1(VALU_DEP_1)
	v_ldexp_f64 v[6:7], v[2:3], 0xffffffe0
	v_floor_f64_e32 v[6:7], v[6:7]
	s_delay_alu instid0(VALU_DEP_1) | instskip(SKIP_1) | instid1(VALU_DEP_2)
	v_fmamk_f64 v[2:3], v[6:7], 0xc1f00000, v[2:3]
	v_cvt_u32_f64_e32 v7, v[6:7]
	v_cvt_u32_f64_e32 v6, v[2:3]
	global_store_b64 v[4:5], v[6:7], off
	s_branch .LBB11_1077
.LBB11_1076:
	s_mov_b32 s4, 0
.LBB11_1077:
	s_delay_alu instid0(SALU_CYCLE_1)
	s_and_b32 vcc_lo, exec_lo, s4
	s_cbranch_vccz .LBB11_1093
; %bb.1078:
	s_cmp_lt_i32 s2, 27
	s_mov_b32 s3, -1
	s_cbranch_scc1 .LBB11_1084
; %bb.1079:
	s_wait_xcnt 0x0
	v_cvt_u32_f64_e32 v2, v[0:1]
	s_cmp_gt_i32 s2, 27
	s_cbranch_scc0 .LBB11_1081
; %bb.1080:
	s_mov_b32 s3, 0
	global_store_b32 v[4:5], v2, off
.LBB11_1081:
	s_and_not1_b32 vcc_lo, exec_lo, s3
	s_cbranch_vccnz .LBB11_1083
; %bb.1082:
	global_store_b16 v[4:5], v2, off
.LBB11_1083:
	s_mov_b32 s3, 0
.LBB11_1084:
	s_delay_alu instid0(SALU_CYCLE_1)
	s_and_not1_b32 vcc_lo, exec_lo, s3
	s_cbranch_vccnz .LBB11_1092
; %bb.1085:
	s_wait_xcnt 0x0
	v_cvt_f32_f64_e32 v2, v[0:1]
	v_mov_b32_e32 v6, 0x80
	s_mov_b32 s3, exec_lo
	s_delay_alu instid0(VALU_DEP_2) | instskip(NEXT) | instid1(VALU_DEP_1)
	v_and_b32_e32 v3, 0x7fffffff, v2
	v_cmpx_gt_u32_e32 0x43800000, v3
	s_cbranch_execz .LBB11_1091
; %bb.1086:
	v_cmp_lt_u32_e32 vcc_lo, 0x3bffffff, v3
	s_mov_b32 s4, 0
                                        ; implicit-def: $vgpr3
	s_and_saveexec_b32 s5, vcc_lo
	s_delay_alu instid0(SALU_CYCLE_1)
	s_xor_b32 s5, exec_lo, s5
	s_cbranch_execz .LBB11_1194
; %bb.1087:
	v_bfe_u32 v3, v2, 20, 1
	s_mov_b32 s4, exec_lo
	s_delay_alu instid0(VALU_DEP_1) | instskip(NEXT) | instid1(VALU_DEP_1)
	v_add3_u32 v3, v2, v3, 0x487ffff
	v_lshrrev_b32_e32 v3, 20, v3
	s_and_not1_saveexec_b32 s5, s5
	s_cbranch_execnz .LBB11_1195
.LBB11_1088:
	s_or_b32 exec_lo, exec_lo, s5
	v_mov_b32_e32 v6, 0
	s_and_saveexec_b32 s5, s4
.LBB11_1089:
	v_lshrrev_b32_e32 v2, 24, v2
	s_delay_alu instid0(VALU_DEP_1)
	v_and_or_b32 v6, 0x80, v2, v3
.LBB11_1090:
	s_or_b32 exec_lo, exec_lo, s5
.LBB11_1091:
	s_delay_alu instid0(SALU_CYCLE_1)
	s_or_b32 exec_lo, exec_lo, s3
	global_store_b8 v[4:5], v6, off
.LBB11_1092:
	s_mov_b32 s3, -1
.LBB11_1093:
	s_mov_b32 s4, 0
.LBB11_1094:
	s_delay_alu instid0(SALU_CYCLE_1)
	s_and_b32 vcc_lo, exec_lo, s4
	s_cbranch_vccz .LBB11_1135
; %bb.1095:
	s_cmp_gt_i32 s2, 22
	s_mov_b32 s4, -1
	s_cbranch_scc0 .LBB11_1127
; %bb.1096:
	s_cmp_lt_i32 s2, 24
	s_mov_b32 s3, -1
	s_cbranch_scc1 .LBB11_1116
; %bb.1097:
	s_cmp_gt_i32 s2, 24
	s_cbranch_scc0 .LBB11_1105
; %bb.1098:
	s_wait_xcnt 0x0
	v_cvt_f32_f64_e32 v2, v[0:1]
	v_mov_b32_e32 v6, 0x80
	s_mov_b32 s3, exec_lo
	s_delay_alu instid0(VALU_DEP_2) | instskip(NEXT) | instid1(VALU_DEP_1)
	v_and_b32_e32 v3, 0x7fffffff, v2
	v_cmpx_gt_u32_e32 0x47800000, v3
	s_cbranch_execz .LBB11_1104
; %bb.1099:
	v_cmp_lt_u32_e32 vcc_lo, 0x37ffffff, v3
	s_mov_b32 s4, 0
                                        ; implicit-def: $vgpr3
	s_and_saveexec_b32 s5, vcc_lo
	s_delay_alu instid0(SALU_CYCLE_1)
	s_xor_b32 s5, exec_lo, s5
	s_cbranch_execz .LBB11_2235
; %bb.1100:
	v_bfe_u32 v3, v2, 21, 1
	s_mov_b32 s4, exec_lo
	s_delay_alu instid0(VALU_DEP_1) | instskip(NEXT) | instid1(VALU_DEP_1)
	v_add3_u32 v3, v2, v3, 0x88fffff
	v_lshrrev_b32_e32 v3, 21, v3
	s_and_not1_saveexec_b32 s5, s5
	s_cbranch_execnz .LBB11_2236
.LBB11_1101:
	s_or_b32 exec_lo, exec_lo, s5
	v_mov_b32_e32 v6, 0
	s_and_saveexec_b32 s5, s4
.LBB11_1102:
	v_lshrrev_b32_e32 v2, 24, v2
	s_delay_alu instid0(VALU_DEP_1)
	v_and_or_b32 v6, 0x80, v2, v3
.LBB11_1103:
	s_or_b32 exec_lo, exec_lo, s5
.LBB11_1104:
	s_delay_alu instid0(SALU_CYCLE_1)
	s_or_b32 exec_lo, exec_lo, s3
	s_mov_b32 s3, 0
	global_store_b8 v[4:5], v6, off
.LBB11_1105:
	s_and_b32 vcc_lo, exec_lo, s3
	s_cbranch_vccz .LBB11_1115
; %bb.1106:
	s_wait_xcnt 0x0
	v_cvt_f32_f64_e32 v2, v[0:1]
	s_mov_b32 s3, exec_lo
                                        ; implicit-def: $vgpr3
	s_delay_alu instid0(VALU_DEP_1) | instskip(NEXT) | instid1(VALU_DEP_1)
	v_and_b32_e32 v6, 0x7fffffff, v2
	v_cmpx_gt_u32_e32 0x43f00000, v6
	s_xor_b32 s3, exec_lo, s3
	s_cbranch_execz .LBB11_1112
; %bb.1107:
	s_mov_b32 s4, exec_lo
                                        ; implicit-def: $vgpr3
	v_cmpx_lt_u32_e32 0x3c7fffff, v6
	s_xor_b32 s4, exec_lo, s4
; %bb.1108:
	v_bfe_u32 v3, v2, 20, 1
	s_delay_alu instid0(VALU_DEP_1) | instskip(NEXT) | instid1(VALU_DEP_1)
	v_add3_u32 v3, v2, v3, 0x407ffff
	v_and_b32_e32 v6, 0xff00000, v3
	v_lshrrev_b32_e32 v3, 20, v3
	s_delay_alu instid0(VALU_DEP_2) | instskip(NEXT) | instid1(VALU_DEP_2)
	v_cmp_ne_u32_e32 vcc_lo, 0x7f00000, v6
	v_cndmask_b32_e32 v3, 0x7e, v3, vcc_lo
; %bb.1109:
	s_and_not1_saveexec_b32 s4, s4
; %bb.1110:
	v_add_f32_e64 v3, 0x46800000, |v2|
; %bb.1111:
	s_or_b32 exec_lo, exec_lo, s4
                                        ; implicit-def: $vgpr6
.LBB11_1112:
	s_and_not1_saveexec_b32 s3, s3
; %bb.1113:
	v_mov_b32_e32 v3, 0x7f
	v_cmp_lt_u32_e32 vcc_lo, 0x7f800000, v6
	s_delay_alu instid0(VALU_DEP_2)
	v_cndmask_b32_e32 v3, 0x7e, v3, vcc_lo
; %bb.1114:
	s_or_b32 exec_lo, exec_lo, s3
	v_lshrrev_b32_e32 v2, 24, v2
	s_delay_alu instid0(VALU_DEP_1)
	v_and_or_b32 v2, 0x80, v2, v3
	global_store_b8 v[4:5], v2, off
.LBB11_1115:
	s_mov_b32 s3, 0
.LBB11_1116:
	s_delay_alu instid0(SALU_CYCLE_1)
	s_and_not1_b32 vcc_lo, exec_lo, s3
	s_cbranch_vccnz .LBB11_1126
; %bb.1117:
	s_wait_xcnt 0x0
	v_cvt_f32_f64_e32 v2, v[0:1]
	s_mov_b32 s3, exec_lo
                                        ; implicit-def: $vgpr3
	s_delay_alu instid0(VALU_DEP_1) | instskip(NEXT) | instid1(VALU_DEP_1)
	v_and_b32_e32 v6, 0x7fffffff, v2
	v_cmpx_gt_u32_e32 0x47800000, v6
	s_xor_b32 s3, exec_lo, s3
	s_cbranch_execz .LBB11_1123
; %bb.1118:
	s_mov_b32 s4, exec_lo
                                        ; implicit-def: $vgpr3
	v_cmpx_lt_u32_e32 0x387fffff, v6
	s_xor_b32 s4, exec_lo, s4
; %bb.1119:
	v_bfe_u32 v3, v2, 21, 1
	s_delay_alu instid0(VALU_DEP_1) | instskip(NEXT) | instid1(VALU_DEP_1)
	v_add3_u32 v3, v2, v3, 0x80fffff
	v_lshrrev_b32_e32 v3, 21, v3
; %bb.1120:
	s_and_not1_saveexec_b32 s4, s4
; %bb.1121:
	v_add_f32_e64 v3, 0x43000000, |v2|
; %bb.1122:
	s_or_b32 exec_lo, exec_lo, s4
                                        ; implicit-def: $vgpr6
.LBB11_1123:
	s_and_not1_saveexec_b32 s3, s3
; %bb.1124:
	v_mov_b32_e32 v3, 0x7f
	v_cmp_lt_u32_e32 vcc_lo, 0x7f800000, v6
	s_delay_alu instid0(VALU_DEP_2)
	v_cndmask_b32_e32 v3, 0x7c, v3, vcc_lo
; %bb.1125:
	s_or_b32 exec_lo, exec_lo, s3
	v_lshrrev_b32_e32 v2, 24, v2
	s_delay_alu instid0(VALU_DEP_1)
	v_and_or_b32 v2, 0x80, v2, v3
	global_store_b8 v[4:5], v2, off
.LBB11_1126:
	s_mov_b32 s4, 0
	s_mov_b32 s3, -1
.LBB11_1127:
	s_and_not1_b32 vcc_lo, exec_lo, s4
	s_cbranch_vccnz .LBB11_1135
; %bb.1128:
	s_cmp_gt_i32 s2, 14
	s_mov_b32 s4, -1
	s_cbranch_scc0 .LBB11_1132
; %bb.1129:
	s_cmp_eq_u32 s2, 15
	s_mov_b32 s0, -1
	s_cbranch_scc0 .LBB11_1131
; %bb.1130:
	s_wait_xcnt 0x0
	v_cvt_f32_f64_e32 v2, v[0:1]
	s_mov_b32 s3, -1
	s_mov_b32 s0, 0
	s_delay_alu instid0(VALU_DEP_1) | instskip(SKIP_1) | instid1(VALU_DEP_2)
	v_bfe_u32 v3, v2, 16, 1
	v_cmp_o_f32_e32 vcc_lo, v2, v2
	v_add3_u32 v3, v2, v3, 0x7fff
	s_delay_alu instid0(VALU_DEP_1) | instskip(NEXT) | instid1(VALU_DEP_1)
	v_lshrrev_b32_e32 v3, 16, v3
	v_cndmask_b32_e32 v2, 0x7fc0, v3, vcc_lo
	global_store_b16 v[4:5], v2, off
.LBB11_1131:
	s_mov_b32 s4, 0
.LBB11_1132:
	s_delay_alu instid0(SALU_CYCLE_1)
	s_and_b32 vcc_lo, exec_lo, s4
	s_cbranch_vccz .LBB11_1135
; %bb.1133:
	s_cmp_eq_u32 s2, 11
	s_mov_b32 s0, -1
	s_cbranch_scc0 .LBB11_1135
; %bb.1134:
	v_cmp_neq_f64_e32 vcc_lo, 0, v[0:1]
	s_mov_b32 s3, -1
	s_mov_b32 s0, 0
	s_wait_xcnt 0x0
	v_cndmask_b32_e64 v2, 0, 1, vcc_lo
	global_store_b8 v[4:5], v2, off
.LBB11_1135:
	s_mov_b32 s2, 0
.LBB11_1136:
	s_delay_alu instid0(SALU_CYCLE_1)
	s_and_b32 vcc_lo, exec_lo, s2
	s_cbranch_vccz .LBB11_1175
; %bb.1137:
	s_and_b32 s1, 0xffff, s1
	s_mov_b32 s2, -1
	s_cmp_lt_i32 s1, 5
	s_cbranch_scc1 .LBB11_1158
; %bb.1138:
	s_cmp_lt_i32 s1, 8
	s_cbranch_scc1 .LBB11_1148
; %bb.1139:
	s_cmp_lt_i32 s1, 9
	s_cbranch_scc1 .LBB11_1145
; %bb.1140:
	s_cmp_gt_i32 s1, 9
	s_cbranch_scc0 .LBB11_1142
; %bb.1141:
	s_wait_xcnt 0x0
	v_mov_b32_e32 v2, 0
	s_mov_b32 s2, 0
	s_delay_alu instid0(VALU_DEP_1)
	v_mov_b32_e32 v3, v2
	global_store_b128 v[4:5], v[0:3], off
.LBB11_1142:
	s_and_not1_b32 vcc_lo, exec_lo, s2
	s_cbranch_vccnz .LBB11_1144
; %bb.1143:
	s_wait_xcnt 0x0
	v_cvt_f32_f64_e32 v2, v[0:1]
	v_mov_b32_e32 v3, 0
	global_store_b64 v[4:5], v[2:3], off
.LBB11_1144:
	s_mov_b32 s2, 0
.LBB11_1145:
	s_delay_alu instid0(SALU_CYCLE_1)
	s_and_not1_b32 vcc_lo, exec_lo, s2
	s_cbranch_vccnz .LBB11_1147
; %bb.1146:
	s_wait_xcnt 0x0
	v_and_or_b32 v2, 0x1ff, v1, v0
	v_lshrrev_b32_e32 v3, 8, v1
	v_bfe_u32 v6, v1, 20, 11
	s_delay_alu instid0(VALU_DEP_3) | instskip(NEXT) | instid1(VALU_DEP_2)
	v_cmp_ne_u32_e32 vcc_lo, 0, v2
	v_sub_nc_u32_e32 v7, 0x3f1, v6
	v_cndmask_b32_e64 v2, 0, 1, vcc_lo
	s_delay_alu instid0(VALU_DEP_1) | instskip(NEXT) | instid1(VALU_DEP_3)
	v_and_or_b32 v2, 0xffe, v3, v2
	v_med3_i32 v3, v7, 0, 13
	s_delay_alu instid0(VALU_DEP_2) | instskip(NEXT) | instid1(VALU_DEP_1)
	v_or_b32_e32 v7, 0x1000, v2
	v_lshrrev_b32_e32 v8, v3, v7
	s_delay_alu instid0(VALU_DEP_1) | instskip(NEXT) | instid1(VALU_DEP_1)
	v_lshlrev_b32_e32 v3, v3, v8
	v_cmp_ne_u32_e32 vcc_lo, v3, v7
	v_cndmask_b32_e64 v3, 0, 1, vcc_lo
	s_delay_alu instid0(VALU_DEP_1) | instskip(SKIP_1) | instid1(VALU_DEP_1)
	v_or_b32_e32 v3, v8, v3
	v_add_nc_u32_e32 v6, 0xfffffc10, v6
	v_lshl_or_b32 v7, v6, 12, v2
	v_cmp_gt_i32_e32 vcc_lo, 1, v6
	s_delay_alu instid0(VALU_DEP_2) | instskip(NEXT) | instid1(VALU_DEP_1)
	v_cndmask_b32_e32 v3, v7, v3, vcc_lo
	v_dual_lshrrev_b32 v3, 2, v3 :: v_dual_bitop2_b32 v7, 7, v3 bitop3:0x40
	s_delay_alu instid0(VALU_DEP_1) | instskip(SKIP_4) | instid1(VALU_DEP_2)
	v_cmp_lt_i32_e32 vcc_lo, 5, v7
	v_cndmask_b32_e64 v8, 0, 1, vcc_lo
	v_cmp_eq_u32_e32 vcc_lo, 3, v7
	v_cndmask_b32_e64 v7, 0, 1, vcc_lo
	v_cmp_ne_u32_e32 vcc_lo, 0, v2
	v_or_b32_e32 v7, v7, v8
	s_delay_alu instid0(VALU_DEP_1) | instskip(NEXT) | instid1(VALU_DEP_1)
	v_dual_mov_b32 v8, 0x7e00 :: v_dual_add_nc_u32 v3, v3, v7
	v_cndmask_b32_e32 v2, 0x7c00, v8, vcc_lo
	v_cmp_gt_i32_e32 vcc_lo, 31, v6
	v_lshrrev_b32_e32 v7, 16, v1
	s_delay_alu instid0(VALU_DEP_4) | instskip(SKIP_1) | instid1(VALU_DEP_2)
	v_cndmask_b32_e32 v3, 0x7c00, v3, vcc_lo
	v_cmp_eq_u32_e32 vcc_lo, 0x40f, v6
	v_cndmask_b32_e32 v2, v3, v2, vcc_lo
	s_delay_alu instid0(VALU_DEP_4) | instskip(NEXT) | instid1(VALU_DEP_1)
	v_and_b32_e32 v3, 0x8000, v7
	v_bitop3_b32 v2, v3, 0xffff, v2 bitop3:0xc8
	global_store_b32 v[4:5], v2, off
.LBB11_1147:
	s_mov_b32 s2, 0
.LBB11_1148:
	s_delay_alu instid0(SALU_CYCLE_1)
	s_and_not1_b32 vcc_lo, exec_lo, s2
	s_cbranch_vccnz .LBB11_1157
; %bb.1149:
	s_cmp_lt_i32 s1, 6
	s_mov_b32 s2, -1
	s_cbranch_scc1 .LBB11_1155
; %bb.1150:
	s_cmp_gt_i32 s1, 6
	s_cbranch_scc0 .LBB11_1152
; %bb.1151:
	s_mov_b32 s2, 0
	global_store_b64 v[4:5], v[0:1], off
.LBB11_1152:
	s_and_not1_b32 vcc_lo, exec_lo, s2
	s_cbranch_vccnz .LBB11_1154
; %bb.1153:
	s_wait_xcnt 0x0
	v_cvt_f32_f64_e32 v2, v[0:1]
	global_store_b32 v[4:5], v2, off
.LBB11_1154:
	s_mov_b32 s2, 0
.LBB11_1155:
	s_delay_alu instid0(SALU_CYCLE_1)
	s_and_not1_b32 vcc_lo, exec_lo, s2
	s_cbranch_vccnz .LBB11_1157
; %bb.1156:
	s_wait_xcnt 0x0
	v_and_or_b32 v2, 0x1ff, v1, v0
	v_lshrrev_b32_e32 v3, 8, v1
	v_bfe_u32 v6, v1, 20, 11
	s_delay_alu instid0(VALU_DEP_3) | instskip(NEXT) | instid1(VALU_DEP_2)
	v_cmp_ne_u32_e32 vcc_lo, 0, v2
	v_sub_nc_u32_e32 v7, 0x3f1, v6
	v_cndmask_b32_e64 v2, 0, 1, vcc_lo
	s_delay_alu instid0(VALU_DEP_1) | instskip(NEXT) | instid1(VALU_DEP_3)
	v_and_or_b32 v2, 0xffe, v3, v2
	v_med3_i32 v3, v7, 0, 13
	s_delay_alu instid0(VALU_DEP_2) | instskip(NEXT) | instid1(VALU_DEP_1)
	v_or_b32_e32 v7, 0x1000, v2
	v_lshrrev_b32_e32 v8, v3, v7
	s_delay_alu instid0(VALU_DEP_1) | instskip(NEXT) | instid1(VALU_DEP_1)
	v_lshlrev_b32_e32 v3, v3, v8
	v_cmp_ne_u32_e32 vcc_lo, v3, v7
	v_cndmask_b32_e64 v3, 0, 1, vcc_lo
	s_delay_alu instid0(VALU_DEP_1) | instskip(SKIP_1) | instid1(VALU_DEP_1)
	v_or_b32_e32 v3, v8, v3
	v_add_nc_u32_e32 v6, 0xfffffc10, v6
	v_lshl_or_b32 v7, v6, 12, v2
	v_cmp_gt_i32_e32 vcc_lo, 1, v6
	s_delay_alu instid0(VALU_DEP_2) | instskip(NEXT) | instid1(VALU_DEP_1)
	v_cndmask_b32_e32 v3, v7, v3, vcc_lo
	v_dual_lshrrev_b32 v3, 2, v3 :: v_dual_bitop2_b32 v7, 7, v3 bitop3:0x40
	s_delay_alu instid0(VALU_DEP_1) | instskip(SKIP_4) | instid1(VALU_DEP_2)
	v_cmp_lt_i32_e32 vcc_lo, 5, v7
	v_cndmask_b32_e64 v8, 0, 1, vcc_lo
	v_cmp_eq_u32_e32 vcc_lo, 3, v7
	v_cndmask_b32_e64 v7, 0, 1, vcc_lo
	v_cmp_ne_u32_e32 vcc_lo, 0, v2
	v_or_b32_e32 v7, v7, v8
	s_delay_alu instid0(VALU_DEP_1) | instskip(NEXT) | instid1(VALU_DEP_1)
	v_dual_mov_b32 v8, 0x7e00 :: v_dual_add_nc_u32 v3, v3, v7
	v_cndmask_b32_e32 v2, 0x7c00, v8, vcc_lo
	v_cmp_gt_i32_e32 vcc_lo, 31, v6
	s_delay_alu instid0(VALU_DEP_3) | instskip(SKIP_1) | instid1(VALU_DEP_2)
	v_cndmask_b32_e32 v3, 0x7c00, v3, vcc_lo
	v_cmp_eq_u32_e32 vcc_lo, 0x40f, v6
	v_dual_cndmask_b32 v2, v3, v2 :: v_dual_lshrrev_b32 v3, 16, v1
	s_delay_alu instid0(VALU_DEP_1)
	v_and_or_b32 v2, 0x8000, v3, v2
	global_store_b16 v[4:5], v2, off
.LBB11_1157:
	s_mov_b32 s2, 0
.LBB11_1158:
	s_delay_alu instid0(SALU_CYCLE_1)
	s_and_not1_b32 vcc_lo, exec_lo, s2
	s_cbranch_vccnz .LBB11_1174
; %bb.1159:
	s_cmp_lt_i32 s1, 2
	s_mov_b32 s2, -1
	s_cbranch_scc1 .LBB11_1169
; %bb.1160:
	s_cmp_lt_i32 s1, 3
	s_cbranch_scc1 .LBB11_1166
; %bb.1161:
	s_cmp_gt_i32 s1, 3
	s_cbranch_scc0 .LBB11_1163
; %bb.1162:
	s_wait_xcnt 0x0
	v_trunc_f64_e32 v[2:3], v[0:1]
	s_mov_b32 s2, 0
	s_delay_alu instid0(VALU_DEP_1) | instskip(NEXT) | instid1(VALU_DEP_1)
	v_ldexp_f64 v[6:7], v[2:3], 0xffffffe0
	v_floor_f64_e32 v[6:7], v[6:7]
	s_delay_alu instid0(VALU_DEP_1) | instskip(SKIP_1) | instid1(VALU_DEP_2)
	v_fmamk_f64 v[2:3], v[6:7], 0xc1f00000, v[2:3]
	v_cvt_i32_f64_e32 v7, v[6:7]
	v_cvt_u32_f64_e32 v6, v[2:3]
	global_store_b64 v[4:5], v[6:7], off
.LBB11_1163:
	s_and_not1_b32 vcc_lo, exec_lo, s2
	s_cbranch_vccnz .LBB11_1165
; %bb.1164:
	s_wait_xcnt 0x0
	v_cvt_i32_f64_e32 v2, v[0:1]
	global_store_b32 v[4:5], v2, off
.LBB11_1165:
	s_mov_b32 s2, 0
.LBB11_1166:
	s_delay_alu instid0(SALU_CYCLE_1)
	s_and_not1_b32 vcc_lo, exec_lo, s2
	s_cbranch_vccnz .LBB11_1168
; %bb.1167:
	s_wait_xcnt 0x0
	v_cvt_i32_f64_e32 v2, v[0:1]
	global_store_b16 v[4:5], v2, off
.LBB11_1168:
	s_mov_b32 s2, 0
.LBB11_1169:
	s_delay_alu instid0(SALU_CYCLE_1)
	s_and_not1_b32 vcc_lo, exec_lo, s2
	s_cbranch_vccnz .LBB11_1174
; %bb.1170:
	s_cmp_gt_i32 s1, 0
	s_mov_b32 s1, -1
	s_cbranch_scc0 .LBB11_1172
; %bb.1171:
	s_wait_xcnt 0x0
	v_cvt_i32_f64_e32 v2, v[0:1]
	s_mov_b32 s1, 0
	global_store_b8 v[4:5], v2, off
.LBB11_1172:
	s_and_not1_b32 vcc_lo, exec_lo, s1
	s_cbranch_vccnz .LBB11_1174
; %bb.1173:
	s_wait_xcnt 0x0
	v_trunc_f64_e32 v[0:1], v[0:1]
	s_delay_alu instid0(VALU_DEP_1) | instskip(NEXT) | instid1(VALU_DEP_1)
	v_ldexp_f64 v[2:3], v[0:1], 0xffffffe0
	v_floor_f64_e32 v[2:3], v[2:3]
	s_delay_alu instid0(VALU_DEP_1) | instskip(NEXT) | instid1(VALU_DEP_1)
	v_fmamk_f64 v[0:1], v[2:3], 0xc1f00000, v[0:1]
	v_cvt_u32_f64_e32 v0, v[0:1]
	global_store_b8 v[4:5], v0, off
.LBB11_1174:
	s_mov_b32 s3, -1
.LBB11_1175:
	s_delay_alu instid0(SALU_CYCLE_1)
	s_and_not1_b32 vcc_lo, exec_lo, s3
	s_cbranch_vccnz .LBB11_1177
; %bb.1176:
	v_add_nc_u32_e32 v72, 0x80, v72
	s_mov_b32 s4, -1
	s_branch .LBB11_1179
.LBB11_1177:
	s_mov_b32 s4, 0
.LBB11_1178:
                                        ; implicit-def: $vgpr72
.LBB11_1179:
	s_and_not1_b32 s1, s60, exec_lo
	s_and_b32 s0, s0, exec_lo
	s_and_not1_b32 s5, s59, exec_lo
	s_or_b32 s2, s1, s0
	s_and_not1_b32 s0, s61, exec_lo
	s_and_b32 s1, s65, exec_lo
	s_and_b32 s6, s64, exec_lo
	s_or_b32 s3, s0, s1
	s_or_b32 s1, s5, s6
	s_or_not1_b32 s8, s4, exec_lo
.LBB11_1180:
	s_wait_xcnt 0x0
	s_or_b32 exec_lo, exec_lo, s63
	s_mov_b32 s5, 0
	s_mov_b32 s6, 0
	;; [unrolled: 1-line block ×3, first 2 shown]
                                        ; implicit-def: $sgpr0
                                        ; implicit-def: $vgpr0_vgpr1
                                        ; implicit-def: $vgpr42_vgpr43
	s_and_saveexec_b32 s4, s8
	s_cbranch_execz .LBB11_1263
; %bb.1181:
	s_mov_b32 s8, 0
	s_mov_b32 s9, s1
	;; [unrolled: 1-line block ×3, first 2 shown]
	s_mov_b32 s5, exec_lo
                                        ; implicit-def: $sgpr0
                                        ; implicit-def: $vgpr0_vgpr1
                                        ; implicit-def: $vgpr42_vgpr43
	v_cmpx_gt_i32_e64 s54, v72
	s_cbranch_execz .LBB11_1262
; %bb.1182:
	v_mul_lo_u32 v0, v72, s45
	s_and_b32 s0, s51, 0xff
	s_delay_alu instid0(SALU_CYCLE_1) | instskip(NEXT) | instid1(VALU_DEP_1)
	s_cmp_lt_i32 s0, 11
	v_ashrrev_i32_e32 v1, 31, v0
	s_delay_alu instid0(VALU_DEP_1)
	v_add_nc_u64_e32 v[0:1], s[38:39], v[0:1]
	s_cbranch_scc1 .LBB11_1189
; %bb.1183:
	s_and_b32 s6, 0xffff, s0
	s_delay_alu instid0(SALU_CYCLE_1)
	s_cmp_gt_i32 s6, 25
	s_cbranch_scc0 .LBB11_1190
; %bb.1184:
	s_cmp_gt_i32 s6, 28
	s_cbranch_scc0 .LBB11_1191
; %bb.1185:
	;; [unrolled: 3-line block ×4, first 2 shown]
	s_cmp_eq_u32 s6, 46
	s_cbranch_scc0 .LBB11_1196
; %bb.1188:
	global_load_b32 v2, v[0:1], off
	s_mov_b32 s9, -1
	s_wait_loadcnt 0x0
	v_lshlrev_b32_e32 v2, 16, v2
	s_delay_alu instid0(VALU_DEP_1)
	v_cvt_f64_f32_e32 v[42:43], v2
	s_branch .LBB11_1198
.LBB11_1189:
	s_mov_b32 s6, -1
	s_mov_b32 s9, 0
	s_mov_b32 s7, s1
                                        ; implicit-def: $vgpr42_vgpr43
	s_branch .LBB11_1261
.LBB11_1190:
	s_mov_b32 s10, -1
	s_mov_b32 s9, 0
	s_mov_b32 s7, s1
                                        ; implicit-def: $vgpr42_vgpr43
	s_branch .LBB11_1227
.LBB11_1191:
	s_mov_b32 s10, -1
	s_mov_b32 s9, 0
	s_mov_b32 s7, s1
                                        ; implicit-def: $vgpr42_vgpr43
	s_branch .LBB11_1208
.LBB11_1192:
	s_mov_b32 s10, -1
	s_mov_b32 s9, 0
	s_mov_b32 s7, s1
                                        ; implicit-def: $vgpr42_vgpr43
	s_branch .LBB11_1203
.LBB11_1193:
	s_mov_b32 s10, -1
	s_mov_b32 s9, 0
	s_mov_b32 s7, s1
	s_branch .LBB11_1197
.LBB11_1194:
	s_and_not1_saveexec_b32 s5, s5
	s_cbranch_execz .LBB11_1088
.LBB11_1195:
	v_add_f32_e64 v3, 0x46000000, |v2|
	s_and_not1_b32 s4, s4, exec_lo
	s_delay_alu instid0(VALU_DEP_1) | instskip(NEXT) | instid1(VALU_DEP_1)
	v_and_b32_e32 v3, 0xff, v3
	v_cmp_ne_u32_e32 vcc_lo, 0, v3
	s_and_b32 s6, vcc_lo, exec_lo
	s_delay_alu instid0(SALU_CYCLE_1)
	s_or_b32 s4, s4, s6
	s_or_b32 exec_lo, exec_lo, s5
	v_mov_b32_e32 v6, 0
	s_and_saveexec_b32 s5, s4
	s_cbranch_execnz .LBB11_1089
	s_branch .LBB11_1090
.LBB11_1196:
	s_mov_b32 s7, -1
	s_mov_b32 s9, 0
.LBB11_1197:
                                        ; implicit-def: $vgpr42_vgpr43
.LBB11_1198:
	s_and_b32 vcc_lo, exec_lo, s10
	s_cbranch_vccz .LBB11_1202
; %bb.1199:
	s_cmp_eq_u32 s6, 44
	s_cbranch_scc0 .LBB11_1201
; %bb.1200:
	global_load_u8 v4, v[0:1], off
	s_mov_b32 s7, 0
	s_mov_b32 s9, -1
	s_wait_loadcnt 0x0
	v_cmp_ne_u32_e32 vcc_lo, 0xff, v4
	v_lshlrev_b32_e32 v2, 23, v4
	s_delay_alu instid0(VALU_DEP_1) | instskip(NEXT) | instid1(VALU_DEP_1)
	v_cvt_f64_f32_e32 v[2:3], v2
	v_cndmask_b32_e32 v2, 0x20000000, v2, vcc_lo
	s_delay_alu instid0(VALU_DEP_2) | instskip(SKIP_1) | instid1(VALU_DEP_2)
	v_cndmask_b32_e32 v3, 0x7ff80000, v3, vcc_lo
	v_cmp_ne_u32_e32 vcc_lo, 0, v4
	v_cndmask_b32_e32 v43, 0x38000000, v3, vcc_lo
	s_delay_alu instid0(VALU_DEP_4)
	v_cndmask_b32_e32 v42, 0, v2, vcc_lo
	s_branch .LBB11_1202
.LBB11_1201:
	s_mov_b32 s7, -1
                                        ; implicit-def: $vgpr42_vgpr43
.LBB11_1202:
	s_mov_b32 s10, 0
.LBB11_1203:
	s_delay_alu instid0(SALU_CYCLE_1)
	s_and_b32 vcc_lo, exec_lo, s10
	s_cbranch_vccz .LBB11_1207
; %bb.1204:
	s_cmp_eq_u32 s6, 29
	s_cbranch_scc0 .LBB11_1206
; %bb.1205:
	global_load_b64 v[2:3], v[0:1], off
	s_mov_b32 s7, 0
	s_mov_b32 s9, -1
	s_mov_b32 s10, 0
	s_wait_loadcnt 0x0
	v_cvt_f64_u32_e32 v[4:5], v3
	v_cvt_f64_u32_e32 v[2:3], v2
	s_delay_alu instid0(VALU_DEP_2) | instskip(NEXT) | instid1(VALU_DEP_1)
	v_ldexp_f64 v[4:5], v[4:5], 32
	v_add_f64_e32 v[42:43], v[4:5], v[2:3]
	s_branch .LBB11_1208
.LBB11_1206:
	s_mov_b32 s7, -1
                                        ; implicit-def: $vgpr42_vgpr43
.LBB11_1207:
	s_mov_b32 s10, 0
.LBB11_1208:
	s_delay_alu instid0(SALU_CYCLE_1)
	s_and_b32 vcc_lo, exec_lo, s10
	s_cbranch_vccz .LBB11_1226
; %bb.1209:
	s_cmp_lt_i32 s6, 27
	s_cbranch_scc1 .LBB11_1212
; %bb.1210:
	s_cmp_gt_i32 s6, 27
	s_cbranch_scc0 .LBB11_1213
; %bb.1211:
	global_load_b32 v2, v[0:1], off
	s_mov_b32 s9, 0
	s_wait_loadcnt 0x0
	v_cvt_f64_u32_e32 v[42:43], v2
	s_branch .LBB11_1214
.LBB11_1212:
	s_mov_b32 s9, -1
                                        ; implicit-def: $vgpr42_vgpr43
	s_branch .LBB11_1217
.LBB11_1213:
	s_mov_b32 s9, -1
                                        ; implicit-def: $vgpr42_vgpr43
.LBB11_1214:
	s_delay_alu instid0(SALU_CYCLE_1)
	s_and_not1_b32 vcc_lo, exec_lo, s9
	s_cbranch_vccnz .LBB11_1216
; %bb.1215:
	global_load_u16 v2, v[0:1], off
	s_wait_loadcnt 0x0
	v_cvt_f64_u32_e32 v[42:43], v2
.LBB11_1216:
	s_mov_b32 s9, 0
.LBB11_1217:
	s_delay_alu instid0(SALU_CYCLE_1)
	s_and_not1_b32 vcc_lo, exec_lo, s9
	s_cbranch_vccnz .LBB11_1225
; %bb.1218:
	global_load_u8 v2, v[0:1], off
	s_mov_b32 s9, 0
	s_mov_b32 s10, exec_lo
	s_wait_loadcnt 0x0
	v_cmpx_lt_i16_e32 0x7f, v2
	s_xor_b32 s10, exec_lo, s10
	s_cbranch_execz .LBB11_1239
; %bb.1219:
	s_mov_b32 s9, -1
	s_mov_b32 s11, exec_lo
	v_cmpx_eq_u16_e32 0x80, v2
; %bb.1220:
	s_xor_b32 s9, exec_lo, -1
; %bb.1221:
	s_or_b32 exec_lo, exec_lo, s11
	s_delay_alu instid0(SALU_CYCLE_1)
	s_and_b32 s9, s9, exec_lo
	s_or_saveexec_b32 s10, s10
	v_mov_b64_e32 v[42:43], 0x7ff8000020000000
	s_xor_b32 exec_lo, exec_lo, s10
	s_cbranch_execnz .LBB11_1240
.LBB11_1222:
	s_or_b32 exec_lo, exec_lo, s10
	s_and_saveexec_b32 s10, s9
	s_cbranch_execz .LBB11_1224
.LBB11_1223:
	v_and_b32_e32 v3, 0xffff, v2
	s_delay_alu instid0(VALU_DEP_1) | instskip(SKIP_1) | instid1(VALU_DEP_2)
	v_and_b32_e32 v4, 7, v3
	v_bfe_u32 v7, v3, 3, 4
	v_clz_i32_u32_e32 v5, v4
	s_delay_alu instid0(VALU_DEP_2) | instskip(NEXT) | instid1(VALU_DEP_2)
	v_cmp_eq_u32_e32 vcc_lo, 0, v7
	v_min_u32_e32 v5, 32, v5
	s_delay_alu instid0(VALU_DEP_1) | instskip(NEXT) | instid1(VALU_DEP_1)
	v_subrev_nc_u32_e32 v6, 28, v5
	v_dual_lshlrev_b32 v3, v6, v3 :: v_dual_sub_nc_u32 v5, 29, v5
	s_delay_alu instid0(VALU_DEP_1) | instskip(NEXT) | instid1(VALU_DEP_1)
	v_dual_lshlrev_b32 v2, 24, v2 :: v_dual_bitop2_b32 v3, 7, v3 bitop3:0x40
	v_dual_cndmask_b32 v5, v7, v5, vcc_lo :: v_dual_cndmask_b32 v3, v4, v3, vcc_lo
	s_delay_alu instid0(VALU_DEP_2) | instskip(NEXT) | instid1(VALU_DEP_2)
	v_and_b32_e32 v2, 0x80000000, v2
	v_lshl_add_u32 v4, v5, 23, 0x3b800000
	s_delay_alu instid0(VALU_DEP_3) | instskip(NEXT) | instid1(VALU_DEP_1)
	v_lshlrev_b32_e32 v3, 20, v3
	v_or3_b32 v2, v2, v4, v3
	s_delay_alu instid0(VALU_DEP_1)
	v_cvt_f64_f32_e32 v[42:43], v2
.LBB11_1224:
	s_or_b32 exec_lo, exec_lo, s10
.LBB11_1225:
	s_mov_b32 s9, -1
.LBB11_1226:
	s_mov_b32 s10, 0
.LBB11_1227:
	s_delay_alu instid0(SALU_CYCLE_1)
	s_and_b32 vcc_lo, exec_lo, s10
	s_cbranch_vccz .LBB11_1260
; %bb.1228:
	s_cmp_gt_i32 s6, 22
	s_cbranch_scc0 .LBB11_1238
; %bb.1229:
	s_cmp_lt_i32 s6, 24
	s_cbranch_scc1 .LBB11_1241
; %bb.1230:
	s_cmp_gt_i32 s6, 24
	s_cbranch_scc0 .LBB11_1242
; %bb.1231:
	global_load_u8 v2, v[0:1], off
	s_mov_b32 s9, exec_lo
	s_wait_loadcnt 0x0
	v_cmpx_lt_i16_e32 0x7f, v2
	s_xor_b32 s9, exec_lo, s9
	s_cbranch_execz .LBB11_1254
; %bb.1232:
	s_mov_b32 s8, -1
	s_mov_b32 s10, exec_lo
	v_cmpx_eq_u16_e32 0x80, v2
; %bb.1233:
	s_xor_b32 s8, exec_lo, -1
; %bb.1234:
	s_or_b32 exec_lo, exec_lo, s10
	s_delay_alu instid0(SALU_CYCLE_1)
	s_and_b32 s8, s8, exec_lo
	s_or_saveexec_b32 s9, s9
	v_mov_b64_e32 v[42:43], 0x7ff8000020000000
	s_xor_b32 exec_lo, exec_lo, s9
	s_cbranch_execnz .LBB11_1255
.LBB11_1235:
	s_or_b32 exec_lo, exec_lo, s9
	s_and_saveexec_b32 s9, s8
	s_cbranch_execz .LBB11_1237
.LBB11_1236:
	v_and_b32_e32 v3, 0xffff, v2
	s_delay_alu instid0(VALU_DEP_1) | instskip(SKIP_1) | instid1(VALU_DEP_2)
	v_and_b32_e32 v4, 3, v3
	v_bfe_u32 v7, v3, 2, 5
	v_clz_i32_u32_e32 v5, v4
	s_delay_alu instid0(VALU_DEP_2) | instskip(NEXT) | instid1(VALU_DEP_2)
	v_cmp_eq_u32_e32 vcc_lo, 0, v7
	v_min_u32_e32 v5, 32, v5
	s_delay_alu instid0(VALU_DEP_1) | instskip(NEXT) | instid1(VALU_DEP_1)
	v_subrev_nc_u32_e32 v6, 29, v5
	v_dual_lshlrev_b32 v3, v6, v3 :: v_dual_sub_nc_u32 v5, 30, v5
	s_delay_alu instid0(VALU_DEP_1) | instskip(NEXT) | instid1(VALU_DEP_1)
	v_dual_lshlrev_b32 v2, 24, v2 :: v_dual_bitop2_b32 v3, 3, v3 bitop3:0x40
	v_dual_cndmask_b32 v5, v7, v5, vcc_lo :: v_dual_cndmask_b32 v3, v4, v3, vcc_lo
	s_delay_alu instid0(VALU_DEP_2) | instskip(NEXT) | instid1(VALU_DEP_2)
	v_and_b32_e32 v2, 0x80000000, v2
	v_lshl_add_u32 v4, v5, 23, 0x37800000
	s_delay_alu instid0(VALU_DEP_3) | instskip(NEXT) | instid1(VALU_DEP_1)
	v_lshlrev_b32_e32 v3, 21, v3
	v_or3_b32 v2, v2, v4, v3
	s_delay_alu instid0(VALU_DEP_1)
	v_cvt_f64_f32_e32 v[42:43], v2
.LBB11_1237:
	s_or_b32 exec_lo, exec_lo, s9
	s_mov_b32 s8, 0
	s_branch .LBB11_1243
.LBB11_1238:
	s_mov_b32 s8, -1
                                        ; implicit-def: $vgpr42_vgpr43
	s_branch .LBB11_1249
.LBB11_1239:
	s_or_saveexec_b32 s10, s10
	v_mov_b64_e32 v[42:43], 0x7ff8000020000000
	s_xor_b32 exec_lo, exec_lo, s10
	s_cbranch_execz .LBB11_1222
.LBB11_1240:
	v_cmp_ne_u16_e32 vcc_lo, 0, v2
	v_mov_b64_e32 v[42:43], 0
	s_and_not1_b32 s9, s9, exec_lo
	s_and_b32 s11, vcc_lo, exec_lo
	s_delay_alu instid0(SALU_CYCLE_1)
	s_or_b32 s9, s9, s11
	s_or_b32 exec_lo, exec_lo, s10
	s_and_saveexec_b32 s10, s9
	s_cbranch_execnz .LBB11_1223
	s_branch .LBB11_1224
.LBB11_1241:
	s_mov_b32 s8, -1
                                        ; implicit-def: $vgpr42_vgpr43
	s_branch .LBB11_1246
.LBB11_1242:
	s_mov_b32 s8, -1
                                        ; implicit-def: $vgpr42_vgpr43
.LBB11_1243:
	s_delay_alu instid0(SALU_CYCLE_1)
	s_and_b32 vcc_lo, exec_lo, s8
	s_cbranch_vccz .LBB11_1245
; %bb.1244:
	global_load_u8 v2, v[0:1], off
	s_wait_loadcnt 0x0
	v_lshlrev_b32_e32 v2, 24, v2
	s_delay_alu instid0(VALU_DEP_1) | instskip(NEXT) | instid1(VALU_DEP_1)
	v_and_b32_e32 v3, 0x7f000000, v2
	v_clz_i32_u32_e32 v4, v3
	v_cmp_ne_u32_e32 vcc_lo, 0, v3
	v_add_nc_u32_e32 v6, 0x1000000, v3
	s_delay_alu instid0(VALU_DEP_3) | instskip(NEXT) | instid1(VALU_DEP_1)
	v_min_u32_e32 v4, 32, v4
	v_sub_nc_u32_e64 v4, v4, 4 clamp
	s_delay_alu instid0(VALU_DEP_1) | instskip(NEXT) | instid1(VALU_DEP_1)
	v_dual_lshlrev_b32 v5, v4, v3 :: v_dual_lshlrev_b32 v4, 23, v4
	v_lshrrev_b32_e32 v5, 4, v5
	s_delay_alu instid0(VALU_DEP_1) | instskip(NEXT) | instid1(VALU_DEP_1)
	v_dual_sub_nc_u32 v4, v5, v4 :: v_dual_ashrrev_i32 v5, 8, v6
	v_add_nc_u32_e32 v4, 0x3c000000, v4
	s_delay_alu instid0(VALU_DEP_1) | instskip(NEXT) | instid1(VALU_DEP_1)
	v_and_or_b32 v4, 0x7f800000, v5, v4
	v_cndmask_b32_e32 v3, 0, v4, vcc_lo
	s_delay_alu instid0(VALU_DEP_1) | instskip(NEXT) | instid1(VALU_DEP_1)
	v_and_or_b32 v2, 0x80000000, v2, v3
	v_cvt_f64_f32_e32 v[42:43], v2
.LBB11_1245:
	s_mov_b32 s8, 0
.LBB11_1246:
	s_delay_alu instid0(SALU_CYCLE_1)
	s_and_not1_b32 vcc_lo, exec_lo, s8
	s_cbranch_vccnz .LBB11_1248
; %bb.1247:
	global_load_u8 v2, v[0:1], off
	s_wait_loadcnt 0x0
	v_lshlrev_b32_e32 v3, 25, v2
	v_lshlrev_b16 v2, 8, v2
	s_delay_alu instid0(VALU_DEP_1) | instskip(SKIP_1) | instid1(VALU_DEP_2)
	v_and_or_b32 v5, 0x7f00, v2, 0.5
	v_bfe_i32 v2, v2, 0, 16
	v_dual_add_f32 v5, -0.5, v5 :: v_dual_lshrrev_b32 v4, 4, v3
	v_cmp_gt_u32_e32 vcc_lo, 0x8000000, v3
	s_delay_alu instid0(VALU_DEP_2) | instskip(NEXT) | instid1(VALU_DEP_1)
	v_or_b32_e32 v4, 0x70000000, v4
	v_mul_f32_e32 v4, 0x7800000, v4
	s_delay_alu instid0(VALU_DEP_1) | instskip(NEXT) | instid1(VALU_DEP_1)
	v_cndmask_b32_e32 v3, v4, v5, vcc_lo
	v_and_or_b32 v2, 0x80000000, v2, v3
	s_delay_alu instid0(VALU_DEP_1)
	v_cvt_f64_f32_e32 v[42:43], v2
.LBB11_1248:
	s_mov_b32 s8, 0
	s_mov_b32 s9, -1
.LBB11_1249:
	s_and_not1_b32 vcc_lo, exec_lo, s8
	s_mov_b32 s8, 0
	s_cbranch_vccnz .LBB11_1260
; %bb.1250:
	s_cmp_gt_i32 s6, 14
	s_cbranch_scc0 .LBB11_1253
; %bb.1251:
	s_cmp_eq_u32 s6, 15
	s_cbranch_scc0 .LBB11_1256
; %bb.1252:
	global_load_u16 v2, v[0:1], off
	s_mov_b32 s7, 0
	s_mov_b32 s9, -1
	s_wait_loadcnt 0x0
	v_lshlrev_b32_e32 v2, 16, v2
	s_delay_alu instid0(VALU_DEP_1)
	v_cvt_f64_f32_e32 v[42:43], v2
	s_branch .LBB11_1258
.LBB11_1253:
	s_mov_b32 s8, -1
	s_branch .LBB11_1257
.LBB11_1254:
	s_or_saveexec_b32 s9, s9
	v_mov_b64_e32 v[42:43], 0x7ff8000020000000
	s_xor_b32 exec_lo, exec_lo, s9
	s_cbranch_execz .LBB11_1235
.LBB11_1255:
	v_cmp_ne_u16_e32 vcc_lo, 0, v2
	v_mov_b64_e32 v[42:43], 0
	s_and_not1_b32 s8, s8, exec_lo
	s_and_b32 s10, vcc_lo, exec_lo
	s_delay_alu instid0(SALU_CYCLE_1)
	s_or_b32 s8, s8, s10
	s_or_b32 exec_lo, exec_lo, s9
	s_and_saveexec_b32 s9, s8
	s_cbranch_execnz .LBB11_1236
	s_branch .LBB11_1237
.LBB11_1256:
	s_mov_b32 s7, -1
.LBB11_1257:
                                        ; implicit-def: $vgpr42_vgpr43
.LBB11_1258:
	s_and_b32 vcc_lo, exec_lo, s8
	s_mov_b32 s8, 0
	s_cbranch_vccz .LBB11_1260
; %bb.1259:
	s_cmp_lg_u32 s6, 11
	s_mov_b32 s8, -1
	s_cselect_b32 s6, -1, 0
	s_and_not1_b32 s7, s7, exec_lo
	s_and_b32 s6, s6, exec_lo
	s_delay_alu instid0(SALU_CYCLE_1)
	s_or_b32 s7, s7, s6
.LBB11_1260:
	s_mov_b32 s6, 0
.LBB11_1261:
	s_and_b32 s10, s9, exec_lo
	s_and_not1_b32 s9, s1, exec_lo
	s_and_b32 s7, s7, exec_lo
	s_and_b32 s6, s6, exec_lo
	;; [unrolled: 1-line block ×3, first 2 shown]
	s_or_b32 s9, s9, s7
.LBB11_1262:
	s_wait_xcnt 0x0
	s_or_b32 exec_lo, exec_lo, s5
	s_delay_alu instid0(SALU_CYCLE_1)
	s_and_not1_b32 s1, s1, exec_lo
	s_and_b32 s9, s9, exec_lo
	s_and_b32 s7, s10, exec_lo
	;; [unrolled: 1-line block ×4, first 2 shown]
	s_or_b32 s1, s1, s9
.LBB11_1263:
	s_or_b32 exec_lo, exec_lo, s4
	s_delay_alu instid0(SALU_CYCLE_1)
	s_and_not1_b32 s8, s61, exec_lo
	s_and_b32 s3, s3, exec_lo
	s_and_not1_b32 s4, s60, exec_lo
	s_and_b32 s2, s2, exec_lo
	s_or_b32 s61, s8, s3
	s_and_b32 s3, s6, exec_lo
	s_and_not1_b32 s6, s59, exec_lo
	s_and_b32 s1, s1, exec_lo
	s_or_b32 s60, s4, s2
	s_and_b32 s4, s7, exec_lo
	s_and_b32 s2, s5, exec_lo
	s_or_b32 s59, s6, s1
.LBB11_1264:
	s_or_b32 exec_lo, exec_lo, s62
	s_delay_alu instid0(SALU_CYCLE_1)
	s_and_not1_b32 s1, s55, exec_lo
	s_and_b32 s5, s60, exec_lo
	s_and_not1_b32 s6, s56, exec_lo
	s_and_b32 s7, s61, exec_lo
	s_or_b32 s55, s1, s5
	s_and_b32 s1, s4, exec_lo
	s_and_not1_b32 s4, s57, exec_lo
	s_and_b32 s5, s59, exec_lo
	s_or_b32 s56, s6, s7
	s_and_b32 s3, s3, exec_lo
	s_and_b32 s59, s2, exec_lo
	s_or_b32 s57, s4, s5
	s_or_b32 exec_lo, exec_lo, s58
	s_mov_b32 s54, 0
	s_and_saveexec_b32 s2, s57
	s_cbranch_execz .LBB11_396
.LBB11_1265:
	s_mov_b32 s54, exec_lo
	s_and_not1_b32 s59, s59, exec_lo
	s_trap 2
	s_or_b32 exec_lo, exec_lo, s2
	s_and_saveexec_b32 s2, s59
	s_delay_alu instid0(SALU_CYCLE_1)
	s_xor_b32 s2, exec_lo, s2
	s_cbranch_execnz .LBB11_397
.LBB11_1266:
	s_or_b32 exec_lo, exec_lo, s2
	s_and_saveexec_b32 s2, s3
	s_cbranch_execz .LBB11_1312
.LBB11_1267:
	s_sext_i32_i16 s3, s0
	s_delay_alu instid0(SALU_CYCLE_1)
	s_cmp_lt_i32 s3, 5
	s_cbranch_scc1 .LBB11_1272
; %bb.1268:
	s_cmp_lt_i32 s3, 8
	s_cbranch_scc1 .LBB11_1273
; %bb.1269:
	;; [unrolled: 3-line block ×3, first 2 shown]
	s_cmp_gt_i32 s3, 9
	s_cbranch_scc0 .LBB11_1275
; %bb.1271:
	s_wait_loadcnt 0x0
	global_load_b64 v[42:43], v[0:1], off
	s_mov_b32 s3, 0
	s_branch .LBB11_1276
.LBB11_1272:
                                        ; implicit-def: $vgpr42_vgpr43
	s_branch .LBB11_1293
.LBB11_1273:
                                        ; implicit-def: $vgpr42_vgpr43
	s_branch .LBB11_1282
.LBB11_1274:
	s_mov_b32 s3, -1
                                        ; implicit-def: $vgpr42_vgpr43
	s_branch .LBB11_1279
.LBB11_1275:
	s_mov_b32 s3, -1
                                        ; implicit-def: $vgpr42_vgpr43
.LBB11_1276:
	s_delay_alu instid0(SALU_CYCLE_1)
	s_and_not1_b32 vcc_lo, exec_lo, s3
	s_cbranch_vccnz .LBB11_1278
; %bb.1277:
	global_load_b32 v2, v[0:1], off
	s_wait_loadcnt 0x0
	v_cvt_f64_f32_e32 v[42:43], v2
.LBB11_1278:
	s_mov_b32 s3, 0
.LBB11_1279:
	s_delay_alu instid0(SALU_CYCLE_1)
	s_and_not1_b32 vcc_lo, exec_lo, s3
	s_cbranch_vccnz .LBB11_1281
; %bb.1280:
	global_load_b32 v2, v[0:1], off
	s_wait_loadcnt 0x0
	v_cvt_f32_f16_e32 v2, v2
	s_delay_alu instid0(VALU_DEP_1)
	v_cvt_f64_f32_e32 v[42:43], v2
.LBB11_1281:
	s_cbranch_execnz .LBB11_1292
.LBB11_1282:
	s_sext_i32_i16 s3, s0
	s_delay_alu instid0(SALU_CYCLE_1)
	s_cmp_lt_i32 s3, 6
	s_cbranch_scc1 .LBB11_1285
; %bb.1283:
	s_cmp_gt_i32 s3, 6
	s_cbranch_scc0 .LBB11_1286
; %bb.1284:
	s_wait_loadcnt 0x0
	global_load_b64 v[42:43], v[0:1], off
	s_mov_b32 s3, 0
	s_branch .LBB11_1287
.LBB11_1285:
	s_mov_b32 s3, -1
                                        ; implicit-def: $vgpr42_vgpr43
	s_branch .LBB11_1290
.LBB11_1286:
	s_mov_b32 s3, -1
                                        ; implicit-def: $vgpr42_vgpr43
.LBB11_1287:
	s_delay_alu instid0(SALU_CYCLE_1)
	s_and_not1_b32 vcc_lo, exec_lo, s3
	s_cbranch_vccnz .LBB11_1289
; %bb.1288:
	global_load_b32 v2, v[0:1], off
	s_wait_loadcnt 0x0
	v_cvt_f64_f32_e32 v[42:43], v2
.LBB11_1289:
	s_mov_b32 s3, 0
.LBB11_1290:
	s_delay_alu instid0(SALU_CYCLE_1)
	s_and_not1_b32 vcc_lo, exec_lo, s3
	s_cbranch_vccnz .LBB11_1292
; %bb.1291:
	global_load_u16 v2, v[0:1], off
	s_wait_loadcnt 0x0
	v_cvt_f32_f16_e32 v2, v2
	s_delay_alu instid0(VALU_DEP_1)
	v_cvt_f64_f32_e32 v[42:43], v2
.LBB11_1292:
	s_cbranch_execnz .LBB11_1311
.LBB11_1293:
	s_sext_i32_i16 s3, s0
	s_delay_alu instid0(SALU_CYCLE_1)
	s_cmp_lt_i32 s3, 2
	s_cbranch_scc1 .LBB11_1297
; %bb.1294:
	s_cmp_lt_i32 s3, 3
	s_cbranch_scc1 .LBB11_1298
; %bb.1295:
	s_cmp_gt_i32 s3, 3
	s_cbranch_scc0 .LBB11_1299
; %bb.1296:
	global_load_b64 v[2:3], v[0:1], off
	s_mov_b32 s3, 0
	s_wait_loadcnt 0x0
	v_cvt_f64_i32_e32 v[4:5], v3
	v_cvt_f64_u32_e32 v[2:3], v2
	s_delay_alu instid0(VALU_DEP_2) | instskip(NEXT) | instid1(VALU_DEP_1)
	v_ldexp_f64 v[4:5], v[4:5], 32
	v_add_f64_e32 v[42:43], v[4:5], v[2:3]
	s_branch .LBB11_1300
.LBB11_1297:
                                        ; implicit-def: $vgpr42_vgpr43
	s_branch .LBB11_1306
.LBB11_1298:
	s_mov_b32 s3, -1
                                        ; implicit-def: $vgpr42_vgpr43
	s_branch .LBB11_1303
.LBB11_1299:
	s_mov_b32 s3, -1
                                        ; implicit-def: $vgpr42_vgpr43
.LBB11_1300:
	s_delay_alu instid0(SALU_CYCLE_1)
	s_and_not1_b32 vcc_lo, exec_lo, s3
	s_cbranch_vccnz .LBB11_1302
; %bb.1301:
	global_load_b32 v2, v[0:1], off
	s_wait_loadcnt 0x0
	v_cvt_f64_i32_e32 v[42:43], v2
.LBB11_1302:
	s_mov_b32 s3, 0
.LBB11_1303:
	s_delay_alu instid0(SALU_CYCLE_1)
	s_and_not1_b32 vcc_lo, exec_lo, s3
	s_cbranch_vccnz .LBB11_1305
; %bb.1304:
	global_load_i16 v2, v[0:1], off
	s_wait_loadcnt 0x0
	v_cvt_f64_i32_e32 v[42:43], v2
.LBB11_1305:
	s_cbranch_execnz .LBB11_1311
.LBB11_1306:
	s_sext_i32_i16 s0, s0
	s_delay_alu instid0(SALU_CYCLE_1)
	s_cmp_gt_i32 s0, 0
	s_mov_b32 s0, 0
	s_cbranch_scc0 .LBB11_1308
; %bb.1307:
	global_load_i8 v2, v[0:1], off
	s_wait_loadcnt 0x0
	v_cvt_f64_i32_e32 v[42:43], v2
	s_branch .LBB11_1309
.LBB11_1308:
	s_mov_b32 s0, -1
                                        ; implicit-def: $vgpr42_vgpr43
.LBB11_1309:
	s_delay_alu instid0(SALU_CYCLE_1)
	s_and_not1_b32 vcc_lo, exec_lo, s0
	s_cbranch_vccnz .LBB11_1311
; %bb.1310:
	global_load_u8 v0, v[0:1], off
	s_wait_loadcnt 0x0
	v_cvt_f64_u32_e32 v[42:43], v0
.LBB11_1311:
	s_or_b32 s1, s1, exec_lo
.LBB11_1312:
	s_wait_xcnt 0x0
	s_or_b32 exec_lo, exec_lo, s2
	s_mov_b32 s2, 0
	s_mov_b32 s5, 0
	;; [unrolled: 1-line block ×3, first 2 shown]
                                        ; implicit-def: $vgpr0_vgpr1
                                        ; implicit-def: $vgpr44_vgpr45
	s_and_saveexec_b32 s0, s1
	s_cbranch_execz .LBB11_1320
; %bb.1313:
	v_mul_lo_u32 v0, v72, s46
	s_and_b32 s1, 0xffff, s49
	s_delay_alu instid0(SALU_CYCLE_1) | instskip(NEXT) | instid1(VALU_DEP_1)
	s_cmp_lt_i32 s1, 11
	v_ashrrev_i32_e32 v1, 31, v0
	s_delay_alu instid0(VALU_DEP_1)
	v_add_nc_u64_e32 v[0:1], s[34:35], v[0:1]
	s_cbranch_scc1 .LBB11_1323
; %bb.1314:
	s_cmp_gt_i32 s1, 25
	s_mov_b32 s3, 0
	s_cbranch_scc0 .LBB11_1324
; %bb.1315:
	s_cmp_gt_i32 s1, 28
	s_cbranch_scc0 .LBB11_1325
; %bb.1316:
	s_cmp_gt_i32 s1, 43
	;; [unrolled: 3-line block ×3, first 2 shown]
	s_cbranch_scc0 .LBB11_1327
; %bb.1318:
	s_cmp_eq_u32 s1, 46
	s_cbranch_scc0 .LBB11_1328
; %bb.1319:
	global_load_b32 v2, v[0:1], off
	s_mov_b32 s4, -1
	s_wait_loadcnt 0x0
	v_lshlrev_b32_e32 v2, 16, v2
	s_delay_alu instid0(VALU_DEP_1)
	v_cvt_f64_f32_e32 v[44:45], v2
	s_branch .LBB11_1330
.LBB11_1320:
	s_or_b32 exec_lo, exec_lo, s0
	s_and_saveexec_b32 s0, s56
	s_cbranch_execnz .LBB11_1393
.LBB11_1321:
	s_or_b32 exec_lo, exec_lo, s0
	s_and_saveexec_b32 s0, s2
	s_delay_alu instid0(SALU_CYCLE_1)
	s_xor_b32 s0, exec_lo, s0
	s_cbranch_execz .LBB11_1394
.LBB11_1322:
	global_load_u8 v2, v[0:1], off
	s_wait_loadcnt 0x1
	v_mov_b32_e32 v44, 0
	s_or_b32 s4, s4, exec_lo
	s_wait_loadcnt 0x0
	v_cmp_ne_u16_e32 vcc_lo, 0, v2
	v_cndmask_b32_e64 v45, 0, 0x3ff00000, vcc_lo
	s_wait_xcnt 0x0
	s_or_b32 exec_lo, exec_lo, s0
	s_and_saveexec_b32 s0, s5
	s_cbranch_execz .LBB11_1440
	s_branch .LBB11_1395
.LBB11_1323:
	s_mov_b32 s1, -1
	s_mov_b32 s3, 0
	s_mov_b32 s2, s56
                                        ; implicit-def: $vgpr44_vgpr45
	s_branch .LBB11_1392
.LBB11_1324:
	s_mov_b32 s2, s56
                                        ; implicit-def: $vgpr44_vgpr45
	s_cbranch_execnz .LBB11_1359
	s_branch .LBB11_1391
.LBB11_1325:
	s_mov_b32 s5, -1
	s_mov_b32 s2, s56
                                        ; implicit-def: $vgpr44_vgpr45
	s_branch .LBB11_1340
.LBB11_1326:
	s_mov_b32 s5, -1
	s_mov_b32 s2, s56
                                        ; implicit-def: $vgpr44_vgpr45
	s_branch .LBB11_1335
.LBB11_1327:
	s_mov_b32 s5, -1
	s_mov_b32 s2, s56
	s_branch .LBB11_1329
.LBB11_1328:
	s_mov_b32 s2, -1
.LBB11_1329:
                                        ; implicit-def: $vgpr44_vgpr45
.LBB11_1330:
	s_and_b32 vcc_lo, exec_lo, s5
	s_cbranch_vccz .LBB11_1334
; %bb.1331:
	s_cmp_eq_u32 s1, 44
	s_cbranch_scc0 .LBB11_1333
; %bb.1332:
	global_load_u8 v4, v[0:1], off
	s_mov_b32 s2, 0
	s_mov_b32 s4, -1
	s_wait_loadcnt 0x0
	v_cmp_ne_u32_e32 vcc_lo, 0xff, v4
	v_lshlrev_b32_e32 v2, 23, v4
	s_delay_alu instid0(VALU_DEP_1) | instskip(NEXT) | instid1(VALU_DEP_1)
	v_cvt_f64_f32_e32 v[2:3], v2
	v_cndmask_b32_e32 v2, 0x20000000, v2, vcc_lo
	s_delay_alu instid0(VALU_DEP_2) | instskip(SKIP_1) | instid1(VALU_DEP_2)
	v_cndmask_b32_e32 v3, 0x7ff80000, v3, vcc_lo
	v_cmp_ne_u32_e32 vcc_lo, 0, v4
	v_cndmask_b32_e32 v45, 0x38000000, v3, vcc_lo
	s_delay_alu instid0(VALU_DEP_4)
	v_cndmask_b32_e32 v44, 0, v2, vcc_lo
	s_branch .LBB11_1334
.LBB11_1333:
	s_mov_b32 s2, -1
                                        ; implicit-def: $vgpr44_vgpr45
.LBB11_1334:
	s_mov_b32 s5, 0
.LBB11_1335:
	s_delay_alu instid0(SALU_CYCLE_1)
	s_and_b32 vcc_lo, exec_lo, s5
	s_cbranch_vccz .LBB11_1339
; %bb.1336:
	s_cmp_eq_u32 s1, 29
	s_cbranch_scc0 .LBB11_1338
; %bb.1337:
	global_load_b64 v[2:3], v[0:1], off
	s_mov_b32 s2, 0
	s_mov_b32 s4, -1
	s_mov_b32 s5, 0
	s_wait_loadcnt 0x0
	v_cvt_f64_u32_e32 v[4:5], v3
	v_cvt_f64_u32_e32 v[2:3], v2
	s_delay_alu instid0(VALU_DEP_2) | instskip(NEXT) | instid1(VALU_DEP_1)
	v_ldexp_f64 v[4:5], v[4:5], 32
	v_add_f64_e32 v[44:45], v[4:5], v[2:3]
	s_branch .LBB11_1340
.LBB11_1338:
	s_mov_b32 s2, -1
                                        ; implicit-def: $vgpr44_vgpr45
.LBB11_1339:
	s_mov_b32 s5, 0
.LBB11_1340:
	s_delay_alu instid0(SALU_CYCLE_1)
	s_and_b32 vcc_lo, exec_lo, s5
	s_cbranch_vccz .LBB11_1358
; %bb.1341:
	s_cmp_lt_i32 s1, 27
	s_cbranch_scc1 .LBB11_1344
; %bb.1342:
	s_cmp_gt_i32 s1, 27
	s_cbranch_scc0 .LBB11_1345
; %bb.1343:
	global_load_b32 v2, v[0:1], off
	s_mov_b32 s4, 0
	s_wait_loadcnt 0x0
	v_cvt_f64_u32_e32 v[44:45], v2
	s_branch .LBB11_1346
.LBB11_1344:
	s_mov_b32 s4, -1
                                        ; implicit-def: $vgpr44_vgpr45
	s_branch .LBB11_1349
.LBB11_1345:
	s_mov_b32 s4, -1
                                        ; implicit-def: $vgpr44_vgpr45
.LBB11_1346:
	s_delay_alu instid0(SALU_CYCLE_1)
	s_and_not1_b32 vcc_lo, exec_lo, s4
	s_cbranch_vccnz .LBB11_1348
; %bb.1347:
	global_load_u16 v2, v[0:1], off
	s_wait_loadcnt 0x0
	v_cvt_f64_u32_e32 v[44:45], v2
.LBB11_1348:
	s_mov_b32 s4, 0
.LBB11_1349:
	s_delay_alu instid0(SALU_CYCLE_1)
	s_and_not1_b32 vcc_lo, exec_lo, s4
	s_cbranch_vccnz .LBB11_1357
; %bb.1350:
	global_load_u8 v2, v[0:1], off
	s_mov_b32 s4, 0
	s_mov_b32 s5, exec_lo
	s_wait_loadcnt 0x0
	v_cmpx_lt_i16_e32 0x7f, v2
	s_xor_b32 s5, exec_lo, s5
	s_cbranch_execz .LBB11_1370
; %bb.1351:
	s_mov_b32 s4, -1
	s_mov_b32 s6, exec_lo
	v_cmpx_eq_u16_e32 0x80, v2
; %bb.1352:
	s_xor_b32 s4, exec_lo, -1
; %bb.1353:
	s_or_b32 exec_lo, exec_lo, s6
	s_delay_alu instid0(SALU_CYCLE_1)
	s_and_b32 s4, s4, exec_lo
	s_or_saveexec_b32 s5, s5
	v_mov_b64_e32 v[44:45], 0x7ff8000020000000
	s_xor_b32 exec_lo, exec_lo, s5
	s_cbranch_execnz .LBB11_1371
.LBB11_1354:
	s_or_b32 exec_lo, exec_lo, s5
	s_and_saveexec_b32 s5, s4
	s_cbranch_execz .LBB11_1356
.LBB11_1355:
	v_and_b32_e32 v3, 0xffff, v2
	s_delay_alu instid0(VALU_DEP_1) | instskip(SKIP_1) | instid1(VALU_DEP_2)
	v_and_b32_e32 v4, 7, v3
	v_bfe_u32 v7, v3, 3, 4
	v_clz_i32_u32_e32 v5, v4
	s_delay_alu instid0(VALU_DEP_2) | instskip(NEXT) | instid1(VALU_DEP_2)
	v_cmp_eq_u32_e32 vcc_lo, 0, v7
	v_min_u32_e32 v5, 32, v5
	s_delay_alu instid0(VALU_DEP_1) | instskip(NEXT) | instid1(VALU_DEP_1)
	v_subrev_nc_u32_e32 v6, 28, v5
	v_dual_lshlrev_b32 v3, v6, v3 :: v_dual_sub_nc_u32 v5, 29, v5
	s_delay_alu instid0(VALU_DEP_1) | instskip(NEXT) | instid1(VALU_DEP_1)
	v_dual_lshlrev_b32 v2, 24, v2 :: v_dual_bitop2_b32 v3, 7, v3 bitop3:0x40
	v_dual_cndmask_b32 v5, v7, v5, vcc_lo :: v_dual_cndmask_b32 v3, v4, v3, vcc_lo
	s_delay_alu instid0(VALU_DEP_2) | instskip(NEXT) | instid1(VALU_DEP_2)
	v_and_b32_e32 v2, 0x80000000, v2
	v_lshl_add_u32 v4, v5, 23, 0x3b800000
	s_delay_alu instid0(VALU_DEP_3) | instskip(NEXT) | instid1(VALU_DEP_1)
	v_lshlrev_b32_e32 v3, 20, v3
	v_or3_b32 v2, v2, v4, v3
	s_delay_alu instid0(VALU_DEP_1)
	v_cvt_f64_f32_e32 v[44:45], v2
.LBB11_1356:
	s_or_b32 exec_lo, exec_lo, s5
.LBB11_1357:
	s_mov_b32 s4, -1
.LBB11_1358:
	s_branch .LBB11_1391
.LBB11_1359:
	s_cmp_gt_i32 s1, 22
	s_cbranch_scc0 .LBB11_1369
; %bb.1360:
	s_cmp_lt_i32 s1, 24
	s_cbranch_scc1 .LBB11_1372
; %bb.1361:
	s_cmp_gt_i32 s1, 24
	s_cbranch_scc0 .LBB11_1373
; %bb.1362:
	global_load_u8 v2, v[0:1], off
	s_mov_b32 s4, exec_lo
	s_wait_loadcnt 0x0
	v_cmpx_lt_i16_e32 0x7f, v2
	s_xor_b32 s4, exec_lo, s4
	s_cbranch_execz .LBB11_1385
; %bb.1363:
	s_mov_b32 s3, -1
	s_mov_b32 s5, exec_lo
	v_cmpx_eq_u16_e32 0x80, v2
; %bb.1364:
	s_xor_b32 s3, exec_lo, -1
; %bb.1365:
	s_or_b32 exec_lo, exec_lo, s5
	s_delay_alu instid0(SALU_CYCLE_1)
	s_and_b32 s3, s3, exec_lo
	s_or_saveexec_b32 s4, s4
	v_mov_b64_e32 v[44:45], 0x7ff8000020000000
	s_xor_b32 exec_lo, exec_lo, s4
	s_cbranch_execnz .LBB11_1386
.LBB11_1366:
	s_or_b32 exec_lo, exec_lo, s4
	s_and_saveexec_b32 s4, s3
	s_cbranch_execz .LBB11_1368
.LBB11_1367:
	v_and_b32_e32 v3, 0xffff, v2
	s_delay_alu instid0(VALU_DEP_1) | instskip(SKIP_1) | instid1(VALU_DEP_2)
	v_and_b32_e32 v4, 3, v3
	v_bfe_u32 v7, v3, 2, 5
	v_clz_i32_u32_e32 v5, v4
	s_delay_alu instid0(VALU_DEP_2) | instskip(NEXT) | instid1(VALU_DEP_2)
	v_cmp_eq_u32_e32 vcc_lo, 0, v7
	v_min_u32_e32 v5, 32, v5
	s_delay_alu instid0(VALU_DEP_1) | instskip(NEXT) | instid1(VALU_DEP_1)
	v_subrev_nc_u32_e32 v6, 29, v5
	v_dual_lshlrev_b32 v3, v6, v3 :: v_dual_sub_nc_u32 v5, 30, v5
	s_delay_alu instid0(VALU_DEP_1) | instskip(NEXT) | instid1(VALU_DEP_1)
	v_dual_lshlrev_b32 v2, 24, v2 :: v_dual_bitop2_b32 v3, 3, v3 bitop3:0x40
	v_dual_cndmask_b32 v5, v7, v5, vcc_lo :: v_dual_cndmask_b32 v3, v4, v3, vcc_lo
	s_delay_alu instid0(VALU_DEP_2) | instskip(NEXT) | instid1(VALU_DEP_2)
	v_and_b32_e32 v2, 0x80000000, v2
	v_lshl_add_u32 v4, v5, 23, 0x37800000
	s_delay_alu instid0(VALU_DEP_3) | instskip(NEXT) | instid1(VALU_DEP_1)
	v_lshlrev_b32_e32 v3, 21, v3
	v_or3_b32 v2, v2, v4, v3
	s_delay_alu instid0(VALU_DEP_1)
	v_cvt_f64_f32_e32 v[44:45], v2
.LBB11_1368:
	s_or_b32 exec_lo, exec_lo, s4
	s_mov_b32 s3, 0
	s_branch .LBB11_1374
.LBB11_1369:
	s_mov_b32 s3, -1
                                        ; implicit-def: $vgpr44_vgpr45
	s_branch .LBB11_1380
.LBB11_1370:
	s_or_saveexec_b32 s5, s5
	v_mov_b64_e32 v[44:45], 0x7ff8000020000000
	s_xor_b32 exec_lo, exec_lo, s5
	s_cbranch_execz .LBB11_1354
.LBB11_1371:
	v_cmp_ne_u16_e32 vcc_lo, 0, v2
	v_mov_b64_e32 v[44:45], 0
	s_and_not1_b32 s4, s4, exec_lo
	s_and_b32 s6, vcc_lo, exec_lo
	s_delay_alu instid0(SALU_CYCLE_1)
	s_or_b32 s4, s4, s6
	s_or_b32 exec_lo, exec_lo, s5
	s_and_saveexec_b32 s5, s4
	s_cbranch_execnz .LBB11_1355
	s_branch .LBB11_1356
.LBB11_1372:
	s_mov_b32 s3, -1
                                        ; implicit-def: $vgpr44_vgpr45
	s_branch .LBB11_1377
.LBB11_1373:
	s_mov_b32 s3, -1
                                        ; implicit-def: $vgpr44_vgpr45
.LBB11_1374:
	s_delay_alu instid0(SALU_CYCLE_1)
	s_and_b32 vcc_lo, exec_lo, s3
	s_cbranch_vccz .LBB11_1376
; %bb.1375:
	global_load_u8 v2, v[0:1], off
	s_wait_loadcnt 0x0
	v_lshlrev_b32_e32 v2, 24, v2
	s_delay_alu instid0(VALU_DEP_1) | instskip(NEXT) | instid1(VALU_DEP_1)
	v_and_b32_e32 v3, 0x7f000000, v2
	v_clz_i32_u32_e32 v4, v3
	v_cmp_ne_u32_e32 vcc_lo, 0, v3
	v_add_nc_u32_e32 v6, 0x1000000, v3
	s_delay_alu instid0(VALU_DEP_3) | instskip(NEXT) | instid1(VALU_DEP_1)
	v_min_u32_e32 v4, 32, v4
	v_sub_nc_u32_e64 v4, v4, 4 clamp
	s_delay_alu instid0(VALU_DEP_1) | instskip(NEXT) | instid1(VALU_DEP_1)
	v_dual_lshlrev_b32 v5, v4, v3 :: v_dual_lshlrev_b32 v4, 23, v4
	v_lshrrev_b32_e32 v5, 4, v5
	s_delay_alu instid0(VALU_DEP_1) | instskip(NEXT) | instid1(VALU_DEP_1)
	v_dual_sub_nc_u32 v4, v5, v4 :: v_dual_ashrrev_i32 v5, 8, v6
	v_add_nc_u32_e32 v4, 0x3c000000, v4
	s_delay_alu instid0(VALU_DEP_1) | instskip(NEXT) | instid1(VALU_DEP_1)
	v_and_or_b32 v4, 0x7f800000, v5, v4
	v_cndmask_b32_e32 v3, 0, v4, vcc_lo
	s_delay_alu instid0(VALU_DEP_1) | instskip(NEXT) | instid1(VALU_DEP_1)
	v_and_or_b32 v2, 0x80000000, v2, v3
	v_cvt_f64_f32_e32 v[44:45], v2
.LBB11_1376:
	s_mov_b32 s3, 0
.LBB11_1377:
	s_delay_alu instid0(SALU_CYCLE_1)
	s_and_not1_b32 vcc_lo, exec_lo, s3
	s_cbranch_vccnz .LBB11_1379
; %bb.1378:
	global_load_u8 v2, v[0:1], off
	s_wait_loadcnt 0x0
	v_lshlrev_b32_e32 v3, 25, v2
	v_lshlrev_b16 v2, 8, v2
	s_delay_alu instid0(VALU_DEP_1) | instskip(SKIP_1) | instid1(VALU_DEP_2)
	v_and_or_b32 v5, 0x7f00, v2, 0.5
	v_bfe_i32 v2, v2, 0, 16
	v_dual_add_f32 v5, -0.5, v5 :: v_dual_lshrrev_b32 v4, 4, v3
	v_cmp_gt_u32_e32 vcc_lo, 0x8000000, v3
	s_delay_alu instid0(VALU_DEP_2) | instskip(NEXT) | instid1(VALU_DEP_1)
	v_or_b32_e32 v4, 0x70000000, v4
	v_mul_f32_e32 v4, 0x7800000, v4
	s_delay_alu instid0(VALU_DEP_1) | instskip(NEXT) | instid1(VALU_DEP_1)
	v_cndmask_b32_e32 v3, v4, v5, vcc_lo
	v_and_or_b32 v2, 0x80000000, v2, v3
	s_delay_alu instid0(VALU_DEP_1)
	v_cvt_f64_f32_e32 v[44:45], v2
.LBB11_1379:
	s_mov_b32 s3, 0
	s_mov_b32 s4, -1
.LBB11_1380:
	s_and_not1_b32 vcc_lo, exec_lo, s3
	s_mov_b32 s3, 0
	s_cbranch_vccnz .LBB11_1391
; %bb.1381:
	s_cmp_gt_i32 s1, 14
	s_cbranch_scc0 .LBB11_1384
; %bb.1382:
	s_cmp_eq_u32 s1, 15
	s_cbranch_scc0 .LBB11_1387
; %bb.1383:
	global_load_u16 v2, v[0:1], off
	s_mov_b32 s2, 0
	s_mov_b32 s4, -1
	s_wait_loadcnt 0x0
	v_lshlrev_b32_e32 v2, 16, v2
	s_delay_alu instid0(VALU_DEP_1)
	v_cvt_f64_f32_e32 v[44:45], v2
	s_branch .LBB11_1389
.LBB11_1384:
	s_mov_b32 s3, -1
	s_branch .LBB11_1388
.LBB11_1385:
	s_or_saveexec_b32 s4, s4
	v_mov_b64_e32 v[44:45], 0x7ff8000020000000
	s_xor_b32 exec_lo, exec_lo, s4
	s_cbranch_execz .LBB11_1366
.LBB11_1386:
	v_cmp_ne_u16_e32 vcc_lo, 0, v2
	v_mov_b64_e32 v[44:45], 0
	s_and_not1_b32 s3, s3, exec_lo
	s_and_b32 s5, vcc_lo, exec_lo
	s_delay_alu instid0(SALU_CYCLE_1)
	s_or_b32 s3, s3, s5
	s_or_b32 exec_lo, exec_lo, s4
	s_and_saveexec_b32 s4, s3
	s_cbranch_execnz .LBB11_1367
	s_branch .LBB11_1368
.LBB11_1387:
	s_mov_b32 s2, -1
.LBB11_1388:
                                        ; implicit-def: $vgpr44_vgpr45
.LBB11_1389:
	s_and_b32 vcc_lo, exec_lo, s3
	s_mov_b32 s3, 0
	s_cbranch_vccz .LBB11_1391
; %bb.1390:
	s_cmp_lg_u32 s1, 11
	s_mov_b32 s3, -1
	s_cselect_b32 s1, -1, 0
	s_and_not1_b32 s2, s2, exec_lo
	s_and_b32 s1, s1, exec_lo
	s_delay_alu instid0(SALU_CYCLE_1)
	s_or_b32 s2, s2, s1
.LBB11_1391:
	s_mov_b32 s1, 0
.LBB11_1392:
	s_delay_alu instid0(SALU_CYCLE_1)
	s_and_b32 s5, s1, exec_lo
	s_and_not1_b32 s1, s56, exec_lo
	s_and_b32 s6, s2, exec_lo
	s_and_b32 s4, s4, exec_lo
	;; [unrolled: 1-line block ×3, first 2 shown]
	s_or_b32 s56, s1, s6
	s_wait_xcnt 0x0
	s_or_b32 exec_lo, exec_lo, s0
	s_and_saveexec_b32 s0, s56
	s_cbranch_execz .LBB11_1321
.LBB11_1393:
	s_or_b32 s54, s54, exec_lo
	s_and_not1_b32 s2, s2, exec_lo
	s_trap 2
	s_or_b32 exec_lo, exec_lo, s0
	s_and_saveexec_b32 s0, s2
	s_delay_alu instid0(SALU_CYCLE_1)
	s_xor_b32 s0, exec_lo, s0
	s_cbranch_execnz .LBB11_1322
.LBB11_1394:
	s_or_b32 exec_lo, exec_lo, s0
	s_and_saveexec_b32 s0, s5
	s_cbranch_execz .LBB11_1440
.LBB11_1395:
	s_sext_i32_i16 s1, s49
	s_delay_alu instid0(SALU_CYCLE_1)
	s_cmp_lt_i32 s1, 5
	s_cbranch_scc1 .LBB11_1400
; %bb.1396:
	s_cmp_lt_i32 s1, 8
	s_cbranch_scc1 .LBB11_1401
; %bb.1397:
	;; [unrolled: 3-line block ×3, first 2 shown]
	s_cmp_gt_i32 s1, 9
	s_cbranch_scc0 .LBB11_1403
; %bb.1399:
	s_wait_loadcnt 0x0
	global_load_b64 v[44:45], v[0:1], off
	s_mov_b32 s1, 0
	s_branch .LBB11_1404
.LBB11_1400:
                                        ; implicit-def: $vgpr44_vgpr45
	s_branch .LBB11_1421
.LBB11_1401:
                                        ; implicit-def: $vgpr44_vgpr45
	s_branch .LBB11_1410
.LBB11_1402:
	s_mov_b32 s1, -1
                                        ; implicit-def: $vgpr44_vgpr45
	s_branch .LBB11_1407
.LBB11_1403:
	s_mov_b32 s1, -1
                                        ; implicit-def: $vgpr44_vgpr45
.LBB11_1404:
	s_delay_alu instid0(SALU_CYCLE_1)
	s_and_not1_b32 vcc_lo, exec_lo, s1
	s_cbranch_vccnz .LBB11_1406
; %bb.1405:
	global_load_b32 v2, v[0:1], off
	s_wait_loadcnt 0x0
	v_cvt_f64_f32_e32 v[44:45], v2
.LBB11_1406:
	s_mov_b32 s1, 0
.LBB11_1407:
	s_delay_alu instid0(SALU_CYCLE_1)
	s_and_not1_b32 vcc_lo, exec_lo, s1
	s_cbranch_vccnz .LBB11_1409
; %bb.1408:
	global_load_b32 v2, v[0:1], off
	s_wait_loadcnt 0x0
	v_cvt_f32_f16_e32 v2, v2
	s_delay_alu instid0(VALU_DEP_1)
	v_cvt_f64_f32_e32 v[44:45], v2
.LBB11_1409:
	s_cbranch_execnz .LBB11_1420
.LBB11_1410:
	s_sext_i32_i16 s1, s49
	s_delay_alu instid0(SALU_CYCLE_1)
	s_cmp_lt_i32 s1, 6
	s_cbranch_scc1 .LBB11_1413
; %bb.1411:
	s_cmp_gt_i32 s1, 6
	s_cbranch_scc0 .LBB11_1414
; %bb.1412:
	s_wait_loadcnt 0x0
	global_load_b64 v[44:45], v[0:1], off
	s_mov_b32 s1, 0
	s_branch .LBB11_1415
.LBB11_1413:
	s_mov_b32 s1, -1
                                        ; implicit-def: $vgpr44_vgpr45
	s_branch .LBB11_1418
.LBB11_1414:
	s_mov_b32 s1, -1
                                        ; implicit-def: $vgpr44_vgpr45
.LBB11_1415:
	s_delay_alu instid0(SALU_CYCLE_1)
	s_and_not1_b32 vcc_lo, exec_lo, s1
	s_cbranch_vccnz .LBB11_1417
; %bb.1416:
	global_load_b32 v2, v[0:1], off
	s_wait_loadcnt 0x0
	v_cvt_f64_f32_e32 v[44:45], v2
.LBB11_1417:
	s_mov_b32 s1, 0
.LBB11_1418:
	s_delay_alu instid0(SALU_CYCLE_1)
	s_and_not1_b32 vcc_lo, exec_lo, s1
	s_cbranch_vccnz .LBB11_1420
; %bb.1419:
	global_load_u16 v2, v[0:1], off
	s_wait_loadcnt 0x0
	v_cvt_f32_f16_e32 v2, v2
	s_delay_alu instid0(VALU_DEP_1)
	v_cvt_f64_f32_e32 v[44:45], v2
.LBB11_1420:
	s_cbranch_execnz .LBB11_1439
.LBB11_1421:
	s_sext_i32_i16 s1, s49
	s_delay_alu instid0(SALU_CYCLE_1)
	s_cmp_lt_i32 s1, 2
	s_cbranch_scc1 .LBB11_1425
; %bb.1422:
	s_cmp_lt_i32 s1, 3
	s_cbranch_scc1 .LBB11_1426
; %bb.1423:
	s_cmp_gt_i32 s1, 3
	s_cbranch_scc0 .LBB11_1427
; %bb.1424:
	global_load_b64 v[2:3], v[0:1], off
	s_mov_b32 s1, 0
	s_wait_loadcnt 0x0
	v_cvt_f64_i32_e32 v[4:5], v3
	v_cvt_f64_u32_e32 v[2:3], v2
	s_delay_alu instid0(VALU_DEP_2) | instskip(NEXT) | instid1(VALU_DEP_1)
	v_ldexp_f64 v[4:5], v[4:5], 32
	v_add_f64_e32 v[44:45], v[4:5], v[2:3]
	s_branch .LBB11_1428
.LBB11_1425:
                                        ; implicit-def: $vgpr44_vgpr45
	s_branch .LBB11_1434
.LBB11_1426:
	s_mov_b32 s1, -1
                                        ; implicit-def: $vgpr44_vgpr45
	s_branch .LBB11_1431
.LBB11_1427:
	s_mov_b32 s1, -1
                                        ; implicit-def: $vgpr44_vgpr45
.LBB11_1428:
	s_delay_alu instid0(SALU_CYCLE_1)
	s_and_not1_b32 vcc_lo, exec_lo, s1
	s_cbranch_vccnz .LBB11_1430
; %bb.1429:
	global_load_b32 v2, v[0:1], off
	s_wait_loadcnt 0x0
	v_cvt_f64_i32_e32 v[44:45], v2
.LBB11_1430:
	s_mov_b32 s1, 0
.LBB11_1431:
	s_delay_alu instid0(SALU_CYCLE_1)
	s_and_not1_b32 vcc_lo, exec_lo, s1
	s_cbranch_vccnz .LBB11_1433
; %bb.1432:
	global_load_i16 v2, v[0:1], off
	s_wait_loadcnt 0x0
	v_cvt_f64_i32_e32 v[44:45], v2
.LBB11_1433:
	s_cbranch_execnz .LBB11_1439
.LBB11_1434:
	s_sext_i32_i16 s1, s49
	s_delay_alu instid0(SALU_CYCLE_1)
	s_cmp_gt_i32 s1, 0
	s_mov_b32 s1, 0
	s_cbranch_scc0 .LBB11_1436
; %bb.1435:
	global_load_i8 v2, v[0:1], off
	s_wait_loadcnt 0x0
	v_cvt_f64_i32_e32 v[44:45], v2
	s_branch .LBB11_1437
.LBB11_1436:
	s_mov_b32 s1, -1
                                        ; implicit-def: $vgpr44_vgpr45
.LBB11_1437:
	s_delay_alu instid0(SALU_CYCLE_1)
	s_and_not1_b32 vcc_lo, exec_lo, s1
	s_cbranch_vccnz .LBB11_1439
; %bb.1438:
	global_load_u8 v0, v[0:1], off
	s_wait_loadcnt 0x0
	v_cvt_f64_u32_e32 v[44:45], v0
.LBB11_1439:
	s_or_b32 s4, s4, exec_lo
.LBB11_1440:
	s_wait_xcnt 0x0
	s_or_b32 exec_lo, exec_lo, s0
	s_mov_b32 s0, 0
	s_mov_b32 s2, 0
                                        ; implicit-def: $sgpr1
                                        ; implicit-def: $vgpr4_vgpr5
                                        ; implicit-def: $vgpr0_vgpr1
	s_and_saveexec_b32 s56, s4
	s_cbranch_execz .LBB11_1443
; %bb.1441:
	s_and_not1_b32 vcc_lo, exec_lo, s53
	s_cbranch_vccnz .LBB11_1446
; %bb.1442:
	s_wait_loadcnt 0x0
	s_delay_alu instid0(VALU_DEP_1) | instskip(NEXT) | instid1(VALU_DEP_2)
	v_dual_mov_b32 v0, v42 :: v_dual_mov_b32 v1, v43
	v_dual_mov_b32 v2, v44 :: v_dual_mov_b32 v3, v45
	s_get_pc_i64 s[0:1]
	s_add_nc_u64 s[0:1], s[0:1], _ZN12_GLOBAL__N_111calc_igammaIdEET_S1_S1_@rel64+4
	s_delay_alu instid0(SALU_CYCLE_1)
	s_swap_pc_i64 s[30:31], s[0:1]
	s_cbranch_execz .LBB11_1447
	s_branch .LBB11_1448
.LBB11_1443:
	s_or_b32 exec_lo, exec_lo, s56
	s_and_saveexec_b32 s3, s55
	s_cbranch_execnz .LBB11_1525
.LBB11_1444:
	s_or_b32 exec_lo, exec_lo, s3
	s_and_saveexec_b32 s3, s0
	s_delay_alu instid0(SALU_CYCLE_1)
	s_xor_b32 s0, exec_lo, s3
	s_cbranch_execz .LBB11_1526
.LBB11_1445:
	v_cmp_neq_f64_e32 vcc_lo, 0, v[0:1]
	v_cndmask_b32_e64 v2, 0, 1, vcc_lo
	global_store_b8 v[4:5], v2, off
	s_wait_xcnt 0x0
	s_or_b32 exec_lo, exec_lo, s0
	s_and_saveexec_b32 s0, s2
	s_delay_alu instid0(SALU_CYCLE_1)
	s_xor_b32 s0, exec_lo, s0
	s_cbranch_execz .LBB11_1564
	s_branch .LBB11_1527
.LBB11_1446:
                                        ; implicit-def: $vgpr0_vgpr1
.LBB11_1447:
	s_wait_loadcnt 0x0
	s_delay_alu instid0(VALU_DEP_1) | instskip(NEXT) | instid1(VALU_DEP_2)
	v_dual_mov_b32 v0, v42 :: v_dual_mov_b32 v1, v43
	v_dual_mov_b32 v2, v44 :: v_dual_mov_b32 v3, v45
	s_get_pc_i64 s[0:1]
	s_add_nc_u64 s[0:1], s[0:1], _ZN12_GLOBAL__N_112calc_igammacIdEET_S1_S1_@rel64+4
	s_delay_alu instid0(SALU_CYCLE_1)
	s_swap_pc_i64 s[30:31], s[0:1]
.LBB11_1448:
	v_mul_lo_u32 v2, v72, s44
	s_and_b32 s1, s48, 0xff
	s_delay_alu instid0(SALU_CYCLE_1) | instskip(NEXT) | instid1(VALU_DEP_1)
	s_cmp_lt_i32 s1, 11
	v_ashrrev_i32_e32 v3, 31, v2
	s_delay_alu instid0(VALU_DEP_1)
	v_add_nc_u64_e32 v[4:5], s[36:37], v[2:3]
	s_cbranch_scc1 .LBB11_1455
; %bb.1449:
	s_and_b32 s2, 0xffff, s1
	s_mov_b32 s3, -1
	s_cmp_gt_i32 s2, 25
	s_mov_b32 s0, s55
	s_cbranch_scc0 .LBB11_1483
; %bb.1450:
	s_cmp_gt_i32 s2, 28
	s_mov_b32 s0, s55
	s_cbranch_scc0 .LBB11_1467
; %bb.1451:
	;; [unrolled: 4-line block ×4, first 2 shown]
	s_cmp_eq_u32 s2, 46
	s_mov_b32 s0, -1
	s_cbranch_scc0 .LBB11_1456
; %bb.1454:
	v_cvt_f32_f64_e32 v2, v[0:1]
	s_mov_b32 s0, 0
	s_mov_b32 s3, 0
	s_delay_alu instid0(VALU_DEP_1) | instskip(SKIP_1) | instid1(VALU_DEP_2)
	v_bfe_u32 v3, v2, 16, 1
	v_cmp_o_f32_e32 vcc_lo, v2, v2
	v_add3_u32 v3, v2, v3, 0x7fff
	s_delay_alu instid0(VALU_DEP_1) | instskip(NEXT) | instid1(VALU_DEP_1)
	v_lshrrev_b32_e32 v3, 16, v3
	v_cndmask_b32_e32 v2, 0x7fc0, v3, vcc_lo
	global_store_b32 v[4:5], v2, off
	s_branch .LBB11_1457
.LBB11_1455:
	s_mov_b32 s4, 0
	s_mov_b32 s3, -1
	s_mov_b32 s0, s55
	s_branch .LBB11_1524
.LBB11_1456:
	s_mov_b32 s3, 0
.LBB11_1457:
	s_delay_alu instid0(SALU_CYCLE_1)
	s_and_b32 vcc_lo, exec_lo, s3
	s_cbranch_vccz .LBB11_1462
; %bb.1458:
	s_cmp_eq_u32 s2, 44
	s_mov_b32 s0, -1
	s_cbranch_scc0 .LBB11_1462
; %bb.1459:
	s_wait_xcnt 0x0
	v_cvt_f32_f64_e32 v2, v[0:1]
	v_mov_b32_e32 v3, 0xff
	s_mov_b32 s3, exec_lo
	s_delay_alu instid0(VALU_DEP_2) | instskip(NEXT) | instid1(VALU_DEP_1)
	v_bfe_u32 v6, v2, 23, 8
	v_cmpx_ne_u32_e32 0xff, v6
	s_cbranch_execz .LBB11_1461
; %bb.1460:
	v_and_b32_e32 v3, 0x400000, v2
	v_and_or_b32 v6, 0x3fffff, v2, v6
	v_lshrrev_b32_e32 v2, 23, v2
	s_delay_alu instid0(VALU_DEP_3) | instskip(NEXT) | instid1(VALU_DEP_3)
	v_cmp_ne_u32_e32 vcc_lo, 0, v3
	v_cmp_ne_u32_e64 s0, 0, v6
	s_and_b32 s0, vcc_lo, s0
	s_delay_alu instid0(SALU_CYCLE_1) | instskip(NEXT) | instid1(VALU_DEP_1)
	v_cndmask_b32_e64 v3, 0, 1, s0
	v_add_nc_u32_e32 v3, v2, v3
.LBB11_1461:
	s_or_b32 exec_lo, exec_lo, s3
	s_mov_b32 s0, 0
	global_store_b8 v[4:5], v3, off
.LBB11_1462:
	s_mov_b32 s3, 0
.LBB11_1463:
	s_delay_alu instid0(SALU_CYCLE_1)
	s_and_b32 vcc_lo, exec_lo, s3
	s_cbranch_vccz .LBB11_1466
; %bb.1464:
	s_cmp_eq_u32 s2, 29
	s_mov_b32 s0, -1
	s_cbranch_scc0 .LBB11_1466
; %bb.1465:
	s_wait_xcnt 0x0
	v_trunc_f64_e32 v[2:3], v[0:1]
	s_mov_b32 s0, 0
	s_mov_b32 s3, 0
	s_delay_alu instid0(VALU_DEP_1) | instskip(NEXT) | instid1(VALU_DEP_1)
	v_ldexp_f64 v[6:7], v[2:3], 0xffffffe0
	v_floor_f64_e32 v[6:7], v[6:7]
	s_delay_alu instid0(VALU_DEP_1) | instskip(SKIP_1) | instid1(VALU_DEP_2)
	v_fmamk_f64 v[2:3], v[6:7], 0xc1f00000, v[2:3]
	v_cvt_u32_f64_e32 v7, v[6:7]
	v_cvt_u32_f64_e32 v6, v[2:3]
	global_store_b64 v[4:5], v[6:7], off
	s_branch .LBB11_1467
.LBB11_1466:
	s_mov_b32 s3, 0
.LBB11_1467:
	s_delay_alu instid0(SALU_CYCLE_1)
	s_and_b32 vcc_lo, exec_lo, s3
	s_cbranch_vccz .LBB11_1482
; %bb.1468:
	s_cmp_lt_i32 s2, 27
	s_mov_b32 s3, -1
	s_cbranch_scc1 .LBB11_1474
; %bb.1469:
	s_wait_xcnt 0x0
	v_cvt_u32_f64_e32 v2, v[0:1]
	s_cmp_gt_i32 s2, 27
	s_cbranch_scc0 .LBB11_1471
; %bb.1470:
	s_mov_b32 s3, 0
	global_store_b32 v[4:5], v2, off
.LBB11_1471:
	s_and_not1_b32 vcc_lo, exec_lo, s3
	s_cbranch_vccnz .LBB11_1473
; %bb.1472:
	global_store_b16 v[4:5], v2, off
.LBB11_1473:
	s_mov_b32 s3, 0
.LBB11_1474:
	s_delay_alu instid0(SALU_CYCLE_1)
	s_and_not1_b32 vcc_lo, exec_lo, s3
	s_cbranch_vccnz .LBB11_1482
; %bb.1475:
	s_wait_xcnt 0x0
	v_cvt_f32_f64_e32 v2, v[0:1]
	v_mov_b32_e32 v6, 0x80
	s_mov_b32 s3, exec_lo
	s_delay_alu instid0(VALU_DEP_2) | instskip(NEXT) | instid1(VALU_DEP_1)
	v_and_b32_e32 v3, 0x7fffffff, v2
	v_cmpx_gt_u32_e32 0x43800000, v3
	s_cbranch_execz .LBB11_1481
; %bb.1476:
	v_cmp_lt_u32_e32 vcc_lo, 0x3bffffff, v3
	s_mov_b32 s4, 0
                                        ; implicit-def: $vgpr3
	s_and_saveexec_b32 s5, vcc_lo
	s_delay_alu instid0(SALU_CYCLE_1)
	s_xor_b32 s5, exec_lo, s5
	s_cbranch_execz .LBB11_1579
; %bb.1477:
	v_bfe_u32 v3, v2, 20, 1
	s_mov_b32 s4, exec_lo
	s_delay_alu instid0(VALU_DEP_1) | instskip(NEXT) | instid1(VALU_DEP_1)
	v_add3_u32 v3, v2, v3, 0x487ffff
	v_lshrrev_b32_e32 v3, 20, v3
	s_and_not1_saveexec_b32 s5, s5
	s_cbranch_execnz .LBB11_1580
.LBB11_1478:
	s_or_b32 exec_lo, exec_lo, s5
	v_mov_b32_e32 v6, 0
	s_and_saveexec_b32 s5, s4
.LBB11_1479:
	v_lshrrev_b32_e32 v2, 24, v2
	s_delay_alu instid0(VALU_DEP_1)
	v_and_or_b32 v6, 0x80, v2, v3
.LBB11_1480:
	s_or_b32 exec_lo, exec_lo, s5
.LBB11_1481:
	s_delay_alu instid0(SALU_CYCLE_1)
	s_or_b32 exec_lo, exec_lo, s3
	global_store_b8 v[4:5], v6, off
.LBB11_1482:
	s_mov_b32 s3, 0
.LBB11_1483:
	s_delay_alu instid0(SALU_CYCLE_1)
	s_and_b32 vcc_lo, exec_lo, s3
	s_mov_b32 s3, 0
	s_cbranch_vccz .LBB11_1523
; %bb.1484:
	s_cmp_gt_i32 s2, 22
	s_mov_b32 s4, -1
	s_cbranch_scc0 .LBB11_1516
; %bb.1485:
	s_cmp_lt_i32 s2, 24
	s_cbranch_scc1 .LBB11_1505
; %bb.1486:
	s_cmp_gt_i32 s2, 24
	s_cbranch_scc0 .LBB11_1494
; %bb.1487:
	s_wait_xcnt 0x0
	v_cvt_f32_f64_e32 v2, v[0:1]
	v_mov_b32_e32 v6, 0x80
	s_mov_b32 s4, exec_lo
	s_delay_alu instid0(VALU_DEP_2) | instskip(NEXT) | instid1(VALU_DEP_1)
	v_and_b32_e32 v3, 0x7fffffff, v2
	v_cmpx_gt_u32_e32 0x47800000, v3
	s_cbranch_execz .LBB11_1493
; %bb.1488:
	v_cmp_lt_u32_e32 vcc_lo, 0x37ffffff, v3
	s_mov_b32 s5, 0
                                        ; implicit-def: $vgpr3
	s_and_saveexec_b32 s6, vcc_lo
	s_delay_alu instid0(SALU_CYCLE_1)
	s_xor_b32 s6, exec_lo, s6
	s_cbranch_execz .LBB11_1705
; %bb.1489:
	v_bfe_u32 v3, v2, 21, 1
	s_mov_b32 s5, exec_lo
	s_delay_alu instid0(VALU_DEP_1) | instskip(NEXT) | instid1(VALU_DEP_1)
	v_add3_u32 v3, v2, v3, 0x88fffff
	v_lshrrev_b32_e32 v3, 21, v3
	s_and_not1_saveexec_b32 s6, s6
	s_cbranch_execnz .LBB11_1706
.LBB11_1490:
	s_or_b32 exec_lo, exec_lo, s6
	v_mov_b32_e32 v6, 0
	s_and_saveexec_b32 s6, s5
.LBB11_1491:
	v_lshrrev_b32_e32 v2, 24, v2
	s_delay_alu instid0(VALU_DEP_1)
	v_and_or_b32 v6, 0x80, v2, v3
.LBB11_1492:
	s_or_b32 exec_lo, exec_lo, s6
.LBB11_1493:
	s_delay_alu instid0(SALU_CYCLE_1)
	s_or_b32 exec_lo, exec_lo, s4
	s_mov_b32 s4, 0
	global_store_b8 v[4:5], v6, off
.LBB11_1494:
	s_and_b32 vcc_lo, exec_lo, s4
	s_cbranch_vccz .LBB11_1504
; %bb.1495:
	s_wait_xcnt 0x0
	v_cvt_f32_f64_e32 v2, v[0:1]
	s_mov_b32 s4, exec_lo
                                        ; implicit-def: $vgpr3
	s_delay_alu instid0(VALU_DEP_1) | instskip(NEXT) | instid1(VALU_DEP_1)
	v_and_b32_e32 v6, 0x7fffffff, v2
	v_cmpx_gt_u32_e32 0x43f00000, v6
	s_xor_b32 s4, exec_lo, s4
	s_cbranch_execz .LBB11_1501
; %bb.1496:
	s_mov_b32 s5, exec_lo
                                        ; implicit-def: $vgpr3
	v_cmpx_lt_u32_e32 0x3c7fffff, v6
	s_xor_b32 s5, exec_lo, s5
; %bb.1497:
	v_bfe_u32 v3, v2, 20, 1
	s_delay_alu instid0(VALU_DEP_1) | instskip(NEXT) | instid1(VALU_DEP_1)
	v_add3_u32 v3, v2, v3, 0x407ffff
	v_and_b32_e32 v6, 0xff00000, v3
	v_lshrrev_b32_e32 v3, 20, v3
	s_delay_alu instid0(VALU_DEP_2) | instskip(NEXT) | instid1(VALU_DEP_2)
	v_cmp_ne_u32_e32 vcc_lo, 0x7f00000, v6
	v_cndmask_b32_e32 v3, 0x7e, v3, vcc_lo
; %bb.1498:
	s_and_not1_saveexec_b32 s5, s5
; %bb.1499:
	v_add_f32_e64 v3, 0x46800000, |v2|
; %bb.1500:
	s_or_b32 exec_lo, exec_lo, s5
                                        ; implicit-def: $vgpr6
.LBB11_1501:
	s_and_not1_saveexec_b32 s4, s4
; %bb.1502:
	v_mov_b32_e32 v3, 0x7f
	v_cmp_lt_u32_e32 vcc_lo, 0x7f800000, v6
	s_delay_alu instid0(VALU_DEP_2)
	v_cndmask_b32_e32 v3, 0x7e, v3, vcc_lo
; %bb.1503:
	s_or_b32 exec_lo, exec_lo, s4
	v_lshrrev_b32_e32 v2, 24, v2
	s_delay_alu instid0(VALU_DEP_1)
	v_and_or_b32 v2, 0x80, v2, v3
	global_store_b8 v[4:5], v2, off
.LBB11_1504:
	s_mov_b32 s4, 0
.LBB11_1505:
	s_delay_alu instid0(SALU_CYCLE_1)
	s_and_not1_b32 vcc_lo, exec_lo, s4
	s_cbranch_vccnz .LBB11_1515
; %bb.1506:
	s_wait_xcnt 0x0
	v_cvt_f32_f64_e32 v2, v[0:1]
	s_mov_b32 s4, exec_lo
                                        ; implicit-def: $vgpr3
	s_delay_alu instid0(VALU_DEP_1) | instskip(NEXT) | instid1(VALU_DEP_1)
	v_and_b32_e32 v6, 0x7fffffff, v2
	v_cmpx_gt_u32_e32 0x47800000, v6
	s_xor_b32 s4, exec_lo, s4
	s_cbranch_execz .LBB11_1512
; %bb.1507:
	s_mov_b32 s5, exec_lo
                                        ; implicit-def: $vgpr3
	v_cmpx_lt_u32_e32 0x387fffff, v6
	s_xor_b32 s5, exec_lo, s5
; %bb.1508:
	v_bfe_u32 v3, v2, 21, 1
	s_delay_alu instid0(VALU_DEP_1) | instskip(NEXT) | instid1(VALU_DEP_1)
	v_add3_u32 v3, v2, v3, 0x80fffff
	v_lshrrev_b32_e32 v3, 21, v3
; %bb.1509:
	s_and_not1_saveexec_b32 s5, s5
; %bb.1510:
	v_add_f32_e64 v3, 0x43000000, |v2|
; %bb.1511:
	s_or_b32 exec_lo, exec_lo, s5
                                        ; implicit-def: $vgpr6
.LBB11_1512:
	s_and_not1_saveexec_b32 s4, s4
; %bb.1513:
	v_mov_b32_e32 v3, 0x7f
	v_cmp_lt_u32_e32 vcc_lo, 0x7f800000, v6
	s_delay_alu instid0(VALU_DEP_2)
	v_cndmask_b32_e32 v3, 0x7c, v3, vcc_lo
; %bb.1514:
	s_or_b32 exec_lo, exec_lo, s4
	v_lshrrev_b32_e32 v2, 24, v2
	s_delay_alu instid0(VALU_DEP_1)
	v_and_or_b32 v2, 0x80, v2, v3
	global_store_b8 v[4:5], v2, off
.LBB11_1515:
	s_mov_b32 s4, 0
.LBB11_1516:
	s_delay_alu instid0(SALU_CYCLE_1)
	s_and_not1_b32 vcc_lo, exec_lo, s4
	s_mov_b32 s4, 0
	s_cbranch_vccnz .LBB11_1524
; %bb.1517:
	s_cmp_gt_i32 s2, 14
	s_mov_b32 s4, -1
	s_cbranch_scc0 .LBB11_1521
; %bb.1518:
	s_cmp_eq_u32 s2, 15
	s_mov_b32 s0, -1
	s_cbranch_scc0 .LBB11_1520
; %bb.1519:
	s_wait_xcnt 0x0
	v_cvt_f32_f64_e32 v2, v[0:1]
	s_mov_b32 s0, 0
	s_delay_alu instid0(VALU_DEP_1) | instskip(SKIP_1) | instid1(VALU_DEP_2)
	v_bfe_u32 v3, v2, 16, 1
	v_cmp_o_f32_e32 vcc_lo, v2, v2
	v_add3_u32 v3, v2, v3, 0x7fff
	s_delay_alu instid0(VALU_DEP_1) | instskip(NEXT) | instid1(VALU_DEP_1)
	v_lshrrev_b32_e32 v3, 16, v3
	v_cndmask_b32_e32 v2, 0x7fc0, v3, vcc_lo
	global_store_b16 v[4:5], v2, off
.LBB11_1520:
	s_mov_b32 s4, 0
.LBB11_1521:
	s_delay_alu instid0(SALU_CYCLE_1)
	s_and_b32 vcc_lo, exec_lo, s4
	s_mov_b32 s4, 0
	s_cbranch_vccz .LBB11_1524
; %bb.1522:
	s_cmp_lg_u32 s2, 11
	s_mov_b32 s4, -1
	s_cselect_b32 s2, -1, 0
	s_and_not1_b32 s0, s0, exec_lo
	s_and_b32 s2, s2, exec_lo
	s_delay_alu instid0(SALU_CYCLE_1)
	s_or_b32 s0, s0, s2
	s_branch .LBB11_1524
.LBB11_1523:
	s_mov_b32 s4, 0
.LBB11_1524:
	s_and_b32 s2, s3, exec_lo
	s_and_not1_b32 s3, s55, exec_lo
	s_and_b32 s5, s0, exec_lo
	s_and_b32 s0, s4, exec_lo
	s_or_b32 s55, s3, s5
	s_wait_xcnt 0x0
	s_or_b32 exec_lo, exec_lo, s56
	s_and_saveexec_b32 s3, s55
	s_cbranch_execz .LBB11_1444
.LBB11_1525:
	s_or_b32 s54, s54, exec_lo
	s_and_not1_b32 s0, s0, exec_lo
	s_trap 2
	s_or_b32 exec_lo, exec_lo, s3
	s_and_saveexec_b32 s3, s0
	s_delay_alu instid0(SALU_CYCLE_1)
	s_xor_b32 s0, exec_lo, s3
	s_cbranch_execnz .LBB11_1445
.LBB11_1526:
	s_or_b32 exec_lo, exec_lo, s0
	s_and_saveexec_b32 s0, s2
	s_delay_alu instid0(SALU_CYCLE_1)
	s_xor_b32 s0, exec_lo, s0
	s_cbranch_execz .LBB11_1564
.LBB11_1527:
	s_sext_i32_i16 s3, s1
	s_mov_b32 s2, -1
	s_cmp_lt_i32 s3, 5
	s_cbranch_scc1 .LBB11_1548
; %bb.1528:
	s_cmp_lt_i32 s3, 8
	s_cbranch_scc1 .LBB11_1538
; %bb.1529:
	s_cmp_lt_i32 s3, 9
	s_cbranch_scc1 .LBB11_1535
; %bb.1530:
	s_cmp_gt_i32 s3, 9
	s_cbranch_scc0 .LBB11_1532
; %bb.1531:
	v_mov_b32_e32 v2, 0
	s_mov_b32 s2, 0
	s_delay_alu instid0(VALU_DEP_1)
	v_mov_b32_e32 v3, v2
	global_store_b128 v[4:5], v[0:3], off
.LBB11_1532:
	s_and_not1_b32 vcc_lo, exec_lo, s2
	s_cbranch_vccnz .LBB11_1534
; %bb.1533:
	s_wait_xcnt 0x0
	v_cvt_f32_f64_e32 v2, v[0:1]
	v_mov_b32_e32 v3, 0
	global_store_b64 v[4:5], v[2:3], off
.LBB11_1534:
	s_mov_b32 s2, 0
.LBB11_1535:
	s_delay_alu instid0(SALU_CYCLE_1)
	s_and_not1_b32 vcc_lo, exec_lo, s2
	s_cbranch_vccnz .LBB11_1537
; %bb.1536:
	s_wait_xcnt 0x0
	v_and_or_b32 v2, 0x1ff, v1, v0
	v_lshrrev_b32_e32 v3, 8, v1
	v_bfe_u32 v6, v1, 20, 11
	s_delay_alu instid0(VALU_DEP_3) | instskip(NEXT) | instid1(VALU_DEP_2)
	v_cmp_ne_u32_e32 vcc_lo, 0, v2
	v_sub_nc_u32_e32 v7, 0x3f1, v6
	v_cndmask_b32_e64 v2, 0, 1, vcc_lo
	s_delay_alu instid0(VALU_DEP_1) | instskip(NEXT) | instid1(VALU_DEP_3)
	v_and_or_b32 v2, 0xffe, v3, v2
	v_med3_i32 v3, v7, 0, 13
	s_delay_alu instid0(VALU_DEP_2) | instskip(NEXT) | instid1(VALU_DEP_1)
	v_or_b32_e32 v7, 0x1000, v2
	v_lshrrev_b32_e32 v8, v3, v7
	s_delay_alu instid0(VALU_DEP_1) | instskip(NEXT) | instid1(VALU_DEP_1)
	v_lshlrev_b32_e32 v3, v3, v8
	v_cmp_ne_u32_e32 vcc_lo, v3, v7
	v_cndmask_b32_e64 v3, 0, 1, vcc_lo
	s_delay_alu instid0(VALU_DEP_1) | instskip(SKIP_1) | instid1(VALU_DEP_1)
	v_or_b32_e32 v3, v8, v3
	v_add_nc_u32_e32 v6, 0xfffffc10, v6
	v_lshl_or_b32 v7, v6, 12, v2
	v_cmp_gt_i32_e32 vcc_lo, 1, v6
	s_delay_alu instid0(VALU_DEP_2) | instskip(NEXT) | instid1(VALU_DEP_1)
	v_cndmask_b32_e32 v3, v7, v3, vcc_lo
	v_dual_lshrrev_b32 v3, 2, v3 :: v_dual_bitop2_b32 v7, 7, v3 bitop3:0x40
	s_delay_alu instid0(VALU_DEP_1) | instskip(SKIP_4) | instid1(VALU_DEP_2)
	v_cmp_lt_i32_e32 vcc_lo, 5, v7
	v_cndmask_b32_e64 v8, 0, 1, vcc_lo
	v_cmp_eq_u32_e32 vcc_lo, 3, v7
	v_cndmask_b32_e64 v7, 0, 1, vcc_lo
	v_cmp_ne_u32_e32 vcc_lo, 0, v2
	v_or_b32_e32 v7, v7, v8
	s_delay_alu instid0(VALU_DEP_1) | instskip(NEXT) | instid1(VALU_DEP_1)
	v_dual_mov_b32 v8, 0x7e00 :: v_dual_add_nc_u32 v3, v3, v7
	v_cndmask_b32_e32 v2, 0x7c00, v8, vcc_lo
	v_cmp_gt_i32_e32 vcc_lo, 31, v6
	v_lshrrev_b32_e32 v7, 16, v1
	s_delay_alu instid0(VALU_DEP_4) | instskip(SKIP_1) | instid1(VALU_DEP_2)
	v_cndmask_b32_e32 v3, 0x7c00, v3, vcc_lo
	v_cmp_eq_u32_e32 vcc_lo, 0x40f, v6
	v_cndmask_b32_e32 v2, v3, v2, vcc_lo
	s_delay_alu instid0(VALU_DEP_4) | instskip(NEXT) | instid1(VALU_DEP_1)
	v_and_b32_e32 v3, 0x8000, v7
	v_bitop3_b32 v2, v3, 0xffff, v2 bitop3:0xc8
	global_store_b32 v[4:5], v2, off
.LBB11_1537:
	s_mov_b32 s2, 0
.LBB11_1538:
	s_delay_alu instid0(SALU_CYCLE_1)
	s_and_not1_b32 vcc_lo, exec_lo, s2
	s_cbranch_vccnz .LBB11_1547
; %bb.1539:
	s_sext_i32_i16 s3, s1
	s_mov_b32 s2, -1
	s_cmp_lt_i32 s3, 6
	s_cbranch_scc1 .LBB11_1545
; %bb.1540:
	s_cmp_gt_i32 s3, 6
	s_cbranch_scc0 .LBB11_1542
; %bb.1541:
	s_mov_b32 s2, 0
	global_store_b64 v[4:5], v[0:1], off
.LBB11_1542:
	s_and_not1_b32 vcc_lo, exec_lo, s2
	s_cbranch_vccnz .LBB11_1544
; %bb.1543:
	s_wait_xcnt 0x0
	v_cvt_f32_f64_e32 v2, v[0:1]
	global_store_b32 v[4:5], v2, off
.LBB11_1544:
	s_mov_b32 s2, 0
.LBB11_1545:
	s_delay_alu instid0(SALU_CYCLE_1)
	s_and_not1_b32 vcc_lo, exec_lo, s2
	s_cbranch_vccnz .LBB11_1547
; %bb.1546:
	s_wait_xcnt 0x0
	v_and_or_b32 v2, 0x1ff, v1, v0
	v_lshrrev_b32_e32 v3, 8, v1
	v_bfe_u32 v6, v1, 20, 11
	s_delay_alu instid0(VALU_DEP_3) | instskip(NEXT) | instid1(VALU_DEP_2)
	v_cmp_ne_u32_e32 vcc_lo, 0, v2
	v_sub_nc_u32_e32 v7, 0x3f1, v6
	v_cndmask_b32_e64 v2, 0, 1, vcc_lo
	s_delay_alu instid0(VALU_DEP_1) | instskip(NEXT) | instid1(VALU_DEP_3)
	v_and_or_b32 v2, 0xffe, v3, v2
	v_med3_i32 v3, v7, 0, 13
	s_delay_alu instid0(VALU_DEP_2) | instskip(NEXT) | instid1(VALU_DEP_1)
	v_or_b32_e32 v7, 0x1000, v2
	v_lshrrev_b32_e32 v8, v3, v7
	s_delay_alu instid0(VALU_DEP_1) | instskip(NEXT) | instid1(VALU_DEP_1)
	v_lshlrev_b32_e32 v3, v3, v8
	v_cmp_ne_u32_e32 vcc_lo, v3, v7
	v_cndmask_b32_e64 v3, 0, 1, vcc_lo
	s_delay_alu instid0(VALU_DEP_1) | instskip(SKIP_1) | instid1(VALU_DEP_1)
	v_or_b32_e32 v3, v8, v3
	v_add_nc_u32_e32 v6, 0xfffffc10, v6
	v_lshl_or_b32 v7, v6, 12, v2
	v_cmp_gt_i32_e32 vcc_lo, 1, v6
	s_delay_alu instid0(VALU_DEP_2) | instskip(NEXT) | instid1(VALU_DEP_1)
	v_cndmask_b32_e32 v3, v7, v3, vcc_lo
	v_dual_lshrrev_b32 v3, 2, v3 :: v_dual_bitop2_b32 v7, 7, v3 bitop3:0x40
	s_delay_alu instid0(VALU_DEP_1) | instskip(SKIP_4) | instid1(VALU_DEP_2)
	v_cmp_lt_i32_e32 vcc_lo, 5, v7
	v_cndmask_b32_e64 v8, 0, 1, vcc_lo
	v_cmp_eq_u32_e32 vcc_lo, 3, v7
	v_cndmask_b32_e64 v7, 0, 1, vcc_lo
	v_cmp_ne_u32_e32 vcc_lo, 0, v2
	v_or_b32_e32 v7, v7, v8
	s_delay_alu instid0(VALU_DEP_1) | instskip(NEXT) | instid1(VALU_DEP_1)
	v_dual_mov_b32 v8, 0x7e00 :: v_dual_add_nc_u32 v3, v3, v7
	v_cndmask_b32_e32 v2, 0x7c00, v8, vcc_lo
	v_cmp_gt_i32_e32 vcc_lo, 31, v6
	s_delay_alu instid0(VALU_DEP_3) | instskip(SKIP_1) | instid1(VALU_DEP_2)
	v_cndmask_b32_e32 v3, 0x7c00, v3, vcc_lo
	v_cmp_eq_u32_e32 vcc_lo, 0x40f, v6
	v_dual_cndmask_b32 v2, v3, v2 :: v_dual_lshrrev_b32 v3, 16, v1
	s_delay_alu instid0(VALU_DEP_1)
	v_and_or_b32 v2, 0x8000, v3, v2
	global_store_b16 v[4:5], v2, off
.LBB11_1547:
	s_mov_b32 s2, 0
.LBB11_1548:
	s_delay_alu instid0(SALU_CYCLE_1)
	s_and_not1_b32 vcc_lo, exec_lo, s2
	s_cbranch_vccnz .LBB11_1564
; %bb.1549:
	s_sext_i32_i16 s3, s1
	s_mov_b32 s2, -1
	s_cmp_lt_i32 s3, 2
	s_cbranch_scc1 .LBB11_1559
; %bb.1550:
	s_cmp_lt_i32 s3, 3
	s_cbranch_scc1 .LBB11_1556
; %bb.1551:
	s_cmp_gt_i32 s3, 3
	s_cbranch_scc0 .LBB11_1553
; %bb.1552:
	s_wait_xcnt 0x0
	v_trunc_f64_e32 v[2:3], v[0:1]
	s_mov_b32 s2, 0
	s_delay_alu instid0(VALU_DEP_1) | instskip(NEXT) | instid1(VALU_DEP_1)
	v_ldexp_f64 v[6:7], v[2:3], 0xffffffe0
	v_floor_f64_e32 v[6:7], v[6:7]
	s_delay_alu instid0(VALU_DEP_1) | instskip(SKIP_1) | instid1(VALU_DEP_2)
	v_fmamk_f64 v[2:3], v[6:7], 0xc1f00000, v[2:3]
	v_cvt_i32_f64_e32 v7, v[6:7]
	v_cvt_u32_f64_e32 v6, v[2:3]
	global_store_b64 v[4:5], v[6:7], off
.LBB11_1553:
	s_and_not1_b32 vcc_lo, exec_lo, s2
	s_cbranch_vccnz .LBB11_1555
; %bb.1554:
	s_wait_xcnt 0x0
	v_cvt_i32_f64_e32 v2, v[0:1]
	global_store_b32 v[4:5], v2, off
.LBB11_1555:
	s_mov_b32 s2, 0
.LBB11_1556:
	s_delay_alu instid0(SALU_CYCLE_1)
	s_and_not1_b32 vcc_lo, exec_lo, s2
	s_cbranch_vccnz .LBB11_1558
; %bb.1557:
	s_wait_xcnt 0x0
	v_cvt_i32_f64_e32 v2, v[0:1]
	global_store_b16 v[4:5], v2, off
.LBB11_1558:
	s_mov_b32 s2, 0
.LBB11_1559:
	s_delay_alu instid0(SALU_CYCLE_1)
	s_and_not1_b32 vcc_lo, exec_lo, s2
	s_cbranch_vccnz .LBB11_1564
; %bb.1560:
	s_sext_i32_i16 s1, s1
	s_delay_alu instid0(SALU_CYCLE_1)
	s_cmp_gt_i32 s1, 0
	s_mov_b32 s1, -1
	s_cbranch_scc0 .LBB11_1562
; %bb.1561:
	s_wait_xcnt 0x0
	v_cvt_i32_f64_e32 v2, v[0:1]
	s_mov_b32 s1, 0
	global_store_b8 v[4:5], v2, off
.LBB11_1562:
	s_and_not1_b32 vcc_lo, exec_lo, s1
	s_cbranch_vccnz .LBB11_1564
; %bb.1563:
	s_wait_xcnt 0x0
	v_trunc_f64_e32 v[0:1], v[0:1]
	s_delay_alu instid0(VALU_DEP_1) | instskip(NEXT) | instid1(VALU_DEP_1)
	v_ldexp_f64 v[2:3], v[0:1], 0xffffffe0
	v_floor_f64_e32 v[2:3], v[2:3]
	s_delay_alu instid0(VALU_DEP_1) | instskip(NEXT) | instid1(VALU_DEP_1)
	v_fmamk_f64 v[0:1], v[2:3], 0xc1f00000, v[0:1]
	v_cvt_u32_f64_e32 v0, v[0:1]
	global_store_b8 v[4:5], v0, off
.LBB11_1564:
	s_wait_xcnt 0x0
	s_or_b32 exec_lo, exec_lo, s0
	s_delay_alu instid0(SALU_CYCLE_1)
	s_and_b32 s53, s54, exec_lo
                                        ; implicit-def: $vgpr72
.LBB11_1565:
	s_or_saveexec_b32 s52, s52
	s_mov_b32 s0, 0
                                        ; implicit-def: $sgpr1
                                        ; implicit-def: $vgpr4_vgpr5
                                        ; implicit-def: $vgpr0_vgpr1
	s_xor_b32 exec_lo, exec_lo, s52
	s_cbranch_execz .LBB11_2626
; %bb.1566:
	v_mul_lo_u32 v56, s45, v72
	s_and_b32 s51, s51, 0xff
	s_delay_alu instid0(SALU_CYCLE_1) | instskip(NEXT) | instid1(VALU_DEP_1)
	s_cmp_lt_i32 s51, 11
	v_ashrrev_i32_e32 v57, 31, v56
	s_delay_alu instid0(VALU_DEP_1)
	v_add_nc_u64_e32 v[0:1], s[38:39], v[56:57]
	s_cbranch_scc1 .LBB11_1573
; %bb.1567:
	s_and_b32 s0, 0xffff, s51
	s_mov_b32 s2, 0
	s_cmp_gt_i32 s0, 25
	s_cbranch_scc0 .LBB11_1575
; %bb.1568:
	s_cmp_gt_i32 s0, 28
	s_cbranch_scc0 .LBB11_1576
; %bb.1569:
	;; [unrolled: 3-line block ×4, first 2 shown]
	s_cmp_eq_u32 s0, 46
	s_mov_b32 s4, 0
	s_cbranch_scc0 .LBB11_1581
; %bb.1572:
	global_load_b32 v2, v[0:1], off
	s_mov_b32 s1, 0
	s_mov_b32 s3, -1
	s_wait_loadcnt 0x0
	v_lshlrev_b32_e32 v2, 16, v2
	s_delay_alu instid0(VALU_DEP_1)
	v_cvt_f64_f32_e32 v[44:45], v2
	s_branch .LBB11_1583
.LBB11_1573:
	s_mov_b32 s3, 0
	s_mov_b32 s50, s53
                                        ; implicit-def: $vgpr44_vgpr45
	s_cbranch_execnz .LBB11_1646
.LBB11_1574:
	s_and_not1_b32 vcc_lo, exec_lo, s3
                                        ; implicit-def: $vgpr2_vgpr3
	s_cbranch_vccz .LBB11_1691
	s_branch .LBB11_2624
.LBB11_1575:
	s_mov_b32 s3, 0
	s_mov_b32 s1, 0
                                        ; implicit-def: $vgpr44_vgpr45
	s_cbranch_execnz .LBB11_1611
	s_branch .LBB11_1642
.LBB11_1576:
	s_mov_b32 s4, -1
	s_mov_b32 s3, 0
	s_mov_b32 s1, 0
                                        ; implicit-def: $vgpr44_vgpr45
	s_branch .LBB11_1592
.LBB11_1577:
	s_mov_b32 s3, 0
	s_mov_b32 s1, 0
                                        ; implicit-def: $vgpr44_vgpr45
	s_cbranch_execnz .LBB11_1588
	s_branch .LBB11_1591
.LBB11_1578:
	s_mov_b32 s4, -1
	s_mov_b32 s3, 0
	s_mov_b32 s1, 0
	s_branch .LBB11_1582
.LBB11_1579:
	s_and_not1_saveexec_b32 s5, s5
	s_cbranch_execz .LBB11_1478
.LBB11_1580:
	v_add_f32_e64 v3, 0x46000000, |v2|
	s_and_not1_b32 s4, s4, exec_lo
	s_delay_alu instid0(VALU_DEP_1) | instskip(NEXT) | instid1(VALU_DEP_1)
	v_and_b32_e32 v3, 0xff, v3
	v_cmp_ne_u32_e32 vcc_lo, 0, v3
	s_and_b32 s6, vcc_lo, exec_lo
	s_delay_alu instid0(SALU_CYCLE_1)
	s_or_b32 s4, s4, s6
	s_or_b32 exec_lo, exec_lo, s5
	v_mov_b32_e32 v6, 0
	s_and_saveexec_b32 s5, s4
	s_cbranch_execnz .LBB11_1479
	s_branch .LBB11_1480
.LBB11_1581:
	s_mov_b32 s1, -1
	s_mov_b32 s3, 0
.LBB11_1582:
                                        ; implicit-def: $vgpr44_vgpr45
.LBB11_1583:
	s_and_b32 vcc_lo, exec_lo, s4
	s_cbranch_vccz .LBB11_1586
; %bb.1584:
	s_cmp_eq_u32 s0, 44
	s_cbranch_scc0 .LBB11_1587
; %bb.1585:
	global_load_u8 v4, v[0:1], off
	s_mov_b32 s1, 0
	s_mov_b32 s3, -1
	s_wait_loadcnt 0x0
	v_cmp_ne_u32_e32 vcc_lo, 0xff, v4
	v_lshlrev_b32_e32 v2, 23, v4
	s_delay_alu instid0(VALU_DEP_1) | instskip(NEXT) | instid1(VALU_DEP_1)
	v_cvt_f64_f32_e32 v[2:3], v2
	v_cndmask_b32_e32 v2, 0x20000000, v2, vcc_lo
	s_delay_alu instid0(VALU_DEP_2) | instskip(SKIP_1) | instid1(VALU_DEP_2)
	v_cndmask_b32_e32 v3, 0x7ff80000, v3, vcc_lo
	v_cmp_ne_u32_e32 vcc_lo, 0, v4
	v_cndmask_b32_e32 v45, 0x38000000, v3, vcc_lo
	s_delay_alu instid0(VALU_DEP_4)
	v_cndmask_b32_e32 v44, 0, v2, vcc_lo
.LBB11_1586:
	s_branch .LBB11_1591
.LBB11_1587:
	s_mov_b32 s1, -1
                                        ; implicit-def: $vgpr44_vgpr45
	s_branch .LBB11_1591
.LBB11_1588:
	s_cmp_eq_u32 s0, 29
	s_cbranch_scc0 .LBB11_1590
; %bb.1589:
	global_load_b64 v[2:3], v[0:1], off
	s_mov_b32 s1, 0
	s_mov_b32 s3, -1
	s_mov_b32 s4, 0
	s_wait_loadcnt 0x0
	v_cvt_f64_u32_e32 v[4:5], v3
	v_cvt_f64_u32_e32 v[2:3], v2
	s_delay_alu instid0(VALU_DEP_2) | instskip(NEXT) | instid1(VALU_DEP_1)
	v_ldexp_f64 v[4:5], v[4:5], 32
	v_add_f64_e32 v[44:45], v[4:5], v[2:3]
	s_branch .LBB11_1592
.LBB11_1590:
	s_mov_b32 s1, -1
                                        ; implicit-def: $vgpr44_vgpr45
.LBB11_1591:
	s_mov_b32 s4, 0
.LBB11_1592:
	s_delay_alu instid0(SALU_CYCLE_1)
	s_and_b32 vcc_lo, exec_lo, s4
	s_cbranch_vccz .LBB11_1610
; %bb.1593:
	s_cmp_lt_i32 s0, 27
	s_cbranch_scc1 .LBB11_1596
; %bb.1594:
	s_cmp_gt_i32 s0, 27
	s_cbranch_scc0 .LBB11_1597
; %bb.1595:
	global_load_b32 v2, v[0:1], off
	s_mov_b32 s3, 0
	s_wait_loadcnt 0x0
	v_cvt_f64_u32_e32 v[44:45], v2
	s_branch .LBB11_1598
.LBB11_1596:
	s_mov_b32 s3, -1
                                        ; implicit-def: $vgpr44_vgpr45
	s_branch .LBB11_1601
.LBB11_1597:
	s_mov_b32 s3, -1
                                        ; implicit-def: $vgpr44_vgpr45
.LBB11_1598:
	s_delay_alu instid0(SALU_CYCLE_1)
	s_and_not1_b32 vcc_lo, exec_lo, s3
	s_cbranch_vccnz .LBB11_1600
; %bb.1599:
	global_load_u16 v2, v[0:1], off
	s_wait_loadcnt 0x0
	v_cvt_f64_u32_e32 v[44:45], v2
.LBB11_1600:
	s_mov_b32 s3, 0
.LBB11_1601:
	s_delay_alu instid0(SALU_CYCLE_1)
	s_and_not1_b32 vcc_lo, exec_lo, s3
	s_cbranch_vccnz .LBB11_1609
; %bb.1602:
	global_load_u8 v2, v[0:1], off
	s_mov_b32 s3, 0
	s_mov_b32 s4, exec_lo
	s_wait_loadcnt 0x0
	v_cmpx_lt_i16_e32 0x7f, v2
	s_xor_b32 s4, exec_lo, s4
	s_cbranch_execz .LBB11_1622
; %bb.1603:
	s_mov_b32 s3, -1
	s_mov_b32 s5, exec_lo
	v_cmpx_eq_u16_e32 0x80, v2
; %bb.1604:
	s_xor_b32 s3, exec_lo, -1
; %bb.1605:
	s_or_b32 exec_lo, exec_lo, s5
	s_delay_alu instid0(SALU_CYCLE_1)
	s_and_b32 s3, s3, exec_lo
	s_or_saveexec_b32 s4, s4
	v_mov_b64_e32 v[44:45], 0x7ff8000020000000
	s_xor_b32 exec_lo, exec_lo, s4
	s_cbranch_execnz .LBB11_1623
.LBB11_1606:
	s_or_b32 exec_lo, exec_lo, s4
	s_and_saveexec_b32 s4, s3
	s_cbranch_execz .LBB11_1608
.LBB11_1607:
	v_and_b32_e32 v3, 0xffff, v2
	s_delay_alu instid0(VALU_DEP_1) | instskip(SKIP_1) | instid1(VALU_DEP_2)
	v_and_b32_e32 v4, 7, v3
	v_bfe_u32 v7, v3, 3, 4
	v_clz_i32_u32_e32 v5, v4
	s_delay_alu instid0(VALU_DEP_2) | instskip(NEXT) | instid1(VALU_DEP_2)
	v_cmp_eq_u32_e32 vcc_lo, 0, v7
	v_min_u32_e32 v5, 32, v5
	s_delay_alu instid0(VALU_DEP_1) | instskip(NEXT) | instid1(VALU_DEP_1)
	v_subrev_nc_u32_e32 v6, 28, v5
	v_dual_lshlrev_b32 v3, v6, v3 :: v_dual_sub_nc_u32 v5, 29, v5
	s_delay_alu instid0(VALU_DEP_1) | instskip(NEXT) | instid1(VALU_DEP_1)
	v_dual_lshlrev_b32 v2, 24, v2 :: v_dual_bitop2_b32 v3, 7, v3 bitop3:0x40
	v_dual_cndmask_b32 v5, v7, v5, vcc_lo :: v_dual_cndmask_b32 v3, v4, v3, vcc_lo
	s_delay_alu instid0(VALU_DEP_2) | instskip(NEXT) | instid1(VALU_DEP_2)
	v_and_b32_e32 v2, 0x80000000, v2
	v_lshl_add_u32 v4, v5, 23, 0x3b800000
	s_delay_alu instid0(VALU_DEP_3) | instskip(NEXT) | instid1(VALU_DEP_1)
	v_lshlrev_b32_e32 v3, 20, v3
	v_or3_b32 v2, v2, v4, v3
	s_delay_alu instid0(VALU_DEP_1)
	v_cvt_f64_f32_e32 v[44:45], v2
.LBB11_1608:
	s_or_b32 exec_lo, exec_lo, s4
.LBB11_1609:
	s_mov_b32 s3, -1
.LBB11_1610:
	s_branch .LBB11_1642
.LBB11_1611:
	s_cmp_gt_i32 s0, 22
	s_cbranch_scc0 .LBB11_1621
; %bb.1612:
	s_cmp_lt_i32 s0, 24
	s_cbranch_scc1 .LBB11_1624
; %bb.1613:
	s_cmp_gt_i32 s0, 24
	s_cbranch_scc0 .LBB11_1625
; %bb.1614:
	global_load_u8 v2, v[0:1], off
	s_mov_b32 s3, exec_lo
	s_wait_loadcnt 0x0
	v_cmpx_lt_i16_e32 0x7f, v2
	s_xor_b32 s3, exec_lo, s3
	s_cbranch_execz .LBB11_1636
; %bb.1615:
	s_mov_b32 s2, -1
	s_mov_b32 s4, exec_lo
	v_cmpx_eq_u16_e32 0x80, v2
; %bb.1616:
	s_xor_b32 s2, exec_lo, -1
; %bb.1617:
	s_or_b32 exec_lo, exec_lo, s4
	s_delay_alu instid0(SALU_CYCLE_1)
	s_and_b32 s2, s2, exec_lo
	s_or_saveexec_b32 s3, s3
	v_mov_b64_e32 v[44:45], 0x7ff8000020000000
	s_xor_b32 exec_lo, exec_lo, s3
	s_cbranch_execnz .LBB11_1637
.LBB11_1618:
	s_or_b32 exec_lo, exec_lo, s3
	s_and_saveexec_b32 s3, s2
	s_cbranch_execz .LBB11_1620
.LBB11_1619:
	v_and_b32_e32 v3, 0xffff, v2
	s_delay_alu instid0(VALU_DEP_1) | instskip(SKIP_1) | instid1(VALU_DEP_2)
	v_and_b32_e32 v4, 3, v3
	v_bfe_u32 v7, v3, 2, 5
	v_clz_i32_u32_e32 v5, v4
	s_delay_alu instid0(VALU_DEP_2) | instskip(NEXT) | instid1(VALU_DEP_2)
	v_cmp_eq_u32_e32 vcc_lo, 0, v7
	v_min_u32_e32 v5, 32, v5
	s_delay_alu instid0(VALU_DEP_1) | instskip(NEXT) | instid1(VALU_DEP_1)
	v_subrev_nc_u32_e32 v6, 29, v5
	v_dual_lshlrev_b32 v3, v6, v3 :: v_dual_sub_nc_u32 v5, 30, v5
	s_delay_alu instid0(VALU_DEP_1) | instskip(NEXT) | instid1(VALU_DEP_1)
	v_dual_lshlrev_b32 v2, 24, v2 :: v_dual_bitop2_b32 v3, 3, v3 bitop3:0x40
	v_dual_cndmask_b32 v5, v7, v5, vcc_lo :: v_dual_cndmask_b32 v3, v4, v3, vcc_lo
	s_delay_alu instid0(VALU_DEP_2) | instskip(NEXT) | instid1(VALU_DEP_2)
	v_and_b32_e32 v2, 0x80000000, v2
	v_lshl_add_u32 v4, v5, 23, 0x37800000
	s_delay_alu instid0(VALU_DEP_3) | instskip(NEXT) | instid1(VALU_DEP_1)
	v_lshlrev_b32_e32 v3, 21, v3
	v_or3_b32 v2, v2, v4, v3
	s_delay_alu instid0(VALU_DEP_1)
	v_cvt_f64_f32_e32 v[44:45], v2
.LBB11_1620:
	s_or_b32 exec_lo, exec_lo, s3
	s_mov_b32 s2, 0
	s_branch .LBB11_1626
.LBB11_1621:
                                        ; implicit-def: $vgpr44_vgpr45
	s_mov_b32 s2, 0
	s_branch .LBB11_1632
.LBB11_1622:
	s_or_saveexec_b32 s4, s4
	v_mov_b64_e32 v[44:45], 0x7ff8000020000000
	s_xor_b32 exec_lo, exec_lo, s4
	s_cbranch_execz .LBB11_1606
.LBB11_1623:
	v_cmp_ne_u16_e32 vcc_lo, 0, v2
	v_mov_b64_e32 v[44:45], 0
	s_and_not1_b32 s3, s3, exec_lo
	s_and_b32 s5, vcc_lo, exec_lo
	s_delay_alu instid0(SALU_CYCLE_1)
	s_or_b32 s3, s3, s5
	s_or_b32 exec_lo, exec_lo, s4
	s_and_saveexec_b32 s4, s3
	s_cbranch_execnz .LBB11_1607
	s_branch .LBB11_1608
.LBB11_1624:
	s_mov_b32 s2, -1
                                        ; implicit-def: $vgpr44_vgpr45
	s_branch .LBB11_1629
.LBB11_1625:
	s_mov_b32 s2, -1
                                        ; implicit-def: $vgpr44_vgpr45
.LBB11_1626:
	s_delay_alu instid0(SALU_CYCLE_1)
	s_and_b32 vcc_lo, exec_lo, s2
	s_cbranch_vccz .LBB11_1628
; %bb.1627:
	global_load_u8 v2, v[0:1], off
	s_wait_loadcnt 0x0
	v_lshlrev_b32_e32 v2, 24, v2
	s_delay_alu instid0(VALU_DEP_1) | instskip(NEXT) | instid1(VALU_DEP_1)
	v_and_b32_e32 v3, 0x7f000000, v2
	v_clz_i32_u32_e32 v4, v3
	v_cmp_ne_u32_e32 vcc_lo, 0, v3
	v_add_nc_u32_e32 v6, 0x1000000, v3
	s_delay_alu instid0(VALU_DEP_3) | instskip(NEXT) | instid1(VALU_DEP_1)
	v_min_u32_e32 v4, 32, v4
	v_sub_nc_u32_e64 v4, v4, 4 clamp
	s_delay_alu instid0(VALU_DEP_1) | instskip(NEXT) | instid1(VALU_DEP_1)
	v_dual_lshlrev_b32 v5, v4, v3 :: v_dual_lshlrev_b32 v4, 23, v4
	v_lshrrev_b32_e32 v5, 4, v5
	s_delay_alu instid0(VALU_DEP_1) | instskip(NEXT) | instid1(VALU_DEP_1)
	v_dual_sub_nc_u32 v4, v5, v4 :: v_dual_ashrrev_i32 v5, 8, v6
	v_add_nc_u32_e32 v4, 0x3c000000, v4
	s_delay_alu instid0(VALU_DEP_1) | instskip(NEXT) | instid1(VALU_DEP_1)
	v_and_or_b32 v4, 0x7f800000, v5, v4
	v_cndmask_b32_e32 v3, 0, v4, vcc_lo
	s_delay_alu instid0(VALU_DEP_1) | instskip(NEXT) | instid1(VALU_DEP_1)
	v_and_or_b32 v2, 0x80000000, v2, v3
	v_cvt_f64_f32_e32 v[44:45], v2
.LBB11_1628:
	s_mov_b32 s2, 0
.LBB11_1629:
	s_delay_alu instid0(SALU_CYCLE_1)
	s_and_not1_b32 vcc_lo, exec_lo, s2
	s_cbranch_vccnz .LBB11_1631
; %bb.1630:
	global_load_u8 v2, v[0:1], off
	s_wait_loadcnt 0x0
	v_lshlrev_b32_e32 v3, 25, v2
	v_lshlrev_b16 v2, 8, v2
	s_delay_alu instid0(VALU_DEP_1) | instskip(SKIP_1) | instid1(VALU_DEP_2)
	v_and_or_b32 v5, 0x7f00, v2, 0.5
	v_bfe_i32 v2, v2, 0, 16
	v_dual_add_f32 v5, -0.5, v5 :: v_dual_lshrrev_b32 v4, 4, v3
	v_cmp_gt_u32_e32 vcc_lo, 0x8000000, v3
	s_delay_alu instid0(VALU_DEP_2) | instskip(NEXT) | instid1(VALU_DEP_1)
	v_or_b32_e32 v4, 0x70000000, v4
	v_mul_f32_e32 v4, 0x7800000, v4
	s_delay_alu instid0(VALU_DEP_1) | instskip(NEXT) | instid1(VALU_DEP_1)
	v_cndmask_b32_e32 v3, v4, v5, vcc_lo
	v_and_or_b32 v2, 0x80000000, v2, v3
	s_delay_alu instid0(VALU_DEP_1)
	v_cvt_f64_f32_e32 v[44:45], v2
.LBB11_1631:
	s_mov_b32 s3, -1
	s_mov_b32 s2, 0
	s_cbranch_execnz .LBB11_1642
.LBB11_1632:
	s_cmp_gt_i32 s0, 14
	s_cbranch_scc0 .LBB11_1635
; %bb.1633:
	s_cmp_eq_u32 s0, 15
	s_cbranch_scc0 .LBB11_1638
; %bb.1634:
	global_load_u16 v2, v[0:1], off
	s_mov_b32 s1, 0
	s_mov_b32 s3, -1
	s_wait_loadcnt 0x0
	v_lshlrev_b32_e32 v2, 16, v2
	s_delay_alu instid0(VALU_DEP_1)
	v_cvt_f64_f32_e32 v[44:45], v2
	s_branch .LBB11_1640
.LBB11_1635:
	s_mov_b32 s2, -1
	s_branch .LBB11_1639
.LBB11_1636:
	s_or_saveexec_b32 s3, s3
	v_mov_b64_e32 v[44:45], 0x7ff8000020000000
	s_xor_b32 exec_lo, exec_lo, s3
	s_cbranch_execz .LBB11_1618
.LBB11_1637:
	v_cmp_ne_u16_e32 vcc_lo, 0, v2
	v_mov_b64_e32 v[44:45], 0
	s_and_not1_b32 s2, s2, exec_lo
	s_and_b32 s4, vcc_lo, exec_lo
	s_delay_alu instid0(SALU_CYCLE_1)
	s_or_b32 s2, s2, s4
	s_or_b32 exec_lo, exec_lo, s3
	s_and_saveexec_b32 s3, s2
	s_cbranch_execnz .LBB11_1619
	s_branch .LBB11_1620
.LBB11_1638:
	s_mov_b32 s1, -1
.LBB11_1639:
                                        ; implicit-def: $vgpr44_vgpr45
.LBB11_1640:
	s_and_b32 vcc_lo, exec_lo, s2
	s_mov_b32 s2, 0
	s_cbranch_vccz .LBB11_1642
; %bb.1641:
	s_cmp_lg_u32 s0, 11
	s_mov_b32 s2, -1
	s_cselect_b32 s1, -1, 0
.LBB11_1642:
	s_delay_alu instid0(SALU_CYCLE_1)
	s_and_b32 vcc_lo, exec_lo, s1
	s_mov_b32 s50, s53
	s_cbranch_vccnz .LBB11_1703
; %bb.1643:
	s_and_not1_b32 vcc_lo, exec_lo, s2
	s_cbranch_vccnz .LBB11_1645
.LBB11_1644:
	global_load_u8 v2, v[0:1], off
	s_wait_loadcnt 0x1
	v_mov_b32_e32 v44, 0
	s_mov_b32 s3, -1
	s_wait_loadcnt 0x0
	v_cmp_ne_u16_e32 vcc_lo, 0, v2
	v_cndmask_b32_e64 v45, 0, 0x3ff00000, vcc_lo
.LBB11_1645:
	s_branch .LBB11_1574
.LBB11_1646:
	s_and_b32 s0, 0xffff, s51
	s_delay_alu instid0(SALU_CYCLE_1)
	s_cmp_lt_i32 s0, 5
	s_cbranch_scc1 .LBB11_1651
; %bb.1647:
	s_cmp_lt_i32 s0, 8
	s_cbranch_scc1 .LBB11_1652
; %bb.1648:
	;; [unrolled: 3-line block ×3, first 2 shown]
	s_cmp_gt_i32 s0, 9
	s_cbranch_scc0 .LBB11_1654
; %bb.1650:
	s_wait_loadcnt 0x0
	global_load_b64 v[44:45], v[0:1], off
	s_mov_b32 s1, 0
	s_branch .LBB11_1655
.LBB11_1651:
                                        ; implicit-def: $vgpr44_vgpr45
	s_branch .LBB11_1672
.LBB11_1652:
                                        ; implicit-def: $vgpr44_vgpr45
	s_branch .LBB11_1661
.LBB11_1653:
	s_mov_b32 s1, -1
                                        ; implicit-def: $vgpr44_vgpr45
	s_branch .LBB11_1658
.LBB11_1654:
	s_mov_b32 s1, -1
                                        ; implicit-def: $vgpr44_vgpr45
.LBB11_1655:
	s_delay_alu instid0(SALU_CYCLE_1)
	s_and_not1_b32 vcc_lo, exec_lo, s1
	s_cbranch_vccnz .LBB11_1657
; %bb.1656:
	global_load_b32 v2, v[0:1], off
	s_wait_loadcnt 0x0
	v_cvt_f64_f32_e32 v[44:45], v2
.LBB11_1657:
	s_mov_b32 s1, 0
.LBB11_1658:
	s_delay_alu instid0(SALU_CYCLE_1)
	s_and_not1_b32 vcc_lo, exec_lo, s1
	s_cbranch_vccnz .LBB11_1660
; %bb.1659:
	global_load_b32 v2, v[0:1], off
	s_wait_loadcnt 0x0
	v_cvt_f32_f16_e32 v2, v2
	s_delay_alu instid0(VALU_DEP_1)
	v_cvt_f64_f32_e32 v[44:45], v2
.LBB11_1660:
	s_cbranch_execnz .LBB11_1671
.LBB11_1661:
	s_cmp_lt_i32 s0, 6
	s_cbranch_scc1 .LBB11_1664
; %bb.1662:
	s_cmp_gt_i32 s0, 6
	s_cbranch_scc0 .LBB11_1665
; %bb.1663:
	s_wait_loadcnt 0x0
	global_load_b64 v[44:45], v[0:1], off
	s_mov_b32 s1, 0
	s_branch .LBB11_1666
.LBB11_1664:
	s_mov_b32 s1, -1
                                        ; implicit-def: $vgpr44_vgpr45
	s_branch .LBB11_1669
.LBB11_1665:
	s_mov_b32 s1, -1
                                        ; implicit-def: $vgpr44_vgpr45
.LBB11_1666:
	s_delay_alu instid0(SALU_CYCLE_1)
	s_and_not1_b32 vcc_lo, exec_lo, s1
	s_cbranch_vccnz .LBB11_1668
; %bb.1667:
	global_load_b32 v2, v[0:1], off
	s_wait_loadcnt 0x0
	v_cvt_f64_f32_e32 v[44:45], v2
.LBB11_1668:
	s_mov_b32 s1, 0
.LBB11_1669:
	s_delay_alu instid0(SALU_CYCLE_1)
	s_and_not1_b32 vcc_lo, exec_lo, s1
	s_cbranch_vccnz .LBB11_1671
; %bb.1670:
	global_load_u16 v2, v[0:1], off
	s_wait_loadcnt 0x0
	v_cvt_f32_f16_e32 v2, v2
	s_delay_alu instid0(VALU_DEP_1)
	v_cvt_f64_f32_e32 v[44:45], v2
.LBB11_1671:
	s_cbranch_execnz .LBB11_1690
.LBB11_1672:
	s_cmp_lt_i32 s0, 2
	s_cbranch_scc1 .LBB11_1676
; %bb.1673:
	s_cmp_lt_i32 s0, 3
	s_cbranch_scc1 .LBB11_1677
; %bb.1674:
	s_cmp_gt_i32 s0, 3
	s_cbranch_scc0 .LBB11_1678
; %bb.1675:
	global_load_b64 v[2:3], v[0:1], off
	s_mov_b32 s1, 0
	s_wait_loadcnt 0x0
	v_cvt_f64_i32_e32 v[4:5], v3
	v_cvt_f64_u32_e32 v[2:3], v2
	s_delay_alu instid0(VALU_DEP_2) | instskip(NEXT) | instid1(VALU_DEP_1)
	v_ldexp_f64 v[4:5], v[4:5], 32
	v_add_f64_e32 v[44:45], v[4:5], v[2:3]
	s_branch .LBB11_1679
.LBB11_1676:
                                        ; implicit-def: $vgpr44_vgpr45
	s_branch .LBB11_1685
.LBB11_1677:
	s_mov_b32 s1, -1
                                        ; implicit-def: $vgpr44_vgpr45
	s_branch .LBB11_1682
.LBB11_1678:
	s_mov_b32 s1, -1
                                        ; implicit-def: $vgpr44_vgpr45
.LBB11_1679:
	s_delay_alu instid0(SALU_CYCLE_1)
	s_and_not1_b32 vcc_lo, exec_lo, s1
	s_cbranch_vccnz .LBB11_1681
; %bb.1680:
	global_load_b32 v2, v[0:1], off
	s_wait_loadcnt 0x0
	v_cvt_f64_i32_e32 v[44:45], v2
.LBB11_1681:
	s_mov_b32 s1, 0
.LBB11_1682:
	s_delay_alu instid0(SALU_CYCLE_1)
	s_and_not1_b32 vcc_lo, exec_lo, s1
	s_cbranch_vccnz .LBB11_1684
; %bb.1683:
	global_load_i16 v2, v[0:1], off
	s_wait_loadcnt 0x0
	v_cvt_f64_i32_e32 v[44:45], v2
.LBB11_1684:
	s_cbranch_execnz .LBB11_1690
.LBB11_1685:
	s_cmp_gt_i32 s0, 0
	s_mov_b32 s0, 0
	s_cbranch_scc0 .LBB11_1687
; %bb.1686:
	global_load_i8 v2, v[0:1], off
	s_wait_loadcnt 0x0
	v_cvt_f64_i32_e32 v[44:45], v2
	s_branch .LBB11_1688
.LBB11_1687:
	s_mov_b32 s0, -1
                                        ; implicit-def: $vgpr44_vgpr45
.LBB11_1688:
	s_delay_alu instid0(SALU_CYCLE_1)
	s_and_not1_b32 vcc_lo, exec_lo, s0
	s_cbranch_vccnz .LBB11_1690
; %bb.1689:
	global_load_u8 v0, v[0:1], off
	s_wait_loadcnt 0x0
	v_cvt_f64_u32_e32 v[44:45], v0
.LBB11_1690:
                                        ; implicit-def: $vgpr2_vgpr3
.LBB11_1691:
	v_mul_lo_u32 v58, s46, v72
	s_and_b32 s49, 0xffff, s49
	s_delay_alu instid0(SALU_CYCLE_1) | instskip(NEXT) | instid1(VALU_DEP_1)
	s_cmp_lt_i32 s49, 11
	v_ashrrev_i32_e32 v59, 31, v58
	s_wait_xcnt 0x0
	s_delay_alu instid0(VALU_DEP_1)
	v_add_nc_u64_e32 v[0:1], s[34:35], v[58:59]
	s_cbranch_scc1 .LBB11_1698
; %bb.1692:
	s_cmp_gt_i32 s49, 25
	s_mov_b32 s1, 0
	s_cbranch_scc0 .LBB11_1700
; %bb.1693:
	s_cmp_gt_i32 s49, 28
	s_cbranch_scc0 .LBB11_1701
; %bb.1694:
	s_cmp_gt_i32 s49, 43
	;; [unrolled: 3-line block ×3, first 2 shown]
	s_cbranch_scc0 .LBB11_1704
; %bb.1696:
	s_cmp_eq_u32 s49, 46
	s_mov_b32 s3, 0
	s_cbranch_scc0 .LBB11_1707
; %bb.1697:
	global_load_b32 v2, v[0:1], off
	s_mov_b32 s0, 0
	s_mov_b32 s2, -1
	s_wait_loadcnt 0x0
	v_lshlrev_b32_e32 v2, 16, v2
	s_delay_alu instid0(VALU_DEP_1)
	v_cvt_f64_f32_e32 v[46:47], v2
	s_branch .LBB11_1709
.LBB11_1698:
	s_mov_b32 s2, 0
                                        ; implicit-def: $vgpr46_vgpr47
	s_cbranch_execnz .LBB11_1774
.LBB11_1699:
	s_and_not1_b32 vcc_lo, exec_lo, s2
	s_cbranch_vccnz .LBB11_2624
	s_branch .LBB11_1821
.LBB11_1700:
	s_mov_b32 s2, 0
	s_mov_b32 s0, 0
                                        ; implicit-def: $vgpr46_vgpr47
	s_cbranch_execnz .LBB11_1738
	s_branch .LBB11_1770
.LBB11_1701:
	s_mov_b32 s3, -1
	s_mov_b32 s2, 0
	s_mov_b32 s0, 0
                                        ; implicit-def: $vgpr46_vgpr47
	s_branch .LBB11_1719
.LBB11_1702:
	s_mov_b32 s3, -1
	s_mov_b32 s2, 0
	s_mov_b32 s0, 0
                                        ; implicit-def: $vgpr46_vgpr47
	s_branch .LBB11_1714
.LBB11_1703:
	s_or_b32 s50, s53, exec_lo
	s_trap 2
	s_cbranch_execz .LBB11_1644
	s_branch .LBB11_1645
.LBB11_1704:
	s_mov_b32 s3, -1
	s_mov_b32 s2, 0
	s_mov_b32 s0, 0
	s_branch .LBB11_1708
.LBB11_1705:
	s_and_not1_saveexec_b32 s6, s6
	s_cbranch_execz .LBB11_1490
.LBB11_1706:
	v_add_f32_e64 v3, 0x42800000, |v2|
	s_and_not1_b32 s5, s5, exec_lo
	s_delay_alu instid0(VALU_DEP_1) | instskip(NEXT) | instid1(VALU_DEP_1)
	v_and_b32_e32 v3, 0xff, v3
	v_cmp_ne_u32_e32 vcc_lo, 0, v3
	s_and_b32 s7, vcc_lo, exec_lo
	s_delay_alu instid0(SALU_CYCLE_1)
	s_or_b32 s5, s5, s7
	s_or_b32 exec_lo, exec_lo, s6
	v_mov_b32_e32 v6, 0
	s_and_saveexec_b32 s6, s5
	s_cbranch_execnz .LBB11_1491
	s_branch .LBB11_1492
.LBB11_1707:
	s_mov_b32 s0, -1
	s_mov_b32 s2, 0
.LBB11_1708:
                                        ; implicit-def: $vgpr46_vgpr47
.LBB11_1709:
	s_and_b32 vcc_lo, exec_lo, s3
	s_cbranch_vccz .LBB11_1713
; %bb.1710:
	s_cmp_eq_u32 s49, 44
	s_cbranch_scc0 .LBB11_1712
; %bb.1711:
	global_load_u8 v4, v[0:1], off
	s_mov_b32 s0, 0
	s_mov_b32 s2, -1
	s_wait_loadcnt 0x0
	v_cmp_ne_u32_e32 vcc_lo, 0xff, v4
	v_lshlrev_b32_e32 v2, 23, v4
	s_delay_alu instid0(VALU_DEP_1) | instskip(NEXT) | instid1(VALU_DEP_1)
	v_cvt_f64_f32_e32 v[2:3], v2
	v_cndmask_b32_e32 v2, 0x20000000, v2, vcc_lo
	s_delay_alu instid0(VALU_DEP_2) | instskip(SKIP_1) | instid1(VALU_DEP_2)
	v_cndmask_b32_e32 v3, 0x7ff80000, v3, vcc_lo
	v_cmp_ne_u32_e32 vcc_lo, 0, v4
	v_cndmask_b32_e32 v47, 0x38000000, v3, vcc_lo
	s_delay_alu instid0(VALU_DEP_4)
	v_cndmask_b32_e32 v46, 0, v2, vcc_lo
	s_branch .LBB11_1713
.LBB11_1712:
	s_mov_b32 s0, -1
                                        ; implicit-def: $vgpr46_vgpr47
.LBB11_1713:
	s_mov_b32 s3, 0
.LBB11_1714:
	s_delay_alu instid0(SALU_CYCLE_1)
	s_and_b32 vcc_lo, exec_lo, s3
	s_cbranch_vccz .LBB11_1718
; %bb.1715:
	s_cmp_eq_u32 s49, 29
	s_cbranch_scc0 .LBB11_1717
; %bb.1716:
	global_load_b64 v[2:3], v[0:1], off
	s_mov_b32 s0, 0
	s_mov_b32 s2, -1
	s_mov_b32 s3, 0
	s_wait_loadcnt 0x0
	v_cvt_f64_u32_e32 v[4:5], v3
	v_cvt_f64_u32_e32 v[2:3], v2
	s_delay_alu instid0(VALU_DEP_2) | instskip(NEXT) | instid1(VALU_DEP_1)
	v_ldexp_f64 v[4:5], v[4:5], 32
	v_add_f64_e32 v[46:47], v[4:5], v[2:3]
	s_branch .LBB11_1719
.LBB11_1717:
	s_mov_b32 s0, -1
                                        ; implicit-def: $vgpr46_vgpr47
.LBB11_1718:
	s_mov_b32 s3, 0
.LBB11_1719:
	s_delay_alu instid0(SALU_CYCLE_1)
	s_and_b32 vcc_lo, exec_lo, s3
	s_cbranch_vccz .LBB11_1737
; %bb.1720:
	s_cmp_lt_i32 s49, 27
	s_cbranch_scc1 .LBB11_1723
; %bb.1721:
	s_cmp_gt_i32 s49, 27
	s_cbranch_scc0 .LBB11_1724
; %bb.1722:
	global_load_b32 v2, v[0:1], off
	s_mov_b32 s2, 0
	s_wait_loadcnt 0x0
	v_cvt_f64_u32_e32 v[46:47], v2
	s_branch .LBB11_1725
.LBB11_1723:
	s_mov_b32 s2, -1
                                        ; implicit-def: $vgpr46_vgpr47
	s_branch .LBB11_1728
.LBB11_1724:
	s_mov_b32 s2, -1
                                        ; implicit-def: $vgpr46_vgpr47
.LBB11_1725:
	s_delay_alu instid0(SALU_CYCLE_1)
	s_and_not1_b32 vcc_lo, exec_lo, s2
	s_cbranch_vccnz .LBB11_1727
; %bb.1726:
	global_load_u16 v2, v[0:1], off
	s_wait_loadcnt 0x0
	v_cvt_f64_u32_e32 v[46:47], v2
.LBB11_1727:
	s_mov_b32 s2, 0
.LBB11_1728:
	s_delay_alu instid0(SALU_CYCLE_1)
	s_and_not1_b32 vcc_lo, exec_lo, s2
	s_cbranch_vccnz .LBB11_1736
; %bb.1729:
	global_load_u8 v2, v[0:1], off
	s_mov_b32 s2, 0
	s_mov_b32 s3, exec_lo
	s_wait_loadcnt 0x0
	v_cmpx_lt_i16_e32 0x7f, v2
	s_xor_b32 s3, exec_lo, s3
	s_cbranch_execz .LBB11_1749
; %bb.1730:
	s_mov_b32 s2, -1
	s_mov_b32 s4, exec_lo
	v_cmpx_eq_u16_e32 0x80, v2
; %bb.1731:
	s_xor_b32 s2, exec_lo, -1
; %bb.1732:
	s_or_b32 exec_lo, exec_lo, s4
	s_delay_alu instid0(SALU_CYCLE_1)
	s_and_b32 s2, s2, exec_lo
	s_or_saveexec_b32 s3, s3
	v_mov_b64_e32 v[46:47], 0x7ff8000020000000
	s_xor_b32 exec_lo, exec_lo, s3
	s_cbranch_execnz .LBB11_1750
.LBB11_1733:
	s_or_b32 exec_lo, exec_lo, s3
	s_and_saveexec_b32 s3, s2
	s_cbranch_execz .LBB11_1735
.LBB11_1734:
	v_and_b32_e32 v3, 0xffff, v2
	s_delay_alu instid0(VALU_DEP_1) | instskip(SKIP_1) | instid1(VALU_DEP_2)
	v_and_b32_e32 v4, 7, v3
	v_bfe_u32 v7, v3, 3, 4
	v_clz_i32_u32_e32 v5, v4
	s_delay_alu instid0(VALU_DEP_2) | instskip(NEXT) | instid1(VALU_DEP_2)
	v_cmp_eq_u32_e32 vcc_lo, 0, v7
	v_min_u32_e32 v5, 32, v5
	s_delay_alu instid0(VALU_DEP_1) | instskip(NEXT) | instid1(VALU_DEP_1)
	v_subrev_nc_u32_e32 v6, 28, v5
	v_dual_lshlrev_b32 v3, v6, v3 :: v_dual_sub_nc_u32 v5, 29, v5
	s_delay_alu instid0(VALU_DEP_1) | instskip(NEXT) | instid1(VALU_DEP_1)
	v_dual_lshlrev_b32 v2, 24, v2 :: v_dual_bitop2_b32 v3, 7, v3 bitop3:0x40
	v_dual_cndmask_b32 v5, v7, v5, vcc_lo :: v_dual_cndmask_b32 v3, v4, v3, vcc_lo
	s_delay_alu instid0(VALU_DEP_2) | instskip(NEXT) | instid1(VALU_DEP_2)
	v_and_b32_e32 v2, 0x80000000, v2
	v_lshl_add_u32 v4, v5, 23, 0x3b800000
	s_delay_alu instid0(VALU_DEP_3) | instskip(NEXT) | instid1(VALU_DEP_1)
	v_lshlrev_b32_e32 v3, 20, v3
	v_or3_b32 v2, v2, v4, v3
	s_delay_alu instid0(VALU_DEP_1)
	v_cvt_f64_f32_e32 v[46:47], v2
.LBB11_1735:
	s_or_b32 exec_lo, exec_lo, s3
.LBB11_1736:
	s_mov_b32 s2, -1
.LBB11_1737:
	s_branch .LBB11_1770
.LBB11_1738:
	s_cmp_gt_i32 s49, 22
	s_cbranch_scc0 .LBB11_1748
; %bb.1739:
	s_cmp_lt_i32 s49, 24
	s_cbranch_scc1 .LBB11_1751
; %bb.1740:
	s_cmp_gt_i32 s49, 24
	s_cbranch_scc0 .LBB11_1752
; %bb.1741:
	global_load_u8 v2, v[0:1], off
	s_mov_b32 s2, exec_lo
	s_wait_loadcnt 0x0
	v_cmpx_lt_i16_e32 0x7f, v2
	s_xor_b32 s2, exec_lo, s2
	s_cbranch_execz .LBB11_1764
; %bb.1742:
	s_mov_b32 s1, -1
	s_mov_b32 s3, exec_lo
	v_cmpx_eq_u16_e32 0x80, v2
; %bb.1743:
	s_xor_b32 s1, exec_lo, -1
; %bb.1744:
	s_or_b32 exec_lo, exec_lo, s3
	s_delay_alu instid0(SALU_CYCLE_1)
	s_and_b32 s1, s1, exec_lo
	s_or_saveexec_b32 s2, s2
	v_mov_b64_e32 v[46:47], 0x7ff8000020000000
	s_xor_b32 exec_lo, exec_lo, s2
	s_cbranch_execnz .LBB11_1765
.LBB11_1745:
	s_or_b32 exec_lo, exec_lo, s2
	s_and_saveexec_b32 s2, s1
	s_cbranch_execz .LBB11_1747
.LBB11_1746:
	v_and_b32_e32 v3, 0xffff, v2
	s_delay_alu instid0(VALU_DEP_1) | instskip(SKIP_1) | instid1(VALU_DEP_2)
	v_and_b32_e32 v4, 3, v3
	v_bfe_u32 v7, v3, 2, 5
	v_clz_i32_u32_e32 v5, v4
	s_delay_alu instid0(VALU_DEP_2) | instskip(NEXT) | instid1(VALU_DEP_2)
	v_cmp_eq_u32_e32 vcc_lo, 0, v7
	v_min_u32_e32 v5, 32, v5
	s_delay_alu instid0(VALU_DEP_1) | instskip(NEXT) | instid1(VALU_DEP_1)
	v_subrev_nc_u32_e32 v6, 29, v5
	v_dual_lshlrev_b32 v3, v6, v3 :: v_dual_sub_nc_u32 v5, 30, v5
	s_delay_alu instid0(VALU_DEP_1) | instskip(NEXT) | instid1(VALU_DEP_1)
	v_dual_lshlrev_b32 v2, 24, v2 :: v_dual_bitop2_b32 v3, 3, v3 bitop3:0x40
	v_dual_cndmask_b32 v5, v7, v5, vcc_lo :: v_dual_cndmask_b32 v3, v4, v3, vcc_lo
	s_delay_alu instid0(VALU_DEP_2) | instskip(NEXT) | instid1(VALU_DEP_2)
	v_and_b32_e32 v2, 0x80000000, v2
	v_lshl_add_u32 v4, v5, 23, 0x37800000
	s_delay_alu instid0(VALU_DEP_3) | instskip(NEXT) | instid1(VALU_DEP_1)
	v_lshlrev_b32_e32 v3, 21, v3
	v_or3_b32 v2, v2, v4, v3
	s_delay_alu instid0(VALU_DEP_1)
	v_cvt_f64_f32_e32 v[46:47], v2
.LBB11_1747:
	s_or_b32 exec_lo, exec_lo, s2
	s_mov_b32 s1, 0
	s_branch .LBB11_1753
.LBB11_1748:
	s_mov_b32 s1, -1
                                        ; implicit-def: $vgpr46_vgpr47
	s_branch .LBB11_1759
.LBB11_1749:
	s_or_saveexec_b32 s3, s3
	v_mov_b64_e32 v[46:47], 0x7ff8000020000000
	s_xor_b32 exec_lo, exec_lo, s3
	s_cbranch_execz .LBB11_1733
.LBB11_1750:
	v_cmp_ne_u16_e32 vcc_lo, 0, v2
	v_mov_b64_e32 v[46:47], 0
	s_and_not1_b32 s2, s2, exec_lo
	s_and_b32 s4, vcc_lo, exec_lo
	s_delay_alu instid0(SALU_CYCLE_1)
	s_or_b32 s2, s2, s4
	s_or_b32 exec_lo, exec_lo, s3
	s_and_saveexec_b32 s3, s2
	s_cbranch_execnz .LBB11_1734
	s_branch .LBB11_1735
.LBB11_1751:
	s_mov_b32 s1, -1
                                        ; implicit-def: $vgpr46_vgpr47
	s_branch .LBB11_1756
.LBB11_1752:
	s_mov_b32 s1, -1
                                        ; implicit-def: $vgpr46_vgpr47
.LBB11_1753:
	s_delay_alu instid0(SALU_CYCLE_1)
	s_and_b32 vcc_lo, exec_lo, s1
	s_cbranch_vccz .LBB11_1755
; %bb.1754:
	global_load_u8 v2, v[0:1], off
	s_wait_loadcnt 0x0
	v_lshlrev_b32_e32 v2, 24, v2
	s_delay_alu instid0(VALU_DEP_1) | instskip(NEXT) | instid1(VALU_DEP_1)
	v_and_b32_e32 v3, 0x7f000000, v2
	v_clz_i32_u32_e32 v4, v3
	v_cmp_ne_u32_e32 vcc_lo, 0, v3
	v_add_nc_u32_e32 v6, 0x1000000, v3
	s_delay_alu instid0(VALU_DEP_3) | instskip(NEXT) | instid1(VALU_DEP_1)
	v_min_u32_e32 v4, 32, v4
	v_sub_nc_u32_e64 v4, v4, 4 clamp
	s_delay_alu instid0(VALU_DEP_1) | instskip(NEXT) | instid1(VALU_DEP_1)
	v_dual_lshlrev_b32 v5, v4, v3 :: v_dual_lshlrev_b32 v4, 23, v4
	v_lshrrev_b32_e32 v5, 4, v5
	s_delay_alu instid0(VALU_DEP_1) | instskip(NEXT) | instid1(VALU_DEP_1)
	v_dual_sub_nc_u32 v4, v5, v4 :: v_dual_ashrrev_i32 v5, 8, v6
	v_add_nc_u32_e32 v4, 0x3c000000, v4
	s_delay_alu instid0(VALU_DEP_1) | instskip(NEXT) | instid1(VALU_DEP_1)
	v_and_or_b32 v4, 0x7f800000, v5, v4
	v_cndmask_b32_e32 v3, 0, v4, vcc_lo
	s_delay_alu instid0(VALU_DEP_1) | instskip(NEXT) | instid1(VALU_DEP_1)
	v_and_or_b32 v2, 0x80000000, v2, v3
	v_cvt_f64_f32_e32 v[46:47], v2
.LBB11_1755:
	s_mov_b32 s1, 0
.LBB11_1756:
	s_delay_alu instid0(SALU_CYCLE_1)
	s_and_not1_b32 vcc_lo, exec_lo, s1
	s_cbranch_vccnz .LBB11_1758
; %bb.1757:
	global_load_u8 v2, v[0:1], off
	s_wait_loadcnt 0x0
	v_lshlrev_b32_e32 v3, 25, v2
	v_lshlrev_b16 v2, 8, v2
	s_delay_alu instid0(VALU_DEP_1) | instskip(SKIP_1) | instid1(VALU_DEP_2)
	v_and_or_b32 v5, 0x7f00, v2, 0.5
	v_bfe_i32 v2, v2, 0, 16
	v_dual_add_f32 v5, -0.5, v5 :: v_dual_lshrrev_b32 v4, 4, v3
	v_cmp_gt_u32_e32 vcc_lo, 0x8000000, v3
	s_delay_alu instid0(VALU_DEP_2) | instskip(NEXT) | instid1(VALU_DEP_1)
	v_or_b32_e32 v4, 0x70000000, v4
	v_mul_f32_e32 v4, 0x7800000, v4
	s_delay_alu instid0(VALU_DEP_1) | instskip(NEXT) | instid1(VALU_DEP_1)
	v_cndmask_b32_e32 v3, v4, v5, vcc_lo
	v_and_or_b32 v2, 0x80000000, v2, v3
	s_delay_alu instid0(VALU_DEP_1)
	v_cvt_f64_f32_e32 v[46:47], v2
.LBB11_1758:
	s_mov_b32 s1, 0
	s_mov_b32 s2, -1
.LBB11_1759:
	s_and_not1_b32 vcc_lo, exec_lo, s1
	s_mov_b32 s1, 0
	s_cbranch_vccnz .LBB11_1770
; %bb.1760:
	s_cmp_gt_i32 s49, 14
	s_cbranch_scc0 .LBB11_1763
; %bb.1761:
	s_cmp_eq_u32 s49, 15
	s_cbranch_scc0 .LBB11_1766
; %bb.1762:
	global_load_u16 v2, v[0:1], off
	s_mov_b32 s0, 0
	s_mov_b32 s2, -1
	s_wait_loadcnt 0x0
	v_lshlrev_b32_e32 v2, 16, v2
	s_delay_alu instid0(VALU_DEP_1)
	v_cvt_f64_f32_e32 v[46:47], v2
	s_branch .LBB11_1768
.LBB11_1763:
	s_mov_b32 s1, -1
	s_branch .LBB11_1767
.LBB11_1764:
	s_or_saveexec_b32 s2, s2
	v_mov_b64_e32 v[46:47], 0x7ff8000020000000
	s_xor_b32 exec_lo, exec_lo, s2
	s_cbranch_execz .LBB11_1745
.LBB11_1765:
	v_cmp_ne_u16_e32 vcc_lo, 0, v2
	v_mov_b64_e32 v[46:47], 0
	s_and_not1_b32 s1, s1, exec_lo
	s_and_b32 s3, vcc_lo, exec_lo
	s_delay_alu instid0(SALU_CYCLE_1)
	s_or_b32 s1, s1, s3
	s_or_b32 exec_lo, exec_lo, s2
	s_and_saveexec_b32 s2, s1
	s_cbranch_execnz .LBB11_1746
	s_branch .LBB11_1747
.LBB11_1766:
	s_mov_b32 s0, -1
.LBB11_1767:
                                        ; implicit-def: $vgpr46_vgpr47
.LBB11_1768:
	s_and_b32 vcc_lo, exec_lo, s1
	s_mov_b32 s1, 0
	s_cbranch_vccz .LBB11_1770
; %bb.1769:
	s_cmp_lg_u32 s49, 11
	s_mov_b32 s1, -1
	s_cselect_b32 s0, -1, 0
.LBB11_1770:
	s_delay_alu instid0(SALU_CYCLE_1)
	s_and_b32 vcc_lo, exec_lo, s0
	s_cbranch_vccnz .LBB11_1837
; %bb.1771:
	s_and_not1_b32 vcc_lo, exec_lo, s1
	s_cbranch_vccnz .LBB11_1773
.LBB11_1772:
	global_load_u8 v2, v[0:1], off
	v_mov_b32_e32 v46, 0
	s_mov_b32 s2, -1
	s_wait_loadcnt 0x0
	v_cmp_ne_u16_e32 vcc_lo, 0, v2
	v_cndmask_b32_e64 v47, 0, 0x3ff00000, vcc_lo
.LBB11_1773:
	s_branch .LBB11_1699
.LBB11_1774:
	s_cmp_lt_i32 s49, 5
	s_cbranch_scc1 .LBB11_1779
; %bb.1775:
	s_cmp_lt_i32 s49, 8
	s_cbranch_scc1 .LBB11_1780
; %bb.1776:
	;; [unrolled: 3-line block ×3, first 2 shown]
	s_cmp_gt_i32 s49, 9
	s_cbranch_scc0 .LBB11_1782
; %bb.1778:
	global_load_b64 v[46:47], v[0:1], off
	s_mov_b32 s0, 0
	s_branch .LBB11_1783
.LBB11_1779:
                                        ; implicit-def: $vgpr46_vgpr47
	s_branch .LBB11_1801
.LBB11_1780:
	s_mov_b32 s0, -1
                                        ; implicit-def: $vgpr46_vgpr47
	s_branch .LBB11_1789
.LBB11_1781:
	s_mov_b32 s0, -1
                                        ; implicit-def: $vgpr46_vgpr47
	s_branch .LBB11_1786
.LBB11_1782:
	s_mov_b32 s0, -1
                                        ; implicit-def: $vgpr46_vgpr47
.LBB11_1783:
	s_delay_alu instid0(SALU_CYCLE_1)
	s_and_not1_b32 vcc_lo, exec_lo, s0
	s_cbranch_vccnz .LBB11_1785
; %bb.1784:
	global_load_b32 v2, v[0:1], off
	s_wait_loadcnt 0x0
	v_cvt_f64_f32_e32 v[46:47], v2
.LBB11_1785:
	s_mov_b32 s0, 0
.LBB11_1786:
	s_delay_alu instid0(SALU_CYCLE_1)
	s_and_not1_b32 vcc_lo, exec_lo, s0
	s_cbranch_vccnz .LBB11_1788
; %bb.1787:
	global_load_b32 v2, v[0:1], off
	s_wait_loadcnt 0x0
	v_cvt_f32_f16_e32 v2, v2
	s_delay_alu instid0(VALU_DEP_1)
	v_cvt_f64_f32_e32 v[46:47], v2
.LBB11_1788:
	s_mov_b32 s0, 0
.LBB11_1789:
	s_delay_alu instid0(SALU_CYCLE_1)
	s_and_not1_b32 vcc_lo, exec_lo, s0
	s_cbranch_vccnz .LBB11_1800
; %bb.1790:
	s_cmp_lt_i32 s49, 6
	s_cbranch_scc1 .LBB11_1793
; %bb.1791:
	s_cmp_gt_i32 s49, 6
	s_cbranch_scc0 .LBB11_1794
; %bb.1792:
	s_wait_loadcnt 0x0
	global_load_b64 v[46:47], v[0:1], off
	s_mov_b32 s0, 0
	s_branch .LBB11_1795
.LBB11_1793:
	s_mov_b32 s0, -1
                                        ; implicit-def: $vgpr46_vgpr47
	s_branch .LBB11_1798
.LBB11_1794:
	s_mov_b32 s0, -1
                                        ; implicit-def: $vgpr46_vgpr47
.LBB11_1795:
	s_delay_alu instid0(SALU_CYCLE_1)
	s_and_not1_b32 vcc_lo, exec_lo, s0
	s_cbranch_vccnz .LBB11_1797
; %bb.1796:
	global_load_b32 v2, v[0:1], off
	s_wait_loadcnt 0x0
	v_cvt_f64_f32_e32 v[46:47], v2
.LBB11_1797:
	s_mov_b32 s0, 0
.LBB11_1798:
	s_delay_alu instid0(SALU_CYCLE_1)
	s_and_not1_b32 vcc_lo, exec_lo, s0
	s_cbranch_vccnz .LBB11_1800
; %bb.1799:
	global_load_u16 v2, v[0:1], off
	s_wait_loadcnt 0x0
	v_cvt_f32_f16_e32 v2, v2
	s_delay_alu instid0(VALU_DEP_1)
	v_cvt_f64_f32_e32 v[46:47], v2
.LBB11_1800:
	s_cbranch_execnz .LBB11_1820
.LBB11_1801:
	s_cmp_lt_i32 s49, 2
	s_cbranch_scc1 .LBB11_1805
; %bb.1802:
	s_cmp_lt_i32 s49, 3
	s_cbranch_scc1 .LBB11_1806
; %bb.1803:
	s_cmp_gt_i32 s49, 3
	s_cbranch_scc0 .LBB11_1807
; %bb.1804:
	global_load_b64 v[2:3], v[0:1], off
	s_mov_b32 s0, 0
	s_wait_loadcnt 0x0
	v_cvt_f64_i32_e32 v[4:5], v3
	v_cvt_f64_u32_e32 v[2:3], v2
	s_delay_alu instid0(VALU_DEP_2) | instskip(NEXT) | instid1(VALU_DEP_1)
	v_ldexp_f64 v[4:5], v[4:5], 32
	v_add_f64_e32 v[46:47], v[4:5], v[2:3]
	s_branch .LBB11_1808
.LBB11_1805:
	s_mov_b32 s0, -1
                                        ; implicit-def: $vgpr46_vgpr47
	s_branch .LBB11_1814
.LBB11_1806:
	s_mov_b32 s0, -1
                                        ; implicit-def: $vgpr46_vgpr47
	s_branch .LBB11_1811
.LBB11_1807:
	s_mov_b32 s0, -1
                                        ; implicit-def: $vgpr46_vgpr47
.LBB11_1808:
	s_delay_alu instid0(SALU_CYCLE_1)
	s_and_not1_b32 vcc_lo, exec_lo, s0
	s_cbranch_vccnz .LBB11_1810
; %bb.1809:
	global_load_b32 v2, v[0:1], off
	s_wait_loadcnt 0x0
	v_cvt_f64_i32_e32 v[46:47], v2
.LBB11_1810:
	s_mov_b32 s0, 0
.LBB11_1811:
	s_delay_alu instid0(SALU_CYCLE_1)
	s_and_not1_b32 vcc_lo, exec_lo, s0
	s_cbranch_vccnz .LBB11_1813
; %bb.1812:
	global_load_i16 v2, v[0:1], off
	s_wait_loadcnt 0x0
	v_cvt_f64_i32_e32 v[46:47], v2
.LBB11_1813:
	s_mov_b32 s0, 0
.LBB11_1814:
	s_delay_alu instid0(SALU_CYCLE_1)
	s_and_not1_b32 vcc_lo, exec_lo, s0
	s_cbranch_vccnz .LBB11_1820
; %bb.1815:
	s_cmp_gt_i32 s49, 0
	s_mov_b32 s0, 0
	s_cbranch_scc0 .LBB11_1817
; %bb.1816:
	global_load_i8 v2, v[0:1], off
	s_wait_loadcnt 0x0
	v_cvt_f64_i32_e32 v[46:47], v2
	s_branch .LBB11_1818
.LBB11_1817:
	s_mov_b32 s0, -1
                                        ; implicit-def: $vgpr46_vgpr47
.LBB11_1818:
	s_delay_alu instid0(SALU_CYCLE_1)
	s_and_not1_b32 vcc_lo, exec_lo, s0
	s_cbranch_vccnz .LBB11_1820
; %bb.1819:
	global_load_u8 v0, v[0:1], off
	s_wait_loadcnt 0x0
	v_cvt_f64_u32_e32 v[46:47], v0
.LBB11_1820:
.LBB11_1821:
	s_bitcmp1_b32 s47, 0
                                        ; implicit-def: $vgpr42_vgpr43
	s_cselect_b32 s0, -1, 0
	s_delay_alu instid0(SALU_CYCLE_1)
	s_xor_b32 s47, s0, -1
	s_mov_b32 s0, -1
	s_and_b32 vcc_lo, exec_lo, s47
	s_cbranch_vccz .LBB11_1823
; %bb.1822:
	s_wait_loadcnt 0x0
	s_delay_alu instid0(VALU_DEP_4) | instskip(NEXT) | instid1(VALU_DEP_2)
	v_dual_mov_b32 v0, v44 :: v_dual_mov_b32 v1, v45
	v_dual_mov_b32 v2, v46 :: v_dual_mov_b32 v3, v47
	s_get_pc_i64 s[0:1]
	s_add_nc_u64 s[0:1], s[0:1], _ZN12_GLOBAL__N_111calc_igammaIdEET_S1_S1_@rel64+4
	s_delay_alu instid0(SALU_CYCLE_1)
	s_swap_pc_i64 s[30:31], s[0:1]
	v_dual_mov_b32 v42, v0 :: v_dual_mov_b32 v43, v1
	s_mov_b32 s0, 0
.LBB11_1823:
	s_delay_alu instid0(SALU_CYCLE_1)
	s_and_not1_b32 vcc_lo, exec_lo, s0
	s_cbranch_vccnz .LBB11_1825
; %bb.1824:
	s_wait_loadcnt 0x0
	s_delay_alu instid0(VALU_DEP_4) | instskip(NEXT) | instid1(VALU_DEP_2)
	v_dual_mov_b32 v0, v44 :: v_dual_mov_b32 v1, v45
	v_dual_mov_b32 v2, v46 :: v_dual_mov_b32 v3, v47
	s_get_pc_i64 s[0:1]
	s_add_nc_u64 s[0:1], s[0:1], _ZN12_GLOBAL__N_112calc_igammacIdEET_S1_S1_@rel64+4
	s_delay_alu instid0(SALU_CYCLE_1)
	s_swap_pc_i64 s[30:31], s[0:1]
	v_dual_mov_b32 v42, v0 :: v_dual_mov_b32 v43, v1
.LBB11_1825:
	s_lshl_b32 s45, s45, 7
	s_cmp_lt_i32 s51, 11
	v_add_nc_u32_e32 v60, s45, v56
	s_delay_alu instid0(VALU_DEP_1) | instskip(SKIP_1) | instid1(VALU_DEP_1)
	v_ashrrev_i32_e32 v61, 31, v60
	s_wait_xcnt 0x0
	v_add_nc_u64_e32 v[0:1], s[38:39], v[60:61]
	s_cbranch_scc1 .LBB11_1832
; %bb.1826:
	s_and_b32 s0, 0xffff, s51
	s_mov_b32 s2, 0
	s_cmp_gt_i32 s0, 25
	s_cbranch_scc0 .LBB11_1834
; %bb.1827:
	s_cmp_gt_i32 s0, 28
	s_cbranch_scc0 .LBB11_1835
; %bb.1828:
	;; [unrolled: 3-line block ×4, first 2 shown]
	s_cmp_eq_u32 s0, 46
	s_mov_b32 s4, 0
	s_cbranch_scc0 .LBB11_1839
; %bb.1831:
	global_load_b32 v2, v[0:1], off
	s_mov_b32 s1, 0
	s_mov_b32 s3, -1
	s_wait_loadcnt 0x0
	v_lshlrev_b32_e32 v2, 16, v2
	s_delay_alu instid0(VALU_DEP_1)
	v_cvt_f64_f32_e32 v[44:45], v2
	s_branch .LBB11_1841
.LBB11_1832:
	s_mov_b32 s3, 0
                                        ; implicit-def: $vgpr44_vgpr45
	s_cbranch_execnz .LBB11_1907
.LBB11_1833:
	s_and_not1_b32 vcc_lo, exec_lo, s3
	s_cbranch_vccnz .LBB11_2624
	s_branch .LBB11_1955
.LBB11_1834:
	s_mov_b32 s4, -1
	s_mov_b32 s3, 0
	s_mov_b32 s1, 0
                                        ; implicit-def: $vgpr44_vgpr45
	s_branch .LBB11_1870
.LBB11_1835:
	s_mov_b32 s4, -1
	s_mov_b32 s3, 0
	s_mov_b32 s1, 0
                                        ; implicit-def: $vgpr44_vgpr45
	s_branch .LBB11_1851
.LBB11_1836:
	s_mov_b32 s4, -1
	s_mov_b32 s3, 0
	s_mov_b32 s1, 0
                                        ; implicit-def: $vgpr44_vgpr45
	s_branch .LBB11_1846
.LBB11_1837:
	s_or_b32 s50, s50, exec_lo
	s_trap 2
	s_cbranch_execz .LBB11_1772
	s_branch .LBB11_1773
.LBB11_1838:
	s_mov_b32 s4, -1
	s_mov_b32 s3, 0
	s_mov_b32 s1, 0
	s_branch .LBB11_1840
.LBB11_1839:
	s_mov_b32 s1, -1
	s_mov_b32 s3, 0
.LBB11_1840:
                                        ; implicit-def: $vgpr44_vgpr45
.LBB11_1841:
	s_and_b32 vcc_lo, exec_lo, s4
	s_cbranch_vccz .LBB11_1845
; %bb.1842:
	s_cmp_eq_u32 s0, 44
	s_cbranch_scc0 .LBB11_1844
; %bb.1843:
	global_load_u8 v4, v[0:1], off
	s_mov_b32 s1, 0
	s_mov_b32 s3, -1
	s_wait_loadcnt 0x0
	v_cmp_ne_u32_e32 vcc_lo, 0xff, v4
	v_lshlrev_b32_e32 v2, 23, v4
	s_delay_alu instid0(VALU_DEP_1) | instskip(NEXT) | instid1(VALU_DEP_1)
	v_cvt_f64_f32_e32 v[2:3], v2
	v_cndmask_b32_e32 v2, 0x20000000, v2, vcc_lo
	s_delay_alu instid0(VALU_DEP_2) | instskip(SKIP_1) | instid1(VALU_DEP_2)
	v_cndmask_b32_e32 v3, 0x7ff80000, v3, vcc_lo
	v_cmp_ne_u32_e32 vcc_lo, 0, v4
	v_cndmask_b32_e32 v45, 0x38000000, v3, vcc_lo
	s_delay_alu instid0(VALU_DEP_4)
	v_cndmask_b32_e32 v44, 0, v2, vcc_lo
	s_branch .LBB11_1845
.LBB11_1844:
	s_mov_b32 s1, -1
                                        ; implicit-def: $vgpr44_vgpr45
.LBB11_1845:
	s_mov_b32 s4, 0
.LBB11_1846:
	s_delay_alu instid0(SALU_CYCLE_1)
	s_and_b32 vcc_lo, exec_lo, s4
	s_cbranch_vccz .LBB11_1850
; %bb.1847:
	s_cmp_eq_u32 s0, 29
	s_cbranch_scc0 .LBB11_1849
; %bb.1848:
	global_load_b64 v[2:3], v[0:1], off
	s_mov_b32 s1, 0
	s_mov_b32 s3, -1
	s_mov_b32 s4, 0
	s_wait_loadcnt 0x0
	v_cvt_f64_u32_e32 v[4:5], v3
	v_cvt_f64_u32_e32 v[2:3], v2
	s_delay_alu instid0(VALU_DEP_2) | instskip(NEXT) | instid1(VALU_DEP_1)
	v_ldexp_f64 v[4:5], v[4:5], 32
	v_add_f64_e32 v[44:45], v[4:5], v[2:3]
	s_branch .LBB11_1851
.LBB11_1849:
	s_mov_b32 s1, -1
                                        ; implicit-def: $vgpr44_vgpr45
.LBB11_1850:
	s_mov_b32 s4, 0
.LBB11_1851:
	s_delay_alu instid0(SALU_CYCLE_1)
	s_and_b32 vcc_lo, exec_lo, s4
	s_cbranch_vccz .LBB11_1869
; %bb.1852:
	s_cmp_lt_i32 s0, 27
	s_cbranch_scc1 .LBB11_1855
; %bb.1853:
	s_cmp_gt_i32 s0, 27
	s_cbranch_scc0 .LBB11_1856
; %bb.1854:
	global_load_b32 v2, v[0:1], off
	s_mov_b32 s3, 0
	s_wait_loadcnt 0x0
	v_cvt_f64_u32_e32 v[44:45], v2
	s_branch .LBB11_1857
.LBB11_1855:
	s_mov_b32 s3, -1
                                        ; implicit-def: $vgpr44_vgpr45
	s_branch .LBB11_1860
.LBB11_1856:
	s_mov_b32 s3, -1
                                        ; implicit-def: $vgpr44_vgpr45
.LBB11_1857:
	s_delay_alu instid0(SALU_CYCLE_1)
	s_and_not1_b32 vcc_lo, exec_lo, s3
	s_cbranch_vccnz .LBB11_1859
; %bb.1858:
	global_load_u16 v2, v[0:1], off
	s_wait_loadcnt 0x0
	v_cvt_f64_u32_e32 v[44:45], v2
.LBB11_1859:
	s_mov_b32 s3, 0
.LBB11_1860:
	s_delay_alu instid0(SALU_CYCLE_1)
	s_and_not1_b32 vcc_lo, exec_lo, s3
	s_cbranch_vccnz .LBB11_1868
; %bb.1861:
	global_load_u8 v2, v[0:1], off
	s_mov_b32 s3, 0
	s_mov_b32 s4, exec_lo
	s_wait_loadcnt 0x0
	v_cmpx_lt_i16_e32 0x7f, v2
	s_xor_b32 s4, exec_lo, s4
	s_cbranch_execz .LBB11_1882
; %bb.1862:
	s_mov_b32 s3, -1
	s_mov_b32 s5, exec_lo
	v_cmpx_eq_u16_e32 0x80, v2
; %bb.1863:
	s_xor_b32 s3, exec_lo, -1
; %bb.1864:
	s_or_b32 exec_lo, exec_lo, s5
	s_delay_alu instid0(SALU_CYCLE_1)
	s_and_b32 s3, s3, exec_lo
	s_or_saveexec_b32 s4, s4
	v_mov_b64_e32 v[44:45], 0x7ff8000020000000
	s_xor_b32 exec_lo, exec_lo, s4
	s_cbranch_execnz .LBB11_1883
.LBB11_1865:
	s_or_b32 exec_lo, exec_lo, s4
	s_and_saveexec_b32 s4, s3
	s_cbranch_execz .LBB11_1867
.LBB11_1866:
	v_and_b32_e32 v3, 0xffff, v2
	s_delay_alu instid0(VALU_DEP_1) | instskip(SKIP_1) | instid1(VALU_DEP_2)
	v_and_b32_e32 v4, 7, v3
	v_bfe_u32 v7, v3, 3, 4
	v_clz_i32_u32_e32 v5, v4
	s_delay_alu instid0(VALU_DEP_2) | instskip(NEXT) | instid1(VALU_DEP_2)
	v_cmp_eq_u32_e32 vcc_lo, 0, v7
	v_min_u32_e32 v5, 32, v5
	s_delay_alu instid0(VALU_DEP_1) | instskip(NEXT) | instid1(VALU_DEP_1)
	v_subrev_nc_u32_e32 v6, 28, v5
	v_dual_lshlrev_b32 v3, v6, v3 :: v_dual_sub_nc_u32 v5, 29, v5
	s_delay_alu instid0(VALU_DEP_1) | instskip(NEXT) | instid1(VALU_DEP_1)
	v_dual_lshlrev_b32 v2, 24, v2 :: v_dual_bitop2_b32 v3, 7, v3 bitop3:0x40
	v_dual_cndmask_b32 v5, v7, v5, vcc_lo :: v_dual_cndmask_b32 v3, v4, v3, vcc_lo
	s_delay_alu instid0(VALU_DEP_2) | instskip(NEXT) | instid1(VALU_DEP_2)
	v_and_b32_e32 v2, 0x80000000, v2
	v_lshl_add_u32 v4, v5, 23, 0x3b800000
	s_delay_alu instid0(VALU_DEP_3) | instskip(NEXT) | instid1(VALU_DEP_1)
	v_lshlrev_b32_e32 v3, 20, v3
	v_or3_b32 v2, v2, v4, v3
	s_delay_alu instid0(VALU_DEP_1)
	v_cvt_f64_f32_e32 v[44:45], v2
.LBB11_1867:
	s_or_b32 exec_lo, exec_lo, s4
.LBB11_1868:
	s_mov_b32 s3, -1
.LBB11_1869:
	s_mov_b32 s4, 0
.LBB11_1870:
	s_delay_alu instid0(SALU_CYCLE_1)
	s_and_b32 vcc_lo, exec_lo, s4
	s_cbranch_vccz .LBB11_1903
; %bb.1871:
	s_cmp_gt_i32 s0, 22
	s_cbranch_scc0 .LBB11_1881
; %bb.1872:
	s_cmp_lt_i32 s0, 24
	s_cbranch_scc1 .LBB11_1884
; %bb.1873:
	s_cmp_gt_i32 s0, 24
	s_cbranch_scc0 .LBB11_1885
; %bb.1874:
	global_load_u8 v2, v[0:1], off
	s_mov_b32 s3, exec_lo
	s_wait_loadcnt 0x0
	v_cmpx_lt_i16_e32 0x7f, v2
	s_xor_b32 s3, exec_lo, s3
	s_cbranch_execz .LBB11_1897
; %bb.1875:
	s_mov_b32 s2, -1
	s_mov_b32 s4, exec_lo
	v_cmpx_eq_u16_e32 0x80, v2
; %bb.1876:
	s_xor_b32 s2, exec_lo, -1
; %bb.1877:
	s_or_b32 exec_lo, exec_lo, s4
	s_delay_alu instid0(SALU_CYCLE_1)
	s_and_b32 s2, s2, exec_lo
	s_or_saveexec_b32 s3, s3
	v_mov_b64_e32 v[44:45], 0x7ff8000020000000
	s_xor_b32 exec_lo, exec_lo, s3
	s_cbranch_execnz .LBB11_1898
.LBB11_1878:
	s_or_b32 exec_lo, exec_lo, s3
	s_and_saveexec_b32 s3, s2
	s_cbranch_execz .LBB11_1880
.LBB11_1879:
	v_and_b32_e32 v3, 0xffff, v2
	s_delay_alu instid0(VALU_DEP_1) | instskip(SKIP_1) | instid1(VALU_DEP_2)
	v_and_b32_e32 v4, 3, v3
	v_bfe_u32 v7, v3, 2, 5
	v_clz_i32_u32_e32 v5, v4
	s_delay_alu instid0(VALU_DEP_2) | instskip(NEXT) | instid1(VALU_DEP_2)
	v_cmp_eq_u32_e32 vcc_lo, 0, v7
	v_min_u32_e32 v5, 32, v5
	s_delay_alu instid0(VALU_DEP_1) | instskip(NEXT) | instid1(VALU_DEP_1)
	v_subrev_nc_u32_e32 v6, 29, v5
	v_dual_lshlrev_b32 v3, v6, v3 :: v_dual_sub_nc_u32 v5, 30, v5
	s_delay_alu instid0(VALU_DEP_1) | instskip(NEXT) | instid1(VALU_DEP_1)
	v_dual_lshlrev_b32 v2, 24, v2 :: v_dual_bitop2_b32 v3, 3, v3 bitop3:0x40
	v_dual_cndmask_b32 v5, v7, v5, vcc_lo :: v_dual_cndmask_b32 v3, v4, v3, vcc_lo
	s_delay_alu instid0(VALU_DEP_2) | instskip(NEXT) | instid1(VALU_DEP_2)
	v_and_b32_e32 v2, 0x80000000, v2
	v_lshl_add_u32 v4, v5, 23, 0x37800000
	s_delay_alu instid0(VALU_DEP_3) | instskip(NEXT) | instid1(VALU_DEP_1)
	v_lshlrev_b32_e32 v3, 21, v3
	v_or3_b32 v2, v2, v4, v3
	s_delay_alu instid0(VALU_DEP_1)
	v_cvt_f64_f32_e32 v[44:45], v2
.LBB11_1880:
	s_or_b32 exec_lo, exec_lo, s3
	s_mov_b32 s2, 0
	s_branch .LBB11_1886
.LBB11_1881:
	s_mov_b32 s2, -1
                                        ; implicit-def: $vgpr44_vgpr45
	s_branch .LBB11_1892
.LBB11_1882:
	s_or_saveexec_b32 s4, s4
	v_mov_b64_e32 v[44:45], 0x7ff8000020000000
	s_xor_b32 exec_lo, exec_lo, s4
	s_cbranch_execz .LBB11_1865
.LBB11_1883:
	v_cmp_ne_u16_e32 vcc_lo, 0, v2
	v_mov_b64_e32 v[44:45], 0
	s_and_not1_b32 s3, s3, exec_lo
	s_and_b32 s5, vcc_lo, exec_lo
	s_delay_alu instid0(SALU_CYCLE_1)
	s_or_b32 s3, s3, s5
	s_or_b32 exec_lo, exec_lo, s4
	s_and_saveexec_b32 s4, s3
	s_cbranch_execnz .LBB11_1866
	s_branch .LBB11_1867
.LBB11_1884:
	s_mov_b32 s2, -1
                                        ; implicit-def: $vgpr44_vgpr45
	s_branch .LBB11_1889
.LBB11_1885:
	s_mov_b32 s2, -1
                                        ; implicit-def: $vgpr44_vgpr45
.LBB11_1886:
	s_delay_alu instid0(SALU_CYCLE_1)
	s_and_b32 vcc_lo, exec_lo, s2
	s_cbranch_vccz .LBB11_1888
; %bb.1887:
	global_load_u8 v2, v[0:1], off
	s_wait_loadcnt 0x0
	v_lshlrev_b32_e32 v2, 24, v2
	s_delay_alu instid0(VALU_DEP_1) | instskip(NEXT) | instid1(VALU_DEP_1)
	v_and_b32_e32 v3, 0x7f000000, v2
	v_clz_i32_u32_e32 v4, v3
	v_cmp_ne_u32_e32 vcc_lo, 0, v3
	v_add_nc_u32_e32 v6, 0x1000000, v3
	s_delay_alu instid0(VALU_DEP_3) | instskip(NEXT) | instid1(VALU_DEP_1)
	v_min_u32_e32 v4, 32, v4
	v_sub_nc_u32_e64 v4, v4, 4 clamp
	s_delay_alu instid0(VALU_DEP_1) | instskip(NEXT) | instid1(VALU_DEP_1)
	v_dual_lshlrev_b32 v5, v4, v3 :: v_dual_lshlrev_b32 v4, 23, v4
	v_lshrrev_b32_e32 v5, 4, v5
	s_delay_alu instid0(VALU_DEP_1) | instskip(NEXT) | instid1(VALU_DEP_1)
	v_dual_sub_nc_u32 v4, v5, v4 :: v_dual_ashrrev_i32 v5, 8, v6
	v_add_nc_u32_e32 v4, 0x3c000000, v4
	s_delay_alu instid0(VALU_DEP_1) | instskip(NEXT) | instid1(VALU_DEP_1)
	v_and_or_b32 v4, 0x7f800000, v5, v4
	v_cndmask_b32_e32 v3, 0, v4, vcc_lo
	s_delay_alu instid0(VALU_DEP_1) | instskip(NEXT) | instid1(VALU_DEP_1)
	v_and_or_b32 v2, 0x80000000, v2, v3
	v_cvt_f64_f32_e32 v[44:45], v2
.LBB11_1888:
	s_mov_b32 s2, 0
.LBB11_1889:
	s_delay_alu instid0(SALU_CYCLE_1)
	s_and_not1_b32 vcc_lo, exec_lo, s2
	s_cbranch_vccnz .LBB11_1891
; %bb.1890:
	global_load_u8 v2, v[0:1], off
	s_wait_loadcnt 0x0
	v_lshlrev_b32_e32 v3, 25, v2
	v_lshlrev_b16 v2, 8, v2
	s_delay_alu instid0(VALU_DEP_1) | instskip(SKIP_1) | instid1(VALU_DEP_2)
	v_and_or_b32 v5, 0x7f00, v2, 0.5
	v_bfe_i32 v2, v2, 0, 16
	v_dual_add_f32 v5, -0.5, v5 :: v_dual_lshrrev_b32 v4, 4, v3
	v_cmp_gt_u32_e32 vcc_lo, 0x8000000, v3
	s_delay_alu instid0(VALU_DEP_2) | instskip(NEXT) | instid1(VALU_DEP_1)
	v_or_b32_e32 v4, 0x70000000, v4
	v_mul_f32_e32 v4, 0x7800000, v4
	s_delay_alu instid0(VALU_DEP_1) | instskip(NEXT) | instid1(VALU_DEP_1)
	v_cndmask_b32_e32 v3, v4, v5, vcc_lo
	v_and_or_b32 v2, 0x80000000, v2, v3
	s_delay_alu instid0(VALU_DEP_1)
	v_cvt_f64_f32_e32 v[44:45], v2
.LBB11_1891:
	s_mov_b32 s2, 0
	s_mov_b32 s3, -1
.LBB11_1892:
	s_and_not1_b32 vcc_lo, exec_lo, s2
	s_mov_b32 s2, 0
	s_cbranch_vccnz .LBB11_1903
; %bb.1893:
	s_cmp_gt_i32 s0, 14
	s_cbranch_scc0 .LBB11_1896
; %bb.1894:
	s_cmp_eq_u32 s0, 15
	s_cbranch_scc0 .LBB11_1899
; %bb.1895:
	global_load_u16 v2, v[0:1], off
	s_mov_b32 s1, 0
	s_mov_b32 s3, -1
	s_wait_loadcnt 0x0
	v_lshlrev_b32_e32 v2, 16, v2
	s_delay_alu instid0(VALU_DEP_1)
	v_cvt_f64_f32_e32 v[44:45], v2
	s_branch .LBB11_1901
.LBB11_1896:
	s_mov_b32 s2, -1
	s_branch .LBB11_1900
.LBB11_1897:
	s_or_saveexec_b32 s3, s3
	v_mov_b64_e32 v[44:45], 0x7ff8000020000000
	s_xor_b32 exec_lo, exec_lo, s3
	s_cbranch_execz .LBB11_1878
.LBB11_1898:
	v_cmp_ne_u16_e32 vcc_lo, 0, v2
	v_mov_b64_e32 v[44:45], 0
	s_and_not1_b32 s2, s2, exec_lo
	s_and_b32 s4, vcc_lo, exec_lo
	s_delay_alu instid0(SALU_CYCLE_1)
	s_or_b32 s2, s2, s4
	s_or_b32 exec_lo, exec_lo, s3
	s_and_saveexec_b32 s3, s2
	s_cbranch_execnz .LBB11_1879
	s_branch .LBB11_1880
.LBB11_1899:
	s_mov_b32 s1, -1
.LBB11_1900:
                                        ; implicit-def: $vgpr44_vgpr45
.LBB11_1901:
	s_and_b32 vcc_lo, exec_lo, s2
	s_mov_b32 s2, 0
	s_cbranch_vccz .LBB11_1903
; %bb.1902:
	s_cmp_lg_u32 s0, 11
	s_mov_b32 s2, -1
	s_cselect_b32 s1, -1, 0
.LBB11_1903:
	s_delay_alu instid0(SALU_CYCLE_1)
	s_and_b32 vcc_lo, exec_lo, s1
	s_cbranch_vccnz .LBB11_1966
; %bb.1904:
	s_and_not1_b32 vcc_lo, exec_lo, s2
	s_cbranch_vccnz .LBB11_1906
.LBB11_1905:
	global_load_u8 v2, v[0:1], off
	s_wait_loadcnt 0x1
	v_mov_b32_e32 v44, 0
	s_mov_b32 s3, -1
	s_wait_loadcnt 0x0
	v_cmp_ne_u16_e32 vcc_lo, 0, v2
	v_cndmask_b32_e64 v45, 0, 0x3ff00000, vcc_lo
.LBB11_1906:
	s_branch .LBB11_1833
.LBB11_1907:
	s_and_b32 s0, 0xffff, s51
	s_delay_alu instid0(SALU_CYCLE_1)
	s_cmp_lt_i32 s0, 5
	s_cbranch_scc1 .LBB11_1912
; %bb.1908:
	s_cmp_lt_i32 s0, 8
	s_cbranch_scc1 .LBB11_1913
; %bb.1909:
	s_cmp_lt_i32 s0, 9
	s_cbranch_scc1 .LBB11_1914
; %bb.1910:
	s_cmp_gt_i32 s0, 9
	s_cbranch_scc0 .LBB11_1915
; %bb.1911:
	s_wait_loadcnt 0x0
	global_load_b64 v[44:45], v[0:1], off
	s_mov_b32 s1, 0
	s_branch .LBB11_1916
.LBB11_1912:
	s_mov_b32 s1, -1
                                        ; implicit-def: $vgpr44_vgpr45
	s_branch .LBB11_1934
.LBB11_1913:
	s_mov_b32 s1, -1
                                        ; implicit-def: $vgpr44_vgpr45
	s_branch .LBB11_1922
.LBB11_1914:
	s_mov_b32 s1, -1
                                        ; implicit-def: $vgpr44_vgpr45
	s_branch .LBB11_1919
.LBB11_1915:
	s_mov_b32 s1, -1
                                        ; implicit-def: $vgpr44_vgpr45
.LBB11_1916:
	s_delay_alu instid0(SALU_CYCLE_1)
	s_and_not1_b32 vcc_lo, exec_lo, s1
	s_cbranch_vccnz .LBB11_1918
; %bb.1917:
	global_load_b32 v2, v[0:1], off
	s_wait_loadcnt 0x0
	v_cvt_f64_f32_e32 v[44:45], v2
.LBB11_1918:
	s_mov_b32 s1, 0
.LBB11_1919:
	s_delay_alu instid0(SALU_CYCLE_1)
	s_and_not1_b32 vcc_lo, exec_lo, s1
	s_cbranch_vccnz .LBB11_1921
; %bb.1920:
	global_load_b32 v2, v[0:1], off
	s_wait_loadcnt 0x0
	v_cvt_f32_f16_e32 v2, v2
	s_delay_alu instid0(VALU_DEP_1)
	v_cvt_f64_f32_e32 v[44:45], v2
.LBB11_1921:
	s_mov_b32 s1, 0
.LBB11_1922:
	s_delay_alu instid0(SALU_CYCLE_1)
	s_and_not1_b32 vcc_lo, exec_lo, s1
	s_cbranch_vccnz .LBB11_1933
; %bb.1923:
	s_cmp_lt_i32 s0, 6
	s_cbranch_scc1 .LBB11_1926
; %bb.1924:
	s_cmp_gt_i32 s0, 6
	s_cbranch_scc0 .LBB11_1927
; %bb.1925:
	s_wait_loadcnt 0x0
	global_load_b64 v[44:45], v[0:1], off
	s_mov_b32 s1, 0
	s_branch .LBB11_1928
.LBB11_1926:
	s_mov_b32 s1, -1
                                        ; implicit-def: $vgpr44_vgpr45
	s_branch .LBB11_1931
.LBB11_1927:
	s_mov_b32 s1, -1
                                        ; implicit-def: $vgpr44_vgpr45
.LBB11_1928:
	s_delay_alu instid0(SALU_CYCLE_1)
	s_and_not1_b32 vcc_lo, exec_lo, s1
	s_cbranch_vccnz .LBB11_1930
; %bb.1929:
	global_load_b32 v2, v[0:1], off
	s_wait_loadcnt 0x0
	v_cvt_f64_f32_e32 v[44:45], v2
.LBB11_1930:
	s_mov_b32 s1, 0
.LBB11_1931:
	s_delay_alu instid0(SALU_CYCLE_1)
	s_and_not1_b32 vcc_lo, exec_lo, s1
	s_cbranch_vccnz .LBB11_1933
; %bb.1932:
	global_load_u16 v2, v[0:1], off
	s_wait_loadcnt 0x0
	v_cvt_f32_f16_e32 v2, v2
	s_delay_alu instid0(VALU_DEP_1)
	v_cvt_f64_f32_e32 v[44:45], v2
.LBB11_1933:
	s_mov_b32 s1, 0
.LBB11_1934:
	s_delay_alu instid0(SALU_CYCLE_1)
	s_and_not1_b32 vcc_lo, exec_lo, s1
	s_cbranch_vccnz .LBB11_1954
; %bb.1935:
	s_cmp_lt_i32 s0, 2
	s_cbranch_scc1 .LBB11_1939
; %bb.1936:
	s_cmp_lt_i32 s0, 3
	s_cbranch_scc1 .LBB11_1940
; %bb.1937:
	s_cmp_gt_i32 s0, 3
	s_cbranch_scc0 .LBB11_1941
; %bb.1938:
	global_load_b64 v[2:3], v[0:1], off
	s_mov_b32 s1, 0
	s_wait_loadcnt 0x0
	v_cvt_f64_i32_e32 v[4:5], v3
	v_cvt_f64_u32_e32 v[2:3], v2
	s_delay_alu instid0(VALU_DEP_2) | instskip(NEXT) | instid1(VALU_DEP_1)
	v_ldexp_f64 v[4:5], v[4:5], 32
	v_add_f64_e32 v[44:45], v[4:5], v[2:3]
	s_branch .LBB11_1942
.LBB11_1939:
	s_mov_b32 s1, -1
                                        ; implicit-def: $vgpr44_vgpr45
	s_branch .LBB11_1948
.LBB11_1940:
	s_mov_b32 s1, -1
                                        ; implicit-def: $vgpr44_vgpr45
	s_branch .LBB11_1945
.LBB11_1941:
	s_mov_b32 s1, -1
                                        ; implicit-def: $vgpr44_vgpr45
.LBB11_1942:
	s_delay_alu instid0(SALU_CYCLE_1)
	s_and_not1_b32 vcc_lo, exec_lo, s1
	s_cbranch_vccnz .LBB11_1944
; %bb.1943:
	global_load_b32 v2, v[0:1], off
	s_wait_loadcnt 0x0
	v_cvt_f64_i32_e32 v[44:45], v2
.LBB11_1944:
	s_mov_b32 s1, 0
.LBB11_1945:
	s_delay_alu instid0(SALU_CYCLE_1)
	s_and_not1_b32 vcc_lo, exec_lo, s1
	s_cbranch_vccnz .LBB11_1947
; %bb.1946:
	global_load_i16 v2, v[0:1], off
	s_wait_loadcnt 0x0
	v_cvt_f64_i32_e32 v[44:45], v2
.LBB11_1947:
	s_mov_b32 s1, 0
.LBB11_1948:
	s_delay_alu instid0(SALU_CYCLE_1)
	s_and_not1_b32 vcc_lo, exec_lo, s1
	s_cbranch_vccnz .LBB11_1954
; %bb.1949:
	s_cmp_gt_i32 s0, 0
	s_mov_b32 s0, 0
	s_cbranch_scc0 .LBB11_1951
; %bb.1950:
	global_load_i8 v2, v[0:1], off
	s_wait_loadcnt 0x0
	v_cvt_f64_i32_e32 v[44:45], v2
	s_branch .LBB11_1952
.LBB11_1951:
	s_mov_b32 s0, -1
                                        ; implicit-def: $vgpr44_vgpr45
.LBB11_1952:
	s_delay_alu instid0(SALU_CYCLE_1)
	s_and_not1_b32 vcc_lo, exec_lo, s0
	s_cbranch_vccnz .LBB11_1954
; %bb.1953:
	global_load_u8 v0, v[0:1], off
	s_wait_loadcnt 0x0
	v_cvt_f64_u32_e32 v[44:45], v0
.LBB11_1954:
.LBB11_1955:
	s_lshl_b32 s46, s46, 7
	s_cmp_lt_i32 s49, 11
	v_add_nc_u32_e32 v58, s46, v58
	s_delay_alu instid0(VALU_DEP_1) | instskip(SKIP_1) | instid1(VALU_DEP_1)
	v_ashrrev_i32_e32 v59, 31, v58
	s_wait_xcnt 0x0
	v_add_nc_u64_e32 v[0:1], s[34:35], v[58:59]
	s_cbranch_scc1 .LBB11_1962
; %bb.1956:
	s_cmp_gt_i32 s49, 25
	s_mov_b32 s1, 0
	s_cbranch_scc0 .LBB11_1963
; %bb.1957:
	s_cmp_gt_i32 s49, 28
	s_cbranch_scc0 .LBB11_1964
; %bb.1958:
	s_cmp_gt_i32 s49, 43
	;; [unrolled: 3-line block ×3, first 2 shown]
	s_cbranch_scc0 .LBB11_1967
; %bb.1960:
	s_cmp_eq_u32 s49, 46
	s_mov_b32 s3, 0
	s_cbranch_scc0 .LBB11_1968
; %bb.1961:
	global_load_b32 v2, v[0:1], off
	s_mov_b32 s0, 0
	s_mov_b32 s2, -1
	s_wait_loadcnt 0x0
	v_lshlrev_b32_e32 v2, 16, v2
	s_delay_alu instid0(VALU_DEP_1)
	v_cvt_f64_f32_e32 v[46:47], v2
	s_branch .LBB11_1970
.LBB11_1962:
	s_mov_b32 s0, -1
	s_mov_b32 s2, 0
                                        ; implicit-def: $vgpr46_vgpr47
	s_branch .LBB11_2036
.LBB11_1963:
	s_mov_b32 s3, -1
	s_mov_b32 s2, 0
	s_mov_b32 s0, 0
                                        ; implicit-def: $vgpr46_vgpr47
	s_branch .LBB11_1999
.LBB11_1964:
	s_mov_b32 s3, -1
	s_mov_b32 s2, 0
	s_mov_b32 s0, 0
                                        ; implicit-def: $vgpr46_vgpr47
	s_branch .LBB11_1980
.LBB11_1965:
	s_mov_b32 s3, -1
	s_mov_b32 s2, 0
	s_mov_b32 s0, 0
                                        ; implicit-def: $vgpr46_vgpr47
	s_branch .LBB11_1975
.LBB11_1966:
	s_or_b32 s50, s50, exec_lo
	s_trap 2
	s_cbranch_execz .LBB11_1905
	s_branch .LBB11_1906
.LBB11_1967:
	s_mov_b32 s3, -1
	s_mov_b32 s2, 0
	s_mov_b32 s0, 0
	s_branch .LBB11_1969
.LBB11_1968:
	s_mov_b32 s0, -1
	s_mov_b32 s2, 0
.LBB11_1969:
                                        ; implicit-def: $vgpr46_vgpr47
.LBB11_1970:
	s_and_b32 vcc_lo, exec_lo, s3
	s_cbranch_vccz .LBB11_1974
; %bb.1971:
	s_cmp_eq_u32 s49, 44
	s_cbranch_scc0 .LBB11_1973
; %bb.1972:
	global_load_u8 v4, v[0:1], off
	s_mov_b32 s0, 0
	s_mov_b32 s2, -1
	s_wait_loadcnt 0x0
	v_cmp_ne_u32_e32 vcc_lo, 0xff, v4
	v_lshlrev_b32_e32 v2, 23, v4
	s_delay_alu instid0(VALU_DEP_1) | instskip(NEXT) | instid1(VALU_DEP_1)
	v_cvt_f64_f32_e32 v[2:3], v2
	v_cndmask_b32_e32 v2, 0x20000000, v2, vcc_lo
	s_delay_alu instid0(VALU_DEP_2) | instskip(SKIP_1) | instid1(VALU_DEP_2)
	v_cndmask_b32_e32 v3, 0x7ff80000, v3, vcc_lo
	v_cmp_ne_u32_e32 vcc_lo, 0, v4
	v_cndmask_b32_e32 v47, 0x38000000, v3, vcc_lo
	s_delay_alu instid0(VALU_DEP_4)
	v_cndmask_b32_e32 v46, 0, v2, vcc_lo
	s_branch .LBB11_1974
.LBB11_1973:
	s_mov_b32 s0, -1
                                        ; implicit-def: $vgpr46_vgpr47
.LBB11_1974:
	s_mov_b32 s3, 0
.LBB11_1975:
	s_delay_alu instid0(SALU_CYCLE_1)
	s_and_b32 vcc_lo, exec_lo, s3
	s_cbranch_vccz .LBB11_1979
; %bb.1976:
	s_cmp_eq_u32 s49, 29
	s_cbranch_scc0 .LBB11_1978
; %bb.1977:
	global_load_b64 v[2:3], v[0:1], off
	s_mov_b32 s0, 0
	s_mov_b32 s2, -1
	s_mov_b32 s3, 0
	s_wait_loadcnt 0x0
	v_cvt_f64_u32_e32 v[4:5], v3
	v_cvt_f64_u32_e32 v[2:3], v2
	s_delay_alu instid0(VALU_DEP_2) | instskip(NEXT) | instid1(VALU_DEP_1)
	v_ldexp_f64 v[4:5], v[4:5], 32
	v_add_f64_e32 v[46:47], v[4:5], v[2:3]
	s_branch .LBB11_1980
.LBB11_1978:
	s_mov_b32 s0, -1
                                        ; implicit-def: $vgpr46_vgpr47
.LBB11_1979:
	s_mov_b32 s3, 0
.LBB11_1980:
	s_delay_alu instid0(SALU_CYCLE_1)
	s_and_b32 vcc_lo, exec_lo, s3
	s_cbranch_vccz .LBB11_1998
; %bb.1981:
	s_cmp_lt_i32 s49, 27
	s_cbranch_scc1 .LBB11_1984
; %bb.1982:
	s_cmp_gt_i32 s49, 27
	s_cbranch_scc0 .LBB11_1985
; %bb.1983:
	global_load_b32 v2, v[0:1], off
	s_mov_b32 s2, 0
	s_wait_loadcnt 0x0
	v_cvt_f64_u32_e32 v[46:47], v2
	s_branch .LBB11_1986
.LBB11_1984:
	s_mov_b32 s2, -1
                                        ; implicit-def: $vgpr46_vgpr47
	s_branch .LBB11_1989
.LBB11_1985:
	s_mov_b32 s2, -1
                                        ; implicit-def: $vgpr46_vgpr47
.LBB11_1986:
	s_delay_alu instid0(SALU_CYCLE_1)
	s_and_not1_b32 vcc_lo, exec_lo, s2
	s_cbranch_vccnz .LBB11_1988
; %bb.1987:
	global_load_u16 v2, v[0:1], off
	s_wait_loadcnt 0x0
	v_cvt_f64_u32_e32 v[46:47], v2
.LBB11_1988:
	s_mov_b32 s2, 0
.LBB11_1989:
	s_delay_alu instid0(SALU_CYCLE_1)
	s_and_not1_b32 vcc_lo, exec_lo, s2
	s_cbranch_vccnz .LBB11_1997
; %bb.1990:
	global_load_u8 v2, v[0:1], off
	s_mov_b32 s2, 0
	s_mov_b32 s3, exec_lo
	s_wait_loadcnt 0x0
	v_cmpx_lt_i16_e32 0x7f, v2
	s_xor_b32 s3, exec_lo, s3
	s_cbranch_execz .LBB11_2011
; %bb.1991:
	s_mov_b32 s2, -1
	s_mov_b32 s4, exec_lo
	v_cmpx_eq_u16_e32 0x80, v2
; %bb.1992:
	s_xor_b32 s2, exec_lo, -1
; %bb.1993:
	s_or_b32 exec_lo, exec_lo, s4
	s_delay_alu instid0(SALU_CYCLE_1)
	s_and_b32 s2, s2, exec_lo
	s_or_saveexec_b32 s3, s3
	v_mov_b64_e32 v[46:47], 0x7ff8000020000000
	s_xor_b32 exec_lo, exec_lo, s3
	s_cbranch_execnz .LBB11_2012
.LBB11_1994:
	s_or_b32 exec_lo, exec_lo, s3
	s_and_saveexec_b32 s3, s2
	s_cbranch_execz .LBB11_1996
.LBB11_1995:
	v_and_b32_e32 v3, 0xffff, v2
	s_delay_alu instid0(VALU_DEP_1) | instskip(SKIP_1) | instid1(VALU_DEP_2)
	v_and_b32_e32 v4, 7, v3
	v_bfe_u32 v7, v3, 3, 4
	v_clz_i32_u32_e32 v5, v4
	s_delay_alu instid0(VALU_DEP_2) | instskip(NEXT) | instid1(VALU_DEP_2)
	v_cmp_eq_u32_e32 vcc_lo, 0, v7
	v_min_u32_e32 v5, 32, v5
	s_delay_alu instid0(VALU_DEP_1) | instskip(NEXT) | instid1(VALU_DEP_1)
	v_subrev_nc_u32_e32 v6, 28, v5
	v_dual_lshlrev_b32 v3, v6, v3 :: v_dual_sub_nc_u32 v5, 29, v5
	s_delay_alu instid0(VALU_DEP_1) | instskip(NEXT) | instid1(VALU_DEP_1)
	v_dual_lshlrev_b32 v2, 24, v2 :: v_dual_bitop2_b32 v3, 7, v3 bitop3:0x40
	v_dual_cndmask_b32 v5, v7, v5, vcc_lo :: v_dual_cndmask_b32 v3, v4, v3, vcc_lo
	s_delay_alu instid0(VALU_DEP_2) | instskip(NEXT) | instid1(VALU_DEP_2)
	v_and_b32_e32 v2, 0x80000000, v2
	v_lshl_add_u32 v4, v5, 23, 0x3b800000
	s_delay_alu instid0(VALU_DEP_3) | instskip(NEXT) | instid1(VALU_DEP_1)
	v_lshlrev_b32_e32 v3, 20, v3
	v_or3_b32 v2, v2, v4, v3
	s_delay_alu instid0(VALU_DEP_1)
	v_cvt_f64_f32_e32 v[46:47], v2
.LBB11_1996:
	s_or_b32 exec_lo, exec_lo, s3
.LBB11_1997:
	s_mov_b32 s2, -1
.LBB11_1998:
	s_mov_b32 s3, 0
.LBB11_1999:
	s_delay_alu instid0(SALU_CYCLE_1)
	s_and_b32 vcc_lo, exec_lo, s3
	s_cbranch_vccz .LBB11_2032
; %bb.2000:
	s_cmp_gt_i32 s49, 22
	s_cbranch_scc0 .LBB11_2010
; %bb.2001:
	s_cmp_lt_i32 s49, 24
	s_cbranch_scc1 .LBB11_2013
; %bb.2002:
	s_cmp_gt_i32 s49, 24
	s_cbranch_scc0 .LBB11_2014
; %bb.2003:
	global_load_u8 v2, v[0:1], off
	s_mov_b32 s2, exec_lo
	s_wait_loadcnt 0x0
	v_cmpx_lt_i16_e32 0x7f, v2
	s_xor_b32 s2, exec_lo, s2
	s_cbranch_execz .LBB11_2026
; %bb.2004:
	s_mov_b32 s1, -1
	s_mov_b32 s3, exec_lo
	v_cmpx_eq_u16_e32 0x80, v2
; %bb.2005:
	s_xor_b32 s1, exec_lo, -1
; %bb.2006:
	s_or_b32 exec_lo, exec_lo, s3
	s_delay_alu instid0(SALU_CYCLE_1)
	s_and_b32 s1, s1, exec_lo
	s_or_saveexec_b32 s2, s2
	v_mov_b64_e32 v[46:47], 0x7ff8000020000000
	s_xor_b32 exec_lo, exec_lo, s2
	s_cbranch_execnz .LBB11_2027
.LBB11_2007:
	s_or_b32 exec_lo, exec_lo, s2
	s_and_saveexec_b32 s2, s1
	s_cbranch_execz .LBB11_2009
.LBB11_2008:
	v_and_b32_e32 v3, 0xffff, v2
	s_delay_alu instid0(VALU_DEP_1) | instskip(SKIP_1) | instid1(VALU_DEP_2)
	v_and_b32_e32 v4, 3, v3
	v_bfe_u32 v7, v3, 2, 5
	v_clz_i32_u32_e32 v5, v4
	s_delay_alu instid0(VALU_DEP_2) | instskip(NEXT) | instid1(VALU_DEP_2)
	v_cmp_eq_u32_e32 vcc_lo, 0, v7
	v_min_u32_e32 v5, 32, v5
	s_delay_alu instid0(VALU_DEP_1) | instskip(NEXT) | instid1(VALU_DEP_1)
	v_subrev_nc_u32_e32 v6, 29, v5
	v_dual_lshlrev_b32 v3, v6, v3 :: v_dual_sub_nc_u32 v5, 30, v5
	s_delay_alu instid0(VALU_DEP_1) | instskip(NEXT) | instid1(VALU_DEP_1)
	v_dual_lshlrev_b32 v2, 24, v2 :: v_dual_bitop2_b32 v3, 3, v3 bitop3:0x40
	v_dual_cndmask_b32 v5, v7, v5, vcc_lo :: v_dual_cndmask_b32 v3, v4, v3, vcc_lo
	s_delay_alu instid0(VALU_DEP_2) | instskip(NEXT) | instid1(VALU_DEP_2)
	v_and_b32_e32 v2, 0x80000000, v2
	v_lshl_add_u32 v4, v5, 23, 0x37800000
	s_delay_alu instid0(VALU_DEP_3) | instskip(NEXT) | instid1(VALU_DEP_1)
	v_lshlrev_b32_e32 v3, 21, v3
	v_or3_b32 v2, v2, v4, v3
	s_delay_alu instid0(VALU_DEP_1)
	v_cvt_f64_f32_e32 v[46:47], v2
.LBB11_2009:
	s_or_b32 exec_lo, exec_lo, s2
	s_mov_b32 s1, 0
	s_branch .LBB11_2015
.LBB11_2010:
	s_mov_b32 s1, -1
                                        ; implicit-def: $vgpr46_vgpr47
	s_branch .LBB11_2021
.LBB11_2011:
	s_or_saveexec_b32 s3, s3
	v_mov_b64_e32 v[46:47], 0x7ff8000020000000
	s_xor_b32 exec_lo, exec_lo, s3
	s_cbranch_execz .LBB11_1994
.LBB11_2012:
	v_cmp_ne_u16_e32 vcc_lo, 0, v2
	v_mov_b64_e32 v[46:47], 0
	s_and_not1_b32 s2, s2, exec_lo
	s_and_b32 s4, vcc_lo, exec_lo
	s_delay_alu instid0(SALU_CYCLE_1)
	s_or_b32 s2, s2, s4
	s_or_b32 exec_lo, exec_lo, s3
	s_and_saveexec_b32 s3, s2
	s_cbranch_execnz .LBB11_1995
	s_branch .LBB11_1996
.LBB11_2013:
	s_mov_b32 s1, -1
                                        ; implicit-def: $vgpr46_vgpr47
	s_branch .LBB11_2018
.LBB11_2014:
	s_mov_b32 s1, -1
                                        ; implicit-def: $vgpr46_vgpr47
.LBB11_2015:
	s_delay_alu instid0(SALU_CYCLE_1)
	s_and_b32 vcc_lo, exec_lo, s1
	s_cbranch_vccz .LBB11_2017
; %bb.2016:
	global_load_u8 v2, v[0:1], off
	s_wait_loadcnt 0x0
	v_lshlrev_b32_e32 v2, 24, v2
	s_delay_alu instid0(VALU_DEP_1) | instskip(NEXT) | instid1(VALU_DEP_1)
	v_and_b32_e32 v3, 0x7f000000, v2
	v_clz_i32_u32_e32 v4, v3
	v_cmp_ne_u32_e32 vcc_lo, 0, v3
	v_add_nc_u32_e32 v6, 0x1000000, v3
	s_delay_alu instid0(VALU_DEP_3) | instskip(NEXT) | instid1(VALU_DEP_1)
	v_min_u32_e32 v4, 32, v4
	v_sub_nc_u32_e64 v4, v4, 4 clamp
	s_delay_alu instid0(VALU_DEP_1) | instskip(NEXT) | instid1(VALU_DEP_1)
	v_dual_lshlrev_b32 v5, v4, v3 :: v_dual_lshlrev_b32 v4, 23, v4
	v_lshrrev_b32_e32 v5, 4, v5
	s_delay_alu instid0(VALU_DEP_1) | instskip(NEXT) | instid1(VALU_DEP_1)
	v_dual_sub_nc_u32 v4, v5, v4 :: v_dual_ashrrev_i32 v5, 8, v6
	v_add_nc_u32_e32 v4, 0x3c000000, v4
	s_delay_alu instid0(VALU_DEP_1) | instskip(NEXT) | instid1(VALU_DEP_1)
	v_and_or_b32 v4, 0x7f800000, v5, v4
	v_cndmask_b32_e32 v3, 0, v4, vcc_lo
	s_delay_alu instid0(VALU_DEP_1) | instskip(NEXT) | instid1(VALU_DEP_1)
	v_and_or_b32 v2, 0x80000000, v2, v3
	v_cvt_f64_f32_e32 v[46:47], v2
.LBB11_2017:
	s_mov_b32 s1, 0
.LBB11_2018:
	s_delay_alu instid0(SALU_CYCLE_1)
	s_and_not1_b32 vcc_lo, exec_lo, s1
	s_cbranch_vccnz .LBB11_2020
; %bb.2019:
	global_load_u8 v2, v[0:1], off
	s_wait_loadcnt 0x0
	v_lshlrev_b32_e32 v3, 25, v2
	v_lshlrev_b16 v2, 8, v2
	s_delay_alu instid0(VALU_DEP_1) | instskip(SKIP_1) | instid1(VALU_DEP_2)
	v_and_or_b32 v5, 0x7f00, v2, 0.5
	v_bfe_i32 v2, v2, 0, 16
	v_dual_add_f32 v5, -0.5, v5 :: v_dual_lshrrev_b32 v4, 4, v3
	v_cmp_gt_u32_e32 vcc_lo, 0x8000000, v3
	s_delay_alu instid0(VALU_DEP_2) | instskip(NEXT) | instid1(VALU_DEP_1)
	v_or_b32_e32 v4, 0x70000000, v4
	v_mul_f32_e32 v4, 0x7800000, v4
	s_delay_alu instid0(VALU_DEP_1) | instskip(NEXT) | instid1(VALU_DEP_1)
	v_cndmask_b32_e32 v3, v4, v5, vcc_lo
	v_and_or_b32 v2, 0x80000000, v2, v3
	s_delay_alu instid0(VALU_DEP_1)
	v_cvt_f64_f32_e32 v[46:47], v2
.LBB11_2020:
	s_mov_b32 s1, 0
	s_mov_b32 s2, -1
.LBB11_2021:
	s_and_not1_b32 vcc_lo, exec_lo, s1
	s_mov_b32 s1, 0
	s_cbranch_vccnz .LBB11_2032
; %bb.2022:
	s_cmp_gt_i32 s49, 14
	s_cbranch_scc0 .LBB11_2025
; %bb.2023:
	s_cmp_eq_u32 s49, 15
	s_cbranch_scc0 .LBB11_2028
; %bb.2024:
	global_load_u16 v2, v[0:1], off
	s_mov_b32 s0, 0
	s_mov_b32 s2, -1
	s_wait_loadcnt 0x0
	v_lshlrev_b32_e32 v2, 16, v2
	s_delay_alu instid0(VALU_DEP_1)
	v_cvt_f64_f32_e32 v[46:47], v2
	s_branch .LBB11_2030
.LBB11_2025:
	s_mov_b32 s1, -1
	s_branch .LBB11_2029
.LBB11_2026:
	s_or_saveexec_b32 s2, s2
	v_mov_b64_e32 v[46:47], 0x7ff8000020000000
	s_xor_b32 exec_lo, exec_lo, s2
	s_cbranch_execz .LBB11_2007
.LBB11_2027:
	v_cmp_ne_u16_e32 vcc_lo, 0, v2
	v_mov_b64_e32 v[46:47], 0
	s_and_not1_b32 s1, s1, exec_lo
	s_and_b32 s3, vcc_lo, exec_lo
	s_delay_alu instid0(SALU_CYCLE_1)
	s_or_b32 s1, s1, s3
	s_or_b32 exec_lo, exec_lo, s2
	s_and_saveexec_b32 s2, s1
	s_cbranch_execnz .LBB11_2008
	s_branch .LBB11_2009
.LBB11_2028:
	s_mov_b32 s0, -1
.LBB11_2029:
                                        ; implicit-def: $vgpr46_vgpr47
.LBB11_2030:
	s_and_b32 vcc_lo, exec_lo, s1
	s_mov_b32 s1, 0
	s_cbranch_vccz .LBB11_2032
; %bb.2031:
	s_cmp_lg_u32 s49, 11
	s_mov_b32 s1, -1
	s_cselect_b32 s0, -1, 0
.LBB11_2032:
	s_delay_alu instid0(SALU_CYCLE_1)
	s_and_b32 vcc_lo, exec_lo, s0
	s_cbranch_vccnz .LBB11_2102
; %bb.2033:
	s_and_not1_b32 vcc_lo, exec_lo, s1
	s_cbranch_vccnz .LBB11_2035
.LBB11_2034:
	global_load_u8 v2, v[0:1], off
	s_wait_loadcnt 0x1
	v_mov_b32_e32 v46, 0
	s_mov_b32 s2, -1
	s_wait_loadcnt 0x0
	v_cmp_ne_u16_e32 vcc_lo, 0, v2
	v_cndmask_b32_e64 v47, 0, 0x3ff00000, vcc_lo
.LBB11_2035:
	s_mov_b32 s0, 0
.LBB11_2036:
	s_delay_alu instid0(SALU_CYCLE_1)
	s_and_b32 vcc_lo, exec_lo, s0
	s_cbranch_vccz .LBB11_2085
; %bb.2037:
	s_cmp_lt_i32 s49, 5
	s_cbranch_scc1 .LBB11_2042
; %bb.2038:
	s_cmp_lt_i32 s49, 8
	s_cbranch_scc1 .LBB11_2043
	;; [unrolled: 3-line block ×3, first 2 shown]
; %bb.2040:
	s_cmp_gt_i32 s49, 9
	s_cbranch_scc0 .LBB11_2045
; %bb.2041:
	s_wait_loadcnt 0x0
	global_load_b64 v[46:47], v[0:1], off
	s_mov_b32 s0, 0
	s_branch .LBB11_2046
.LBB11_2042:
	s_mov_b32 s0, -1
                                        ; implicit-def: $vgpr46_vgpr47
	s_branch .LBB11_2064
.LBB11_2043:
	s_mov_b32 s0, -1
                                        ; implicit-def: $vgpr46_vgpr47
	s_branch .LBB11_2052
.LBB11_2044:
	s_mov_b32 s0, -1
                                        ; implicit-def: $vgpr46_vgpr47
	s_branch .LBB11_2049
.LBB11_2045:
	s_mov_b32 s0, -1
                                        ; implicit-def: $vgpr46_vgpr47
.LBB11_2046:
	s_delay_alu instid0(SALU_CYCLE_1)
	s_and_not1_b32 vcc_lo, exec_lo, s0
	s_cbranch_vccnz .LBB11_2048
; %bb.2047:
	global_load_b32 v2, v[0:1], off
	s_wait_loadcnt 0x0
	v_cvt_f64_f32_e32 v[46:47], v2
.LBB11_2048:
	s_mov_b32 s0, 0
.LBB11_2049:
	s_delay_alu instid0(SALU_CYCLE_1)
	s_and_not1_b32 vcc_lo, exec_lo, s0
	s_cbranch_vccnz .LBB11_2051
; %bb.2050:
	global_load_b32 v2, v[0:1], off
	s_wait_loadcnt 0x0
	v_cvt_f32_f16_e32 v2, v2
	s_delay_alu instid0(VALU_DEP_1)
	v_cvt_f64_f32_e32 v[46:47], v2
.LBB11_2051:
	s_mov_b32 s0, 0
.LBB11_2052:
	s_delay_alu instid0(SALU_CYCLE_1)
	s_and_not1_b32 vcc_lo, exec_lo, s0
	s_cbranch_vccnz .LBB11_2063
; %bb.2053:
	s_cmp_lt_i32 s49, 6
	s_cbranch_scc1 .LBB11_2056
; %bb.2054:
	s_cmp_gt_i32 s49, 6
	s_cbranch_scc0 .LBB11_2057
; %bb.2055:
	s_wait_loadcnt 0x0
	global_load_b64 v[46:47], v[0:1], off
	s_mov_b32 s0, 0
	s_branch .LBB11_2058
.LBB11_2056:
	s_mov_b32 s0, -1
                                        ; implicit-def: $vgpr46_vgpr47
	s_branch .LBB11_2061
.LBB11_2057:
	s_mov_b32 s0, -1
                                        ; implicit-def: $vgpr46_vgpr47
.LBB11_2058:
	s_delay_alu instid0(SALU_CYCLE_1)
	s_and_not1_b32 vcc_lo, exec_lo, s0
	s_cbranch_vccnz .LBB11_2060
; %bb.2059:
	global_load_b32 v2, v[0:1], off
	s_wait_loadcnt 0x0
	v_cvt_f64_f32_e32 v[46:47], v2
.LBB11_2060:
	s_mov_b32 s0, 0
.LBB11_2061:
	s_delay_alu instid0(SALU_CYCLE_1)
	s_and_not1_b32 vcc_lo, exec_lo, s0
	s_cbranch_vccnz .LBB11_2063
; %bb.2062:
	global_load_u16 v2, v[0:1], off
	s_wait_loadcnt 0x0
	v_cvt_f32_f16_e32 v2, v2
	s_delay_alu instid0(VALU_DEP_1)
	v_cvt_f64_f32_e32 v[46:47], v2
.LBB11_2063:
	s_mov_b32 s0, 0
.LBB11_2064:
	s_delay_alu instid0(SALU_CYCLE_1)
	s_and_not1_b32 vcc_lo, exec_lo, s0
	s_cbranch_vccnz .LBB11_2084
; %bb.2065:
	s_cmp_lt_i32 s49, 2
	s_cbranch_scc1 .LBB11_2069
; %bb.2066:
	s_cmp_lt_i32 s49, 3
	s_cbranch_scc1 .LBB11_2070
; %bb.2067:
	s_cmp_gt_i32 s49, 3
	s_cbranch_scc0 .LBB11_2071
; %bb.2068:
	global_load_b64 v[2:3], v[0:1], off
	s_mov_b32 s0, 0
	s_wait_loadcnt 0x0
	v_cvt_f64_i32_e32 v[4:5], v3
	v_cvt_f64_u32_e32 v[2:3], v2
	s_delay_alu instid0(VALU_DEP_2) | instskip(NEXT) | instid1(VALU_DEP_1)
	v_ldexp_f64 v[4:5], v[4:5], 32
	v_add_f64_e32 v[46:47], v[4:5], v[2:3]
	s_branch .LBB11_2072
.LBB11_2069:
	s_mov_b32 s0, -1
                                        ; implicit-def: $vgpr46_vgpr47
	s_branch .LBB11_2078
.LBB11_2070:
	s_mov_b32 s0, -1
                                        ; implicit-def: $vgpr46_vgpr47
	s_branch .LBB11_2075
.LBB11_2071:
	s_mov_b32 s0, -1
                                        ; implicit-def: $vgpr46_vgpr47
.LBB11_2072:
	s_delay_alu instid0(SALU_CYCLE_1)
	s_and_not1_b32 vcc_lo, exec_lo, s0
	s_cbranch_vccnz .LBB11_2074
; %bb.2073:
	global_load_b32 v2, v[0:1], off
	s_wait_loadcnt 0x0
	v_cvt_f64_i32_e32 v[46:47], v2
.LBB11_2074:
	s_mov_b32 s0, 0
.LBB11_2075:
	s_delay_alu instid0(SALU_CYCLE_1)
	s_and_not1_b32 vcc_lo, exec_lo, s0
	s_cbranch_vccnz .LBB11_2077
; %bb.2076:
	global_load_i16 v2, v[0:1], off
	s_wait_loadcnt 0x0
	v_cvt_f64_i32_e32 v[46:47], v2
.LBB11_2077:
	s_mov_b32 s0, 0
.LBB11_2078:
	s_delay_alu instid0(SALU_CYCLE_1)
	s_and_not1_b32 vcc_lo, exec_lo, s0
	s_cbranch_vccnz .LBB11_2084
; %bb.2079:
	s_cmp_gt_i32 s49, 0
	s_mov_b32 s0, 0
	s_cbranch_scc0 .LBB11_2081
; %bb.2080:
	global_load_i8 v2, v[0:1], off
	s_wait_loadcnt 0x0
	v_cvt_f64_i32_e32 v[46:47], v2
	s_branch .LBB11_2082
.LBB11_2081:
	s_mov_b32 s0, -1
                                        ; implicit-def: $vgpr46_vgpr47
.LBB11_2082:
	s_delay_alu instid0(SALU_CYCLE_1)
	s_and_not1_b32 vcc_lo, exec_lo, s0
	s_cbranch_vccnz .LBB11_2084
; %bb.2083:
	global_load_u8 v0, v[0:1], off
	s_wait_loadcnt 0x0
	v_cvt_f64_u32_e32 v[46:47], v0
.LBB11_2084:
	s_mov_b32 s2, -1
.LBB11_2085:
	s_delay_alu instid0(SALU_CYCLE_1)
	s_and_not1_b32 vcc_lo, exec_lo, s2
	s_cbranch_vccnz .LBB11_2624
; %bb.2086:
	s_and_b32 vcc_lo, exec_lo, s47
	s_cbranch_vccz .LBB11_2088
; %bb.2087:
	s_wait_loadcnt 0x0
	s_delay_alu instid0(VALU_DEP_4) | instskip(NEXT) | instid1(VALU_DEP_2)
	v_dual_mov_b32 v0, v44 :: v_dual_mov_b32 v1, v45
	v_dual_mov_b32 v2, v46 :: v_dual_mov_b32 v3, v47
	s_get_pc_i64 s[0:1]
	s_add_nc_u64 s[0:1], s[0:1], _ZN12_GLOBAL__N_111calc_igammaIdEET_S1_S1_@rel64+4
	s_delay_alu instid0(SALU_CYCLE_1)
	s_swap_pc_i64 s[30:31], s[0:1]
	v_dual_mov_b32 v56, v0 :: v_dual_mov_b32 v57, v1
	s_mov_b32 s0, 0
	s_branch .LBB11_2089
.LBB11_2088:
	s_mov_b32 s0, -1
                                        ; implicit-def: $vgpr56_vgpr57
.LBB11_2089:
	s_delay_alu instid0(SALU_CYCLE_1)
	s_and_not1_b32 vcc_lo, exec_lo, s0
	s_cbranch_vccnz .LBB11_2091
; %bb.2090:
	s_wait_loadcnt 0x0
	s_delay_alu instid0(VALU_DEP_4) | instskip(NEXT) | instid1(VALU_DEP_2)
	v_dual_mov_b32 v0, v44 :: v_dual_mov_b32 v1, v45
	v_dual_mov_b32 v2, v46 :: v_dual_mov_b32 v3, v47
	s_get_pc_i64 s[0:1]
	s_add_nc_u64 s[0:1], s[0:1], _ZN12_GLOBAL__N_112calc_igammacIdEET_S1_S1_@rel64+4
	s_delay_alu instid0(SALU_CYCLE_1)
	s_swap_pc_i64 s[30:31], s[0:1]
	v_dual_mov_b32 v56, v0 :: v_dual_mov_b32 v57, v1
.LBB11_2091:
	v_add_nc_u32_e32 v62, s45, v60
	s_cmp_lt_i32 s51, 11
	s_delay_alu instid0(VALU_DEP_1) | instskip(SKIP_1) | instid1(VALU_DEP_1)
	v_ashrrev_i32_e32 v63, 31, v62
	s_wait_xcnt 0x0
	v_add_nc_u64_e32 v[0:1], s[38:39], v[62:63]
	s_cbranch_scc1 .LBB11_2098
; %bb.2092:
	s_and_b32 s0, 0xffff, s51
	s_mov_b32 s2, 0
	s_cmp_gt_i32 s0, 25
	s_cbranch_scc0 .LBB11_2099
; %bb.2093:
	s_cmp_gt_i32 s0, 28
	s_cbranch_scc0 .LBB11_2100
; %bb.2094:
	;; [unrolled: 3-line block ×4, first 2 shown]
	s_cmp_eq_u32 s0, 46
	s_mov_b32 s4, 0
	s_cbranch_scc0 .LBB11_2104
; %bb.2097:
	global_load_b32 v2, v[0:1], off
	s_mov_b32 s1, 0
	s_mov_b32 s3, -1
	s_wait_loadcnt 0x0
	v_lshlrev_b32_e32 v2, 16, v2
	s_delay_alu instid0(VALU_DEP_1)
	v_cvt_f64_f32_e32 v[44:45], v2
	s_branch .LBB11_2106
.LBB11_2098:
	s_mov_b32 s0, -1
	s_mov_b32 s3, 0
                                        ; implicit-def: $vgpr44_vgpr45
	s_branch .LBB11_2172
.LBB11_2099:
	s_mov_b32 s4, -1
	s_mov_b32 s3, 0
	s_mov_b32 s1, 0
                                        ; implicit-def: $vgpr44_vgpr45
	s_branch .LBB11_2135
.LBB11_2100:
	s_mov_b32 s4, -1
	s_mov_b32 s3, 0
	s_mov_b32 s1, 0
                                        ; implicit-def: $vgpr44_vgpr45
	s_branch .LBB11_2116
.LBB11_2101:
	s_mov_b32 s4, -1
	s_mov_b32 s3, 0
	s_mov_b32 s1, 0
                                        ; implicit-def: $vgpr44_vgpr45
	s_branch .LBB11_2111
.LBB11_2102:
	s_or_b32 s50, s50, exec_lo
	s_trap 2
	s_cbranch_execz .LBB11_2034
	s_branch .LBB11_2035
.LBB11_2103:
	s_mov_b32 s4, -1
	s_mov_b32 s3, 0
	s_mov_b32 s1, 0
	s_branch .LBB11_2105
.LBB11_2104:
	s_mov_b32 s1, -1
	s_mov_b32 s3, 0
.LBB11_2105:
                                        ; implicit-def: $vgpr44_vgpr45
.LBB11_2106:
	s_and_b32 vcc_lo, exec_lo, s4
	s_cbranch_vccz .LBB11_2110
; %bb.2107:
	s_cmp_eq_u32 s0, 44
	s_cbranch_scc0 .LBB11_2109
; %bb.2108:
	global_load_u8 v4, v[0:1], off
	s_mov_b32 s1, 0
	s_mov_b32 s3, -1
	s_wait_loadcnt 0x0
	v_cmp_ne_u32_e32 vcc_lo, 0xff, v4
	v_lshlrev_b32_e32 v2, 23, v4
	s_delay_alu instid0(VALU_DEP_1) | instskip(NEXT) | instid1(VALU_DEP_1)
	v_cvt_f64_f32_e32 v[2:3], v2
	v_cndmask_b32_e32 v2, 0x20000000, v2, vcc_lo
	s_delay_alu instid0(VALU_DEP_2) | instskip(SKIP_1) | instid1(VALU_DEP_2)
	v_cndmask_b32_e32 v3, 0x7ff80000, v3, vcc_lo
	v_cmp_ne_u32_e32 vcc_lo, 0, v4
	v_cndmask_b32_e32 v45, 0x38000000, v3, vcc_lo
	s_delay_alu instid0(VALU_DEP_4)
	v_cndmask_b32_e32 v44, 0, v2, vcc_lo
	s_branch .LBB11_2110
.LBB11_2109:
	s_mov_b32 s1, -1
                                        ; implicit-def: $vgpr44_vgpr45
.LBB11_2110:
	s_mov_b32 s4, 0
.LBB11_2111:
	s_delay_alu instid0(SALU_CYCLE_1)
	s_and_b32 vcc_lo, exec_lo, s4
	s_cbranch_vccz .LBB11_2115
; %bb.2112:
	s_cmp_eq_u32 s0, 29
	s_cbranch_scc0 .LBB11_2114
; %bb.2113:
	global_load_b64 v[2:3], v[0:1], off
	s_mov_b32 s1, 0
	s_mov_b32 s3, -1
	s_mov_b32 s4, 0
	s_wait_loadcnt 0x0
	v_cvt_f64_u32_e32 v[4:5], v3
	v_cvt_f64_u32_e32 v[2:3], v2
	s_delay_alu instid0(VALU_DEP_2) | instskip(NEXT) | instid1(VALU_DEP_1)
	v_ldexp_f64 v[4:5], v[4:5], 32
	v_add_f64_e32 v[44:45], v[4:5], v[2:3]
	s_branch .LBB11_2116
.LBB11_2114:
	s_mov_b32 s1, -1
                                        ; implicit-def: $vgpr44_vgpr45
.LBB11_2115:
	s_mov_b32 s4, 0
.LBB11_2116:
	s_delay_alu instid0(SALU_CYCLE_1)
	s_and_b32 vcc_lo, exec_lo, s4
	s_cbranch_vccz .LBB11_2134
; %bb.2117:
	s_cmp_lt_i32 s0, 27
	s_cbranch_scc1 .LBB11_2120
; %bb.2118:
	s_cmp_gt_i32 s0, 27
	s_cbranch_scc0 .LBB11_2121
; %bb.2119:
	global_load_b32 v2, v[0:1], off
	s_mov_b32 s3, 0
	s_wait_loadcnt 0x0
	v_cvt_f64_u32_e32 v[44:45], v2
	s_branch .LBB11_2122
.LBB11_2120:
	s_mov_b32 s3, -1
                                        ; implicit-def: $vgpr44_vgpr45
	s_branch .LBB11_2125
.LBB11_2121:
	s_mov_b32 s3, -1
                                        ; implicit-def: $vgpr44_vgpr45
.LBB11_2122:
	s_delay_alu instid0(SALU_CYCLE_1)
	s_and_not1_b32 vcc_lo, exec_lo, s3
	s_cbranch_vccnz .LBB11_2124
; %bb.2123:
	global_load_u16 v2, v[0:1], off
	s_wait_loadcnt 0x0
	v_cvt_f64_u32_e32 v[44:45], v2
.LBB11_2124:
	s_mov_b32 s3, 0
.LBB11_2125:
	s_delay_alu instid0(SALU_CYCLE_1)
	s_and_not1_b32 vcc_lo, exec_lo, s3
	s_cbranch_vccnz .LBB11_2133
; %bb.2126:
	global_load_u8 v2, v[0:1], off
	s_mov_b32 s3, 0
	s_mov_b32 s4, exec_lo
	s_wait_loadcnt 0x0
	v_cmpx_lt_i16_e32 0x7f, v2
	s_xor_b32 s4, exec_lo, s4
	s_cbranch_execz .LBB11_2147
; %bb.2127:
	s_mov_b32 s3, -1
	s_mov_b32 s5, exec_lo
	v_cmpx_eq_u16_e32 0x80, v2
; %bb.2128:
	s_xor_b32 s3, exec_lo, -1
; %bb.2129:
	s_or_b32 exec_lo, exec_lo, s5
	s_delay_alu instid0(SALU_CYCLE_1)
	s_and_b32 s3, s3, exec_lo
	s_or_saveexec_b32 s4, s4
	v_mov_b64_e32 v[44:45], 0x7ff8000020000000
	s_xor_b32 exec_lo, exec_lo, s4
	s_cbranch_execnz .LBB11_2148
.LBB11_2130:
	s_or_b32 exec_lo, exec_lo, s4
	s_and_saveexec_b32 s4, s3
	s_cbranch_execz .LBB11_2132
.LBB11_2131:
	v_and_b32_e32 v3, 0xffff, v2
	s_delay_alu instid0(VALU_DEP_1) | instskip(SKIP_1) | instid1(VALU_DEP_2)
	v_and_b32_e32 v4, 7, v3
	v_bfe_u32 v7, v3, 3, 4
	v_clz_i32_u32_e32 v5, v4
	s_delay_alu instid0(VALU_DEP_2) | instskip(NEXT) | instid1(VALU_DEP_2)
	v_cmp_eq_u32_e32 vcc_lo, 0, v7
	v_min_u32_e32 v5, 32, v5
	s_delay_alu instid0(VALU_DEP_1) | instskip(NEXT) | instid1(VALU_DEP_1)
	v_subrev_nc_u32_e32 v6, 28, v5
	v_dual_lshlrev_b32 v3, v6, v3 :: v_dual_sub_nc_u32 v5, 29, v5
	s_delay_alu instid0(VALU_DEP_1) | instskip(NEXT) | instid1(VALU_DEP_1)
	v_dual_lshlrev_b32 v2, 24, v2 :: v_dual_bitop2_b32 v3, 7, v3 bitop3:0x40
	v_dual_cndmask_b32 v5, v7, v5, vcc_lo :: v_dual_cndmask_b32 v3, v4, v3, vcc_lo
	s_delay_alu instid0(VALU_DEP_2) | instskip(NEXT) | instid1(VALU_DEP_2)
	v_and_b32_e32 v2, 0x80000000, v2
	v_lshl_add_u32 v4, v5, 23, 0x3b800000
	s_delay_alu instid0(VALU_DEP_3) | instskip(NEXT) | instid1(VALU_DEP_1)
	v_lshlrev_b32_e32 v3, 20, v3
	v_or3_b32 v2, v2, v4, v3
	s_delay_alu instid0(VALU_DEP_1)
	v_cvt_f64_f32_e32 v[44:45], v2
.LBB11_2132:
	s_or_b32 exec_lo, exec_lo, s4
.LBB11_2133:
	s_mov_b32 s3, -1
.LBB11_2134:
	s_mov_b32 s4, 0
.LBB11_2135:
	s_delay_alu instid0(SALU_CYCLE_1)
	s_and_b32 vcc_lo, exec_lo, s4
	s_cbranch_vccz .LBB11_2168
; %bb.2136:
	s_cmp_gt_i32 s0, 22
	s_cbranch_scc0 .LBB11_2146
; %bb.2137:
	s_cmp_lt_i32 s0, 24
	s_cbranch_scc1 .LBB11_2149
; %bb.2138:
	s_cmp_gt_i32 s0, 24
	s_cbranch_scc0 .LBB11_2150
; %bb.2139:
	global_load_u8 v2, v[0:1], off
	s_mov_b32 s3, exec_lo
	s_wait_loadcnt 0x0
	v_cmpx_lt_i16_e32 0x7f, v2
	s_xor_b32 s3, exec_lo, s3
	s_cbranch_execz .LBB11_2162
; %bb.2140:
	s_mov_b32 s2, -1
	s_mov_b32 s4, exec_lo
	v_cmpx_eq_u16_e32 0x80, v2
; %bb.2141:
	s_xor_b32 s2, exec_lo, -1
; %bb.2142:
	s_or_b32 exec_lo, exec_lo, s4
	s_delay_alu instid0(SALU_CYCLE_1)
	s_and_b32 s2, s2, exec_lo
	s_or_saveexec_b32 s3, s3
	v_mov_b64_e32 v[44:45], 0x7ff8000020000000
	s_xor_b32 exec_lo, exec_lo, s3
	s_cbranch_execnz .LBB11_2163
.LBB11_2143:
	s_or_b32 exec_lo, exec_lo, s3
	s_and_saveexec_b32 s3, s2
	s_cbranch_execz .LBB11_2145
.LBB11_2144:
	v_and_b32_e32 v3, 0xffff, v2
	s_delay_alu instid0(VALU_DEP_1) | instskip(SKIP_1) | instid1(VALU_DEP_2)
	v_and_b32_e32 v4, 3, v3
	v_bfe_u32 v7, v3, 2, 5
	v_clz_i32_u32_e32 v5, v4
	s_delay_alu instid0(VALU_DEP_2) | instskip(NEXT) | instid1(VALU_DEP_2)
	v_cmp_eq_u32_e32 vcc_lo, 0, v7
	v_min_u32_e32 v5, 32, v5
	s_delay_alu instid0(VALU_DEP_1) | instskip(NEXT) | instid1(VALU_DEP_1)
	v_subrev_nc_u32_e32 v6, 29, v5
	v_dual_lshlrev_b32 v3, v6, v3 :: v_dual_sub_nc_u32 v5, 30, v5
	s_delay_alu instid0(VALU_DEP_1) | instskip(NEXT) | instid1(VALU_DEP_1)
	v_dual_lshlrev_b32 v2, 24, v2 :: v_dual_bitop2_b32 v3, 3, v3 bitop3:0x40
	v_dual_cndmask_b32 v5, v7, v5, vcc_lo :: v_dual_cndmask_b32 v3, v4, v3, vcc_lo
	s_delay_alu instid0(VALU_DEP_2) | instskip(NEXT) | instid1(VALU_DEP_2)
	v_and_b32_e32 v2, 0x80000000, v2
	v_lshl_add_u32 v4, v5, 23, 0x37800000
	s_delay_alu instid0(VALU_DEP_3) | instskip(NEXT) | instid1(VALU_DEP_1)
	v_lshlrev_b32_e32 v3, 21, v3
	v_or3_b32 v2, v2, v4, v3
	s_delay_alu instid0(VALU_DEP_1)
	v_cvt_f64_f32_e32 v[44:45], v2
.LBB11_2145:
	s_or_b32 exec_lo, exec_lo, s3
	s_mov_b32 s2, 0
	s_branch .LBB11_2151
.LBB11_2146:
	s_mov_b32 s2, -1
                                        ; implicit-def: $vgpr44_vgpr45
	s_branch .LBB11_2157
.LBB11_2147:
	s_or_saveexec_b32 s4, s4
	v_mov_b64_e32 v[44:45], 0x7ff8000020000000
	s_xor_b32 exec_lo, exec_lo, s4
	s_cbranch_execz .LBB11_2130
.LBB11_2148:
	v_cmp_ne_u16_e32 vcc_lo, 0, v2
	v_mov_b64_e32 v[44:45], 0
	s_and_not1_b32 s3, s3, exec_lo
	s_and_b32 s5, vcc_lo, exec_lo
	s_delay_alu instid0(SALU_CYCLE_1)
	s_or_b32 s3, s3, s5
	s_or_b32 exec_lo, exec_lo, s4
	s_and_saveexec_b32 s4, s3
	s_cbranch_execnz .LBB11_2131
	s_branch .LBB11_2132
.LBB11_2149:
	s_mov_b32 s2, -1
                                        ; implicit-def: $vgpr44_vgpr45
	s_branch .LBB11_2154
.LBB11_2150:
	s_mov_b32 s2, -1
                                        ; implicit-def: $vgpr44_vgpr45
.LBB11_2151:
	s_delay_alu instid0(SALU_CYCLE_1)
	s_and_b32 vcc_lo, exec_lo, s2
	s_cbranch_vccz .LBB11_2153
; %bb.2152:
	global_load_u8 v2, v[0:1], off
	s_wait_loadcnt 0x0
	v_lshlrev_b32_e32 v2, 24, v2
	s_delay_alu instid0(VALU_DEP_1) | instskip(NEXT) | instid1(VALU_DEP_1)
	v_and_b32_e32 v3, 0x7f000000, v2
	v_clz_i32_u32_e32 v4, v3
	v_cmp_ne_u32_e32 vcc_lo, 0, v3
	v_add_nc_u32_e32 v6, 0x1000000, v3
	s_delay_alu instid0(VALU_DEP_3) | instskip(NEXT) | instid1(VALU_DEP_1)
	v_min_u32_e32 v4, 32, v4
	v_sub_nc_u32_e64 v4, v4, 4 clamp
	s_delay_alu instid0(VALU_DEP_1) | instskip(NEXT) | instid1(VALU_DEP_1)
	v_dual_lshlrev_b32 v5, v4, v3 :: v_dual_lshlrev_b32 v4, 23, v4
	v_lshrrev_b32_e32 v5, 4, v5
	s_delay_alu instid0(VALU_DEP_1) | instskip(NEXT) | instid1(VALU_DEP_1)
	v_dual_sub_nc_u32 v4, v5, v4 :: v_dual_ashrrev_i32 v5, 8, v6
	v_add_nc_u32_e32 v4, 0x3c000000, v4
	s_delay_alu instid0(VALU_DEP_1) | instskip(NEXT) | instid1(VALU_DEP_1)
	v_and_or_b32 v4, 0x7f800000, v5, v4
	v_cndmask_b32_e32 v3, 0, v4, vcc_lo
	s_delay_alu instid0(VALU_DEP_1) | instskip(NEXT) | instid1(VALU_DEP_1)
	v_and_or_b32 v2, 0x80000000, v2, v3
	v_cvt_f64_f32_e32 v[44:45], v2
.LBB11_2153:
	s_mov_b32 s2, 0
.LBB11_2154:
	s_delay_alu instid0(SALU_CYCLE_1)
	s_and_not1_b32 vcc_lo, exec_lo, s2
	s_cbranch_vccnz .LBB11_2156
; %bb.2155:
	global_load_u8 v2, v[0:1], off
	s_wait_loadcnt 0x0
	v_lshlrev_b32_e32 v3, 25, v2
	v_lshlrev_b16 v2, 8, v2
	s_delay_alu instid0(VALU_DEP_1) | instskip(SKIP_1) | instid1(VALU_DEP_2)
	v_and_or_b32 v5, 0x7f00, v2, 0.5
	v_bfe_i32 v2, v2, 0, 16
	v_dual_add_f32 v5, -0.5, v5 :: v_dual_lshrrev_b32 v4, 4, v3
	v_cmp_gt_u32_e32 vcc_lo, 0x8000000, v3
	s_delay_alu instid0(VALU_DEP_2) | instskip(NEXT) | instid1(VALU_DEP_1)
	v_or_b32_e32 v4, 0x70000000, v4
	v_mul_f32_e32 v4, 0x7800000, v4
	s_delay_alu instid0(VALU_DEP_1) | instskip(NEXT) | instid1(VALU_DEP_1)
	v_cndmask_b32_e32 v3, v4, v5, vcc_lo
	v_and_or_b32 v2, 0x80000000, v2, v3
	s_delay_alu instid0(VALU_DEP_1)
	v_cvt_f64_f32_e32 v[44:45], v2
.LBB11_2156:
	s_mov_b32 s2, 0
	s_mov_b32 s3, -1
.LBB11_2157:
	s_and_not1_b32 vcc_lo, exec_lo, s2
	s_mov_b32 s2, 0
	s_cbranch_vccnz .LBB11_2168
; %bb.2158:
	s_cmp_gt_i32 s0, 14
	s_cbranch_scc0 .LBB11_2161
; %bb.2159:
	s_cmp_eq_u32 s0, 15
	s_cbranch_scc0 .LBB11_2164
; %bb.2160:
	global_load_u16 v2, v[0:1], off
	s_mov_b32 s1, 0
	s_mov_b32 s3, -1
	s_wait_loadcnt 0x0
	v_lshlrev_b32_e32 v2, 16, v2
	s_delay_alu instid0(VALU_DEP_1)
	v_cvt_f64_f32_e32 v[44:45], v2
	s_branch .LBB11_2166
.LBB11_2161:
	s_mov_b32 s2, -1
	s_branch .LBB11_2165
.LBB11_2162:
	s_or_saveexec_b32 s3, s3
	v_mov_b64_e32 v[44:45], 0x7ff8000020000000
	s_xor_b32 exec_lo, exec_lo, s3
	s_cbranch_execz .LBB11_2143
.LBB11_2163:
	v_cmp_ne_u16_e32 vcc_lo, 0, v2
	v_mov_b64_e32 v[44:45], 0
	s_and_not1_b32 s2, s2, exec_lo
	s_and_b32 s4, vcc_lo, exec_lo
	s_delay_alu instid0(SALU_CYCLE_1)
	s_or_b32 s2, s2, s4
	s_or_b32 exec_lo, exec_lo, s3
	s_and_saveexec_b32 s3, s2
	s_cbranch_execnz .LBB11_2144
	s_branch .LBB11_2145
.LBB11_2164:
	s_mov_b32 s1, -1
.LBB11_2165:
                                        ; implicit-def: $vgpr44_vgpr45
.LBB11_2166:
	s_and_b32 vcc_lo, exec_lo, s2
	s_mov_b32 s2, 0
	s_cbranch_vccz .LBB11_2168
; %bb.2167:
	s_cmp_lg_u32 s0, 11
	s_mov_b32 s2, -1
	s_cselect_b32 s1, -1, 0
.LBB11_2168:
	s_delay_alu instid0(SALU_CYCLE_1)
	s_and_b32 vcc_lo, exec_lo, s1
	s_cbranch_vccnz .LBB11_2233
; %bb.2169:
	s_and_not1_b32 vcc_lo, exec_lo, s2
	s_cbranch_vccnz .LBB11_2171
.LBB11_2170:
	global_load_u8 v2, v[0:1], off
	s_wait_loadcnt 0x1
	v_mov_b32_e32 v44, 0
	s_mov_b32 s3, -1
	s_wait_loadcnt 0x0
	v_cmp_ne_u16_e32 vcc_lo, 0, v2
	v_cndmask_b32_e64 v45, 0, 0x3ff00000, vcc_lo
.LBB11_2171:
	s_mov_b32 s0, 0
.LBB11_2172:
	s_delay_alu instid0(SALU_CYCLE_1)
	s_and_b32 vcc_lo, exec_lo, s0
	s_cbranch_vccz .LBB11_2221
; %bb.2173:
	s_and_b32 s0, 0xffff, s51
	s_delay_alu instid0(SALU_CYCLE_1)
	s_cmp_lt_i32 s0, 5
	s_cbranch_scc1 .LBB11_2178
; %bb.2174:
	s_cmp_lt_i32 s0, 8
	s_cbranch_scc1 .LBB11_2179
; %bb.2175:
	;; [unrolled: 3-line block ×3, first 2 shown]
	s_cmp_gt_i32 s0, 9
	s_cbranch_scc0 .LBB11_2181
; %bb.2177:
	s_wait_loadcnt 0x0
	global_load_b64 v[44:45], v[0:1], off
	s_mov_b32 s1, 0
	s_branch .LBB11_2182
.LBB11_2178:
	s_mov_b32 s1, -1
                                        ; implicit-def: $vgpr44_vgpr45
	s_branch .LBB11_2200
.LBB11_2179:
	s_mov_b32 s1, -1
                                        ; implicit-def: $vgpr44_vgpr45
	s_branch .LBB11_2188
.LBB11_2180:
	s_mov_b32 s1, -1
                                        ; implicit-def: $vgpr44_vgpr45
	s_branch .LBB11_2185
.LBB11_2181:
	s_mov_b32 s1, -1
                                        ; implicit-def: $vgpr44_vgpr45
.LBB11_2182:
	s_delay_alu instid0(SALU_CYCLE_1)
	s_and_not1_b32 vcc_lo, exec_lo, s1
	s_cbranch_vccnz .LBB11_2184
; %bb.2183:
	global_load_b32 v2, v[0:1], off
	s_wait_loadcnt 0x0
	v_cvt_f64_f32_e32 v[44:45], v2
.LBB11_2184:
	s_mov_b32 s1, 0
.LBB11_2185:
	s_delay_alu instid0(SALU_CYCLE_1)
	s_and_not1_b32 vcc_lo, exec_lo, s1
	s_cbranch_vccnz .LBB11_2187
; %bb.2186:
	global_load_b32 v2, v[0:1], off
	s_wait_loadcnt 0x0
	v_cvt_f32_f16_e32 v2, v2
	s_delay_alu instid0(VALU_DEP_1)
	v_cvt_f64_f32_e32 v[44:45], v2
.LBB11_2187:
	s_mov_b32 s1, 0
.LBB11_2188:
	s_delay_alu instid0(SALU_CYCLE_1)
	s_and_not1_b32 vcc_lo, exec_lo, s1
	s_cbranch_vccnz .LBB11_2199
; %bb.2189:
	s_cmp_lt_i32 s0, 6
	s_cbranch_scc1 .LBB11_2192
; %bb.2190:
	s_cmp_gt_i32 s0, 6
	s_cbranch_scc0 .LBB11_2193
; %bb.2191:
	s_wait_loadcnt 0x0
	global_load_b64 v[44:45], v[0:1], off
	s_mov_b32 s1, 0
	s_branch .LBB11_2194
.LBB11_2192:
	s_mov_b32 s1, -1
                                        ; implicit-def: $vgpr44_vgpr45
	s_branch .LBB11_2197
.LBB11_2193:
	s_mov_b32 s1, -1
                                        ; implicit-def: $vgpr44_vgpr45
.LBB11_2194:
	s_delay_alu instid0(SALU_CYCLE_1)
	s_and_not1_b32 vcc_lo, exec_lo, s1
	s_cbranch_vccnz .LBB11_2196
; %bb.2195:
	global_load_b32 v2, v[0:1], off
	s_wait_loadcnt 0x0
	v_cvt_f64_f32_e32 v[44:45], v2
.LBB11_2196:
	s_mov_b32 s1, 0
.LBB11_2197:
	s_delay_alu instid0(SALU_CYCLE_1)
	s_and_not1_b32 vcc_lo, exec_lo, s1
	s_cbranch_vccnz .LBB11_2199
; %bb.2198:
	global_load_u16 v2, v[0:1], off
	s_wait_loadcnt 0x0
	v_cvt_f32_f16_e32 v2, v2
	s_delay_alu instid0(VALU_DEP_1)
	v_cvt_f64_f32_e32 v[44:45], v2
.LBB11_2199:
	s_mov_b32 s1, 0
.LBB11_2200:
	s_delay_alu instid0(SALU_CYCLE_1)
	s_and_not1_b32 vcc_lo, exec_lo, s1
	s_cbranch_vccnz .LBB11_2220
; %bb.2201:
	s_cmp_lt_i32 s0, 2
	s_cbranch_scc1 .LBB11_2205
; %bb.2202:
	s_cmp_lt_i32 s0, 3
	s_cbranch_scc1 .LBB11_2206
; %bb.2203:
	s_cmp_gt_i32 s0, 3
	s_cbranch_scc0 .LBB11_2207
; %bb.2204:
	global_load_b64 v[2:3], v[0:1], off
	s_mov_b32 s1, 0
	s_wait_loadcnt 0x0
	v_cvt_f64_i32_e32 v[4:5], v3
	v_cvt_f64_u32_e32 v[2:3], v2
	s_delay_alu instid0(VALU_DEP_2) | instskip(NEXT) | instid1(VALU_DEP_1)
	v_ldexp_f64 v[4:5], v[4:5], 32
	v_add_f64_e32 v[44:45], v[4:5], v[2:3]
	s_branch .LBB11_2208
.LBB11_2205:
	s_mov_b32 s1, -1
                                        ; implicit-def: $vgpr44_vgpr45
	s_branch .LBB11_2214
.LBB11_2206:
	s_mov_b32 s1, -1
                                        ; implicit-def: $vgpr44_vgpr45
	s_branch .LBB11_2211
.LBB11_2207:
	s_mov_b32 s1, -1
                                        ; implicit-def: $vgpr44_vgpr45
.LBB11_2208:
	s_delay_alu instid0(SALU_CYCLE_1)
	s_and_not1_b32 vcc_lo, exec_lo, s1
	s_cbranch_vccnz .LBB11_2210
; %bb.2209:
	global_load_b32 v2, v[0:1], off
	s_wait_loadcnt 0x0
	v_cvt_f64_i32_e32 v[44:45], v2
.LBB11_2210:
	s_mov_b32 s1, 0
.LBB11_2211:
	s_delay_alu instid0(SALU_CYCLE_1)
	s_and_not1_b32 vcc_lo, exec_lo, s1
	s_cbranch_vccnz .LBB11_2213
; %bb.2212:
	global_load_i16 v2, v[0:1], off
	s_wait_loadcnt 0x0
	v_cvt_f64_i32_e32 v[44:45], v2
.LBB11_2213:
	s_mov_b32 s1, 0
.LBB11_2214:
	s_delay_alu instid0(SALU_CYCLE_1)
	s_and_not1_b32 vcc_lo, exec_lo, s1
	s_cbranch_vccnz .LBB11_2220
; %bb.2215:
	s_cmp_gt_i32 s0, 0
	s_mov_b32 s0, 0
	s_cbranch_scc0 .LBB11_2217
; %bb.2216:
	global_load_i8 v2, v[0:1], off
	s_wait_loadcnt 0x0
	v_cvt_f64_i32_e32 v[44:45], v2
	s_branch .LBB11_2218
.LBB11_2217:
	s_mov_b32 s0, -1
                                        ; implicit-def: $vgpr44_vgpr45
.LBB11_2218:
	s_delay_alu instid0(SALU_CYCLE_1)
	s_and_not1_b32 vcc_lo, exec_lo, s0
	s_cbranch_vccnz .LBB11_2220
; %bb.2219:
	global_load_u8 v0, v[0:1], off
	s_wait_loadcnt 0x0
	v_cvt_f64_u32_e32 v[44:45], v0
.LBB11_2220:
	s_mov_b32 s3, -1
.LBB11_2221:
	s_delay_alu instid0(SALU_CYCLE_1)
	s_and_not1_b32 vcc_lo, exec_lo, s3
	s_cbranch_vccnz .LBB11_2624
; %bb.2222:
	v_add_nc_u32_e32 v58, s46, v58
	s_cmp_lt_i32 s49, 11
	s_delay_alu instid0(VALU_DEP_1) | instskip(SKIP_1) | instid1(VALU_DEP_1)
	v_ashrrev_i32_e32 v59, 31, v58
	s_wait_xcnt 0x0
	v_add_nc_u64_e32 v[0:1], s[34:35], v[58:59]
	s_cbranch_scc1 .LBB11_2229
; %bb.2223:
	s_cmp_gt_i32 s49, 25
	s_mov_b32 s1, 0
	s_cbranch_scc0 .LBB11_2230
; %bb.2224:
	s_cmp_gt_i32 s49, 28
	s_cbranch_scc0 .LBB11_2231
; %bb.2225:
	s_cmp_gt_i32 s49, 43
	;; [unrolled: 3-line block ×3, first 2 shown]
	s_cbranch_scc0 .LBB11_2234
; %bb.2227:
	s_cmp_eq_u32 s49, 46
	s_mov_b32 s3, 0
	s_cbranch_scc0 .LBB11_2237
; %bb.2228:
	global_load_b32 v2, v[0:1], off
	s_mov_b32 s0, 0
	s_mov_b32 s2, -1
	s_wait_loadcnt 0x0
	v_lshlrev_b32_e32 v2, 16, v2
	s_delay_alu instid0(VALU_DEP_1)
	v_cvt_f64_f32_e32 v[46:47], v2
	s_branch .LBB11_2239
.LBB11_2229:
	s_mov_b32 s0, -1
	s_mov_b32 s2, 0
                                        ; implicit-def: $vgpr46_vgpr47
	s_branch .LBB11_2305
.LBB11_2230:
	s_mov_b32 s3, -1
	s_mov_b32 s2, 0
	s_mov_b32 s0, 0
                                        ; implicit-def: $vgpr46_vgpr47
	s_branch .LBB11_2268
.LBB11_2231:
	s_mov_b32 s3, -1
	s_mov_b32 s2, 0
	s_mov_b32 s0, 0
                                        ; implicit-def: $vgpr46_vgpr47
	s_branch .LBB11_2249
.LBB11_2232:
	s_mov_b32 s3, -1
	s_mov_b32 s2, 0
	s_mov_b32 s0, 0
                                        ; implicit-def: $vgpr46_vgpr47
	s_branch .LBB11_2244
.LBB11_2233:
	s_or_b32 s50, s50, exec_lo
	s_trap 2
	s_cbranch_execz .LBB11_2170
	s_branch .LBB11_2171
.LBB11_2234:
	s_mov_b32 s3, -1
	s_mov_b32 s2, 0
	s_mov_b32 s0, 0
	s_branch .LBB11_2238
.LBB11_2235:
	s_and_not1_saveexec_b32 s5, s5
	s_cbranch_execz .LBB11_1101
.LBB11_2236:
	v_add_f32_e64 v3, 0x42800000, |v2|
	s_and_not1_b32 s4, s4, exec_lo
	s_delay_alu instid0(VALU_DEP_1) | instskip(NEXT) | instid1(VALU_DEP_1)
	v_and_b32_e32 v3, 0xff, v3
	v_cmp_ne_u32_e32 vcc_lo, 0, v3
	s_and_b32 s6, vcc_lo, exec_lo
	s_delay_alu instid0(SALU_CYCLE_1)
	s_or_b32 s4, s4, s6
	s_or_b32 exec_lo, exec_lo, s5
	v_mov_b32_e32 v6, 0
	s_and_saveexec_b32 s5, s4
	s_cbranch_execnz .LBB11_1102
	s_branch .LBB11_1103
.LBB11_2237:
	s_mov_b32 s0, -1
	s_mov_b32 s2, 0
.LBB11_2238:
                                        ; implicit-def: $vgpr46_vgpr47
.LBB11_2239:
	s_and_b32 vcc_lo, exec_lo, s3
	s_cbranch_vccz .LBB11_2243
; %bb.2240:
	s_cmp_eq_u32 s49, 44
	s_cbranch_scc0 .LBB11_2242
; %bb.2241:
	global_load_u8 v4, v[0:1], off
	s_mov_b32 s0, 0
	s_mov_b32 s2, -1
	s_wait_loadcnt 0x0
	v_cmp_ne_u32_e32 vcc_lo, 0xff, v4
	v_lshlrev_b32_e32 v2, 23, v4
	s_delay_alu instid0(VALU_DEP_1) | instskip(NEXT) | instid1(VALU_DEP_1)
	v_cvt_f64_f32_e32 v[2:3], v2
	v_cndmask_b32_e32 v2, 0x20000000, v2, vcc_lo
	s_delay_alu instid0(VALU_DEP_2) | instskip(SKIP_1) | instid1(VALU_DEP_2)
	v_cndmask_b32_e32 v3, 0x7ff80000, v3, vcc_lo
	v_cmp_ne_u32_e32 vcc_lo, 0, v4
	v_cndmask_b32_e32 v47, 0x38000000, v3, vcc_lo
	s_delay_alu instid0(VALU_DEP_4)
	v_cndmask_b32_e32 v46, 0, v2, vcc_lo
	s_branch .LBB11_2243
.LBB11_2242:
	s_mov_b32 s0, -1
                                        ; implicit-def: $vgpr46_vgpr47
.LBB11_2243:
	s_mov_b32 s3, 0
.LBB11_2244:
	s_delay_alu instid0(SALU_CYCLE_1)
	s_and_b32 vcc_lo, exec_lo, s3
	s_cbranch_vccz .LBB11_2248
; %bb.2245:
	s_cmp_eq_u32 s49, 29
	s_cbranch_scc0 .LBB11_2247
; %bb.2246:
	global_load_b64 v[2:3], v[0:1], off
	s_mov_b32 s0, 0
	s_mov_b32 s2, -1
	s_mov_b32 s3, 0
	s_wait_loadcnt 0x0
	v_cvt_f64_u32_e32 v[4:5], v3
	v_cvt_f64_u32_e32 v[2:3], v2
	s_delay_alu instid0(VALU_DEP_2) | instskip(NEXT) | instid1(VALU_DEP_1)
	v_ldexp_f64 v[4:5], v[4:5], 32
	v_add_f64_e32 v[46:47], v[4:5], v[2:3]
	s_branch .LBB11_2249
.LBB11_2247:
	s_mov_b32 s0, -1
                                        ; implicit-def: $vgpr46_vgpr47
.LBB11_2248:
	s_mov_b32 s3, 0
.LBB11_2249:
	s_delay_alu instid0(SALU_CYCLE_1)
	s_and_b32 vcc_lo, exec_lo, s3
	s_cbranch_vccz .LBB11_2267
; %bb.2250:
	s_cmp_lt_i32 s49, 27
	s_cbranch_scc1 .LBB11_2253
; %bb.2251:
	s_cmp_gt_i32 s49, 27
	s_cbranch_scc0 .LBB11_2254
; %bb.2252:
	global_load_b32 v2, v[0:1], off
	s_mov_b32 s2, 0
	s_wait_loadcnt 0x0
	v_cvt_f64_u32_e32 v[46:47], v2
	s_branch .LBB11_2255
.LBB11_2253:
	s_mov_b32 s2, -1
                                        ; implicit-def: $vgpr46_vgpr47
	s_branch .LBB11_2258
.LBB11_2254:
	s_mov_b32 s2, -1
                                        ; implicit-def: $vgpr46_vgpr47
.LBB11_2255:
	s_delay_alu instid0(SALU_CYCLE_1)
	s_and_not1_b32 vcc_lo, exec_lo, s2
	s_cbranch_vccnz .LBB11_2257
; %bb.2256:
	global_load_u16 v2, v[0:1], off
	s_wait_loadcnt 0x0
	v_cvt_f64_u32_e32 v[46:47], v2
.LBB11_2257:
	s_mov_b32 s2, 0
.LBB11_2258:
	s_delay_alu instid0(SALU_CYCLE_1)
	s_and_not1_b32 vcc_lo, exec_lo, s2
	s_cbranch_vccnz .LBB11_2266
; %bb.2259:
	global_load_u8 v2, v[0:1], off
	s_mov_b32 s2, 0
	s_mov_b32 s3, exec_lo
	s_wait_loadcnt 0x0
	v_cmpx_lt_i16_e32 0x7f, v2
	s_xor_b32 s3, exec_lo, s3
	s_cbranch_execz .LBB11_2280
; %bb.2260:
	s_mov_b32 s2, -1
	s_mov_b32 s4, exec_lo
	v_cmpx_eq_u16_e32 0x80, v2
; %bb.2261:
	s_xor_b32 s2, exec_lo, -1
; %bb.2262:
	s_or_b32 exec_lo, exec_lo, s4
	s_delay_alu instid0(SALU_CYCLE_1)
	s_and_b32 s2, s2, exec_lo
	s_or_saveexec_b32 s3, s3
	v_mov_b64_e32 v[46:47], 0x7ff8000020000000
	s_xor_b32 exec_lo, exec_lo, s3
	s_cbranch_execnz .LBB11_2281
.LBB11_2263:
	s_or_b32 exec_lo, exec_lo, s3
	s_and_saveexec_b32 s3, s2
	s_cbranch_execz .LBB11_2265
.LBB11_2264:
	v_and_b32_e32 v3, 0xffff, v2
	s_delay_alu instid0(VALU_DEP_1) | instskip(SKIP_1) | instid1(VALU_DEP_2)
	v_and_b32_e32 v4, 7, v3
	v_bfe_u32 v7, v3, 3, 4
	v_clz_i32_u32_e32 v5, v4
	s_delay_alu instid0(VALU_DEP_2) | instskip(NEXT) | instid1(VALU_DEP_2)
	v_cmp_eq_u32_e32 vcc_lo, 0, v7
	v_min_u32_e32 v5, 32, v5
	s_delay_alu instid0(VALU_DEP_1) | instskip(NEXT) | instid1(VALU_DEP_1)
	v_subrev_nc_u32_e32 v6, 28, v5
	v_dual_lshlrev_b32 v3, v6, v3 :: v_dual_sub_nc_u32 v5, 29, v5
	s_delay_alu instid0(VALU_DEP_1) | instskip(NEXT) | instid1(VALU_DEP_1)
	v_dual_lshlrev_b32 v2, 24, v2 :: v_dual_bitop2_b32 v3, 7, v3 bitop3:0x40
	v_dual_cndmask_b32 v5, v7, v5, vcc_lo :: v_dual_cndmask_b32 v3, v4, v3, vcc_lo
	s_delay_alu instid0(VALU_DEP_2) | instskip(NEXT) | instid1(VALU_DEP_2)
	v_and_b32_e32 v2, 0x80000000, v2
	v_lshl_add_u32 v4, v5, 23, 0x3b800000
	s_delay_alu instid0(VALU_DEP_3) | instskip(NEXT) | instid1(VALU_DEP_1)
	v_lshlrev_b32_e32 v3, 20, v3
	v_or3_b32 v2, v2, v4, v3
	s_delay_alu instid0(VALU_DEP_1)
	v_cvt_f64_f32_e32 v[46:47], v2
.LBB11_2265:
	s_or_b32 exec_lo, exec_lo, s3
.LBB11_2266:
	s_mov_b32 s2, -1
.LBB11_2267:
	s_mov_b32 s3, 0
.LBB11_2268:
	s_delay_alu instid0(SALU_CYCLE_1)
	s_and_b32 vcc_lo, exec_lo, s3
	s_cbranch_vccz .LBB11_2301
; %bb.2269:
	s_cmp_gt_i32 s49, 22
	s_cbranch_scc0 .LBB11_2279
; %bb.2270:
	s_cmp_lt_i32 s49, 24
	s_cbranch_scc1 .LBB11_2282
; %bb.2271:
	s_cmp_gt_i32 s49, 24
	s_cbranch_scc0 .LBB11_2283
; %bb.2272:
	global_load_u8 v2, v[0:1], off
	s_mov_b32 s2, exec_lo
	s_wait_loadcnt 0x0
	v_cmpx_lt_i16_e32 0x7f, v2
	s_xor_b32 s2, exec_lo, s2
	s_cbranch_execz .LBB11_2295
; %bb.2273:
	s_mov_b32 s1, -1
	s_mov_b32 s3, exec_lo
	v_cmpx_eq_u16_e32 0x80, v2
; %bb.2274:
	s_xor_b32 s1, exec_lo, -1
; %bb.2275:
	s_or_b32 exec_lo, exec_lo, s3
	s_delay_alu instid0(SALU_CYCLE_1)
	s_and_b32 s1, s1, exec_lo
	s_or_saveexec_b32 s2, s2
	v_mov_b64_e32 v[46:47], 0x7ff8000020000000
	s_xor_b32 exec_lo, exec_lo, s2
	s_cbranch_execnz .LBB11_2296
.LBB11_2276:
	s_or_b32 exec_lo, exec_lo, s2
	s_and_saveexec_b32 s2, s1
	s_cbranch_execz .LBB11_2278
.LBB11_2277:
	v_and_b32_e32 v3, 0xffff, v2
	s_delay_alu instid0(VALU_DEP_1) | instskip(SKIP_1) | instid1(VALU_DEP_2)
	v_and_b32_e32 v4, 3, v3
	v_bfe_u32 v7, v3, 2, 5
	v_clz_i32_u32_e32 v5, v4
	s_delay_alu instid0(VALU_DEP_2) | instskip(NEXT) | instid1(VALU_DEP_2)
	v_cmp_eq_u32_e32 vcc_lo, 0, v7
	v_min_u32_e32 v5, 32, v5
	s_delay_alu instid0(VALU_DEP_1) | instskip(NEXT) | instid1(VALU_DEP_1)
	v_subrev_nc_u32_e32 v6, 29, v5
	v_dual_lshlrev_b32 v3, v6, v3 :: v_dual_sub_nc_u32 v5, 30, v5
	s_delay_alu instid0(VALU_DEP_1) | instskip(NEXT) | instid1(VALU_DEP_1)
	v_dual_lshlrev_b32 v2, 24, v2 :: v_dual_bitop2_b32 v3, 3, v3 bitop3:0x40
	v_dual_cndmask_b32 v5, v7, v5, vcc_lo :: v_dual_cndmask_b32 v3, v4, v3, vcc_lo
	s_delay_alu instid0(VALU_DEP_2) | instskip(NEXT) | instid1(VALU_DEP_2)
	v_and_b32_e32 v2, 0x80000000, v2
	v_lshl_add_u32 v4, v5, 23, 0x37800000
	s_delay_alu instid0(VALU_DEP_3) | instskip(NEXT) | instid1(VALU_DEP_1)
	v_lshlrev_b32_e32 v3, 21, v3
	v_or3_b32 v2, v2, v4, v3
	s_delay_alu instid0(VALU_DEP_1)
	v_cvt_f64_f32_e32 v[46:47], v2
.LBB11_2278:
	s_or_b32 exec_lo, exec_lo, s2
	s_mov_b32 s1, 0
	s_branch .LBB11_2284
.LBB11_2279:
	s_mov_b32 s1, -1
                                        ; implicit-def: $vgpr46_vgpr47
	s_branch .LBB11_2290
.LBB11_2280:
	s_or_saveexec_b32 s3, s3
	v_mov_b64_e32 v[46:47], 0x7ff8000020000000
	s_xor_b32 exec_lo, exec_lo, s3
	s_cbranch_execz .LBB11_2263
.LBB11_2281:
	v_cmp_ne_u16_e32 vcc_lo, 0, v2
	v_mov_b64_e32 v[46:47], 0
	s_and_not1_b32 s2, s2, exec_lo
	s_and_b32 s4, vcc_lo, exec_lo
	s_delay_alu instid0(SALU_CYCLE_1)
	s_or_b32 s2, s2, s4
	s_or_b32 exec_lo, exec_lo, s3
	s_and_saveexec_b32 s3, s2
	s_cbranch_execnz .LBB11_2264
	s_branch .LBB11_2265
.LBB11_2282:
	s_mov_b32 s1, -1
                                        ; implicit-def: $vgpr46_vgpr47
	s_branch .LBB11_2287
.LBB11_2283:
	s_mov_b32 s1, -1
                                        ; implicit-def: $vgpr46_vgpr47
.LBB11_2284:
	s_delay_alu instid0(SALU_CYCLE_1)
	s_and_b32 vcc_lo, exec_lo, s1
	s_cbranch_vccz .LBB11_2286
; %bb.2285:
	global_load_u8 v2, v[0:1], off
	s_wait_loadcnt 0x0
	v_lshlrev_b32_e32 v2, 24, v2
	s_delay_alu instid0(VALU_DEP_1) | instskip(NEXT) | instid1(VALU_DEP_1)
	v_and_b32_e32 v3, 0x7f000000, v2
	v_clz_i32_u32_e32 v4, v3
	v_cmp_ne_u32_e32 vcc_lo, 0, v3
	v_add_nc_u32_e32 v6, 0x1000000, v3
	s_delay_alu instid0(VALU_DEP_3) | instskip(NEXT) | instid1(VALU_DEP_1)
	v_min_u32_e32 v4, 32, v4
	v_sub_nc_u32_e64 v4, v4, 4 clamp
	s_delay_alu instid0(VALU_DEP_1) | instskip(NEXT) | instid1(VALU_DEP_1)
	v_dual_lshlrev_b32 v5, v4, v3 :: v_dual_lshlrev_b32 v4, 23, v4
	v_lshrrev_b32_e32 v5, 4, v5
	s_delay_alu instid0(VALU_DEP_1) | instskip(NEXT) | instid1(VALU_DEP_1)
	v_dual_sub_nc_u32 v4, v5, v4 :: v_dual_ashrrev_i32 v5, 8, v6
	v_add_nc_u32_e32 v4, 0x3c000000, v4
	s_delay_alu instid0(VALU_DEP_1) | instskip(NEXT) | instid1(VALU_DEP_1)
	v_and_or_b32 v4, 0x7f800000, v5, v4
	v_cndmask_b32_e32 v3, 0, v4, vcc_lo
	s_delay_alu instid0(VALU_DEP_1) | instskip(NEXT) | instid1(VALU_DEP_1)
	v_and_or_b32 v2, 0x80000000, v2, v3
	v_cvt_f64_f32_e32 v[46:47], v2
.LBB11_2286:
	s_mov_b32 s1, 0
.LBB11_2287:
	s_delay_alu instid0(SALU_CYCLE_1)
	s_and_not1_b32 vcc_lo, exec_lo, s1
	s_cbranch_vccnz .LBB11_2289
; %bb.2288:
	global_load_u8 v2, v[0:1], off
	s_wait_loadcnt 0x0
	v_lshlrev_b32_e32 v3, 25, v2
	v_lshlrev_b16 v2, 8, v2
	s_delay_alu instid0(VALU_DEP_1) | instskip(SKIP_1) | instid1(VALU_DEP_2)
	v_and_or_b32 v5, 0x7f00, v2, 0.5
	v_bfe_i32 v2, v2, 0, 16
	v_dual_add_f32 v5, -0.5, v5 :: v_dual_lshrrev_b32 v4, 4, v3
	v_cmp_gt_u32_e32 vcc_lo, 0x8000000, v3
	s_delay_alu instid0(VALU_DEP_2) | instskip(NEXT) | instid1(VALU_DEP_1)
	v_or_b32_e32 v4, 0x70000000, v4
	v_mul_f32_e32 v4, 0x7800000, v4
	s_delay_alu instid0(VALU_DEP_1) | instskip(NEXT) | instid1(VALU_DEP_1)
	v_cndmask_b32_e32 v3, v4, v5, vcc_lo
	v_and_or_b32 v2, 0x80000000, v2, v3
	s_delay_alu instid0(VALU_DEP_1)
	v_cvt_f64_f32_e32 v[46:47], v2
.LBB11_2289:
	s_mov_b32 s1, 0
	s_mov_b32 s2, -1
.LBB11_2290:
	s_and_not1_b32 vcc_lo, exec_lo, s1
	s_mov_b32 s1, 0
	s_cbranch_vccnz .LBB11_2301
; %bb.2291:
	s_cmp_gt_i32 s49, 14
	s_cbranch_scc0 .LBB11_2294
; %bb.2292:
	s_cmp_eq_u32 s49, 15
	s_cbranch_scc0 .LBB11_2297
; %bb.2293:
	global_load_u16 v2, v[0:1], off
	s_mov_b32 s0, 0
	s_mov_b32 s2, -1
	s_wait_loadcnt 0x0
	v_lshlrev_b32_e32 v2, 16, v2
	s_delay_alu instid0(VALU_DEP_1)
	v_cvt_f64_f32_e32 v[46:47], v2
	s_branch .LBB11_2299
.LBB11_2294:
	s_mov_b32 s1, -1
	s_branch .LBB11_2298
.LBB11_2295:
	s_or_saveexec_b32 s2, s2
	v_mov_b64_e32 v[46:47], 0x7ff8000020000000
	s_xor_b32 exec_lo, exec_lo, s2
	s_cbranch_execz .LBB11_2276
.LBB11_2296:
	v_cmp_ne_u16_e32 vcc_lo, 0, v2
	v_mov_b64_e32 v[46:47], 0
	s_and_not1_b32 s1, s1, exec_lo
	s_and_b32 s3, vcc_lo, exec_lo
	s_delay_alu instid0(SALU_CYCLE_1)
	s_or_b32 s1, s1, s3
	s_or_b32 exec_lo, exec_lo, s2
	s_and_saveexec_b32 s2, s1
	s_cbranch_execnz .LBB11_2277
	s_branch .LBB11_2278
.LBB11_2297:
	s_mov_b32 s0, -1
.LBB11_2298:
                                        ; implicit-def: $vgpr46_vgpr47
.LBB11_2299:
	s_and_b32 vcc_lo, exec_lo, s1
	s_mov_b32 s1, 0
	s_cbranch_vccz .LBB11_2301
; %bb.2300:
	s_cmp_lg_u32 s49, 11
	s_mov_b32 s1, -1
	s_cselect_b32 s0, -1, 0
.LBB11_2301:
	s_delay_alu instid0(SALU_CYCLE_1)
	s_and_b32 vcc_lo, exec_lo, s0
	s_cbranch_vccnz .LBB11_2371
; %bb.2302:
	s_and_not1_b32 vcc_lo, exec_lo, s1
	s_cbranch_vccnz .LBB11_2304
.LBB11_2303:
	global_load_u8 v2, v[0:1], off
	s_wait_loadcnt 0x1
	v_mov_b32_e32 v46, 0
	s_mov_b32 s2, -1
	s_wait_loadcnt 0x0
	v_cmp_ne_u16_e32 vcc_lo, 0, v2
	v_cndmask_b32_e64 v47, 0, 0x3ff00000, vcc_lo
.LBB11_2304:
	s_mov_b32 s0, 0
.LBB11_2305:
	s_delay_alu instid0(SALU_CYCLE_1)
	s_and_b32 vcc_lo, exec_lo, s0
	s_cbranch_vccz .LBB11_2354
; %bb.2306:
	s_cmp_lt_i32 s49, 5
	s_cbranch_scc1 .LBB11_2311
; %bb.2307:
	s_cmp_lt_i32 s49, 8
	s_cbranch_scc1 .LBB11_2312
	;; [unrolled: 3-line block ×3, first 2 shown]
; %bb.2309:
	s_cmp_gt_i32 s49, 9
	s_cbranch_scc0 .LBB11_2314
; %bb.2310:
	s_wait_loadcnt 0x0
	global_load_b64 v[46:47], v[0:1], off
	s_mov_b32 s0, 0
	s_branch .LBB11_2315
.LBB11_2311:
	s_mov_b32 s0, -1
                                        ; implicit-def: $vgpr46_vgpr47
	s_branch .LBB11_2333
.LBB11_2312:
	s_mov_b32 s0, -1
                                        ; implicit-def: $vgpr46_vgpr47
	s_branch .LBB11_2321
.LBB11_2313:
	s_mov_b32 s0, -1
                                        ; implicit-def: $vgpr46_vgpr47
	s_branch .LBB11_2318
.LBB11_2314:
	s_mov_b32 s0, -1
                                        ; implicit-def: $vgpr46_vgpr47
.LBB11_2315:
	s_delay_alu instid0(SALU_CYCLE_1)
	s_and_not1_b32 vcc_lo, exec_lo, s0
	s_cbranch_vccnz .LBB11_2317
; %bb.2316:
	global_load_b32 v2, v[0:1], off
	s_wait_loadcnt 0x0
	v_cvt_f64_f32_e32 v[46:47], v2
.LBB11_2317:
	s_mov_b32 s0, 0
.LBB11_2318:
	s_delay_alu instid0(SALU_CYCLE_1)
	s_and_not1_b32 vcc_lo, exec_lo, s0
	s_cbranch_vccnz .LBB11_2320
; %bb.2319:
	global_load_b32 v2, v[0:1], off
	s_wait_loadcnt 0x0
	v_cvt_f32_f16_e32 v2, v2
	s_delay_alu instid0(VALU_DEP_1)
	v_cvt_f64_f32_e32 v[46:47], v2
.LBB11_2320:
	s_mov_b32 s0, 0
.LBB11_2321:
	s_delay_alu instid0(SALU_CYCLE_1)
	s_and_not1_b32 vcc_lo, exec_lo, s0
	s_cbranch_vccnz .LBB11_2332
; %bb.2322:
	s_cmp_lt_i32 s49, 6
	s_cbranch_scc1 .LBB11_2325
; %bb.2323:
	s_cmp_gt_i32 s49, 6
	s_cbranch_scc0 .LBB11_2326
; %bb.2324:
	s_wait_loadcnt 0x0
	global_load_b64 v[46:47], v[0:1], off
	s_mov_b32 s0, 0
	s_branch .LBB11_2327
.LBB11_2325:
	s_mov_b32 s0, -1
                                        ; implicit-def: $vgpr46_vgpr47
	s_branch .LBB11_2330
.LBB11_2326:
	s_mov_b32 s0, -1
                                        ; implicit-def: $vgpr46_vgpr47
.LBB11_2327:
	s_delay_alu instid0(SALU_CYCLE_1)
	s_and_not1_b32 vcc_lo, exec_lo, s0
	s_cbranch_vccnz .LBB11_2329
; %bb.2328:
	global_load_b32 v2, v[0:1], off
	s_wait_loadcnt 0x0
	v_cvt_f64_f32_e32 v[46:47], v2
.LBB11_2329:
	s_mov_b32 s0, 0
.LBB11_2330:
	s_delay_alu instid0(SALU_CYCLE_1)
	s_and_not1_b32 vcc_lo, exec_lo, s0
	s_cbranch_vccnz .LBB11_2332
; %bb.2331:
	global_load_u16 v2, v[0:1], off
	s_wait_loadcnt 0x0
	v_cvt_f32_f16_e32 v2, v2
	s_delay_alu instid0(VALU_DEP_1)
	v_cvt_f64_f32_e32 v[46:47], v2
.LBB11_2332:
	s_mov_b32 s0, 0
.LBB11_2333:
	s_delay_alu instid0(SALU_CYCLE_1)
	s_and_not1_b32 vcc_lo, exec_lo, s0
	s_cbranch_vccnz .LBB11_2353
; %bb.2334:
	s_cmp_lt_i32 s49, 2
	s_cbranch_scc1 .LBB11_2338
; %bb.2335:
	s_cmp_lt_i32 s49, 3
	s_cbranch_scc1 .LBB11_2339
; %bb.2336:
	s_cmp_gt_i32 s49, 3
	s_cbranch_scc0 .LBB11_2340
; %bb.2337:
	global_load_b64 v[2:3], v[0:1], off
	s_mov_b32 s0, 0
	s_wait_loadcnt 0x0
	v_cvt_f64_i32_e32 v[4:5], v3
	v_cvt_f64_u32_e32 v[2:3], v2
	s_delay_alu instid0(VALU_DEP_2) | instskip(NEXT) | instid1(VALU_DEP_1)
	v_ldexp_f64 v[4:5], v[4:5], 32
	v_add_f64_e32 v[46:47], v[4:5], v[2:3]
	s_branch .LBB11_2341
.LBB11_2338:
	s_mov_b32 s0, -1
                                        ; implicit-def: $vgpr46_vgpr47
	s_branch .LBB11_2347
.LBB11_2339:
	s_mov_b32 s0, -1
                                        ; implicit-def: $vgpr46_vgpr47
	s_branch .LBB11_2344
.LBB11_2340:
	s_mov_b32 s0, -1
                                        ; implicit-def: $vgpr46_vgpr47
.LBB11_2341:
	s_delay_alu instid0(SALU_CYCLE_1)
	s_and_not1_b32 vcc_lo, exec_lo, s0
	s_cbranch_vccnz .LBB11_2343
; %bb.2342:
	global_load_b32 v2, v[0:1], off
	s_wait_loadcnt 0x0
	v_cvt_f64_i32_e32 v[46:47], v2
.LBB11_2343:
	s_mov_b32 s0, 0
.LBB11_2344:
	s_delay_alu instid0(SALU_CYCLE_1)
	s_and_not1_b32 vcc_lo, exec_lo, s0
	s_cbranch_vccnz .LBB11_2346
; %bb.2345:
	global_load_i16 v2, v[0:1], off
	s_wait_loadcnt 0x0
	v_cvt_f64_i32_e32 v[46:47], v2
.LBB11_2346:
	s_mov_b32 s0, 0
.LBB11_2347:
	s_delay_alu instid0(SALU_CYCLE_1)
	s_and_not1_b32 vcc_lo, exec_lo, s0
	s_cbranch_vccnz .LBB11_2353
; %bb.2348:
	s_cmp_gt_i32 s49, 0
	s_mov_b32 s0, 0
	s_cbranch_scc0 .LBB11_2350
; %bb.2349:
	global_load_i8 v2, v[0:1], off
	s_wait_loadcnt 0x0
	v_cvt_f64_i32_e32 v[46:47], v2
	s_branch .LBB11_2351
.LBB11_2350:
	s_mov_b32 s0, -1
                                        ; implicit-def: $vgpr46_vgpr47
.LBB11_2351:
	s_delay_alu instid0(SALU_CYCLE_1)
	s_and_not1_b32 vcc_lo, exec_lo, s0
	s_cbranch_vccnz .LBB11_2353
; %bb.2352:
	global_load_u8 v0, v[0:1], off
	s_wait_loadcnt 0x0
	v_cvt_f64_u32_e32 v[46:47], v0
.LBB11_2353:
	s_mov_b32 s2, -1
.LBB11_2354:
	s_delay_alu instid0(SALU_CYCLE_1)
	s_and_not1_b32 vcc_lo, exec_lo, s2
	s_cbranch_vccnz .LBB11_2624
; %bb.2355:
	s_and_b32 vcc_lo, exec_lo, s47
	s_cbranch_vccz .LBB11_2357
; %bb.2356:
	s_wait_loadcnt 0x0
	s_delay_alu instid0(VALU_DEP_4) | instskip(NEXT) | instid1(VALU_DEP_2)
	v_dual_mov_b32 v0, v44 :: v_dual_mov_b32 v1, v45
	v_dual_mov_b32 v2, v46 :: v_dual_mov_b32 v3, v47
	s_get_pc_i64 s[0:1]
	s_add_nc_u64 s[0:1], s[0:1], _ZN12_GLOBAL__N_111calc_igammaIdEET_S1_S1_@rel64+4
	s_delay_alu instid0(SALU_CYCLE_1)
	s_swap_pc_i64 s[30:31], s[0:1]
	v_dual_mov_b32 v60, v0 :: v_dual_mov_b32 v61, v1
	s_mov_b32 s0, 0
	s_branch .LBB11_2358
.LBB11_2357:
	s_mov_b32 s0, -1
                                        ; implicit-def: $vgpr60_vgpr61
.LBB11_2358:
	s_delay_alu instid0(SALU_CYCLE_1)
	s_and_not1_b32 vcc_lo, exec_lo, s0
	s_cbranch_vccnz .LBB11_2360
; %bb.2359:
	s_wait_loadcnt 0x0
	s_delay_alu instid0(VALU_DEP_4) | instskip(NEXT) | instid1(VALU_DEP_2)
	v_dual_mov_b32 v0, v44 :: v_dual_mov_b32 v1, v45
	v_dual_mov_b32 v2, v46 :: v_dual_mov_b32 v3, v47
	s_get_pc_i64 s[0:1]
	s_add_nc_u64 s[0:1], s[0:1], _ZN12_GLOBAL__N_112calc_igammacIdEET_S1_S1_@rel64+4
	s_delay_alu instid0(SALU_CYCLE_1)
	s_swap_pc_i64 s[30:31], s[0:1]
	v_dual_mov_b32 v60, v0 :: v_dual_mov_b32 v61, v1
.LBB11_2360:
	s_wait_xcnt 0x0
	v_add_nc_u32_e32 v0, s45, v62
	s_cmp_lt_i32 s51, 11
	s_delay_alu instid0(VALU_DEP_1) | instskip(NEXT) | instid1(VALU_DEP_1)
	v_ashrrev_i32_e32 v1, 31, v0
	v_add_nc_u64_e32 v[0:1], s[38:39], v[0:1]
	s_cbranch_scc1 .LBB11_2367
; %bb.2361:
	s_and_b32 s0, 0xffff, s51
	s_mov_b32 s2, 0
	s_cmp_gt_i32 s0, 25
	s_cbranch_scc0 .LBB11_2368
; %bb.2362:
	s_cmp_gt_i32 s0, 28
	s_cbranch_scc0 .LBB11_2369
; %bb.2363:
	;; [unrolled: 3-line block ×4, first 2 shown]
	s_cmp_eq_u32 s0, 46
	s_mov_b32 s4, 0
	s_cbranch_scc0 .LBB11_2373
; %bb.2366:
	global_load_b32 v2, v[0:1], off
	s_mov_b32 s1, 0
	s_mov_b32 s3, -1
	s_wait_loadcnt 0x0
	v_lshlrev_b32_e32 v2, 16, v2
	s_delay_alu instid0(VALU_DEP_1)
	v_cvt_f64_f32_e32 v[44:45], v2
	s_branch .LBB11_2375
.LBB11_2367:
	s_mov_b32 s0, -1
	s_mov_b32 s3, 0
                                        ; implicit-def: $vgpr44_vgpr45
	s_branch .LBB11_2441
.LBB11_2368:
	s_mov_b32 s4, -1
	s_mov_b32 s3, 0
	s_mov_b32 s1, 0
                                        ; implicit-def: $vgpr44_vgpr45
	s_branch .LBB11_2404
.LBB11_2369:
	s_mov_b32 s4, -1
	s_mov_b32 s3, 0
	s_mov_b32 s1, 0
                                        ; implicit-def: $vgpr44_vgpr45
	s_branch .LBB11_2385
.LBB11_2370:
	s_mov_b32 s4, -1
	s_mov_b32 s3, 0
	s_mov_b32 s1, 0
                                        ; implicit-def: $vgpr44_vgpr45
	s_branch .LBB11_2380
.LBB11_2371:
	s_or_b32 s50, s50, exec_lo
	s_trap 2
	s_cbranch_execz .LBB11_2303
	s_branch .LBB11_2304
.LBB11_2372:
	s_mov_b32 s4, -1
	s_mov_b32 s3, 0
	s_mov_b32 s1, 0
	s_branch .LBB11_2374
.LBB11_2373:
	s_mov_b32 s1, -1
	s_mov_b32 s3, 0
.LBB11_2374:
                                        ; implicit-def: $vgpr44_vgpr45
.LBB11_2375:
	s_and_b32 vcc_lo, exec_lo, s4
	s_cbranch_vccz .LBB11_2379
; %bb.2376:
	s_cmp_eq_u32 s0, 44
	s_cbranch_scc0 .LBB11_2378
; %bb.2377:
	global_load_u8 v4, v[0:1], off
	s_mov_b32 s1, 0
	s_mov_b32 s3, -1
	s_wait_loadcnt 0x0
	v_cmp_ne_u32_e32 vcc_lo, 0xff, v4
	v_lshlrev_b32_e32 v2, 23, v4
	s_delay_alu instid0(VALU_DEP_1) | instskip(NEXT) | instid1(VALU_DEP_1)
	v_cvt_f64_f32_e32 v[2:3], v2
	v_cndmask_b32_e32 v2, 0x20000000, v2, vcc_lo
	s_delay_alu instid0(VALU_DEP_2) | instskip(SKIP_1) | instid1(VALU_DEP_2)
	v_cndmask_b32_e32 v3, 0x7ff80000, v3, vcc_lo
	v_cmp_ne_u32_e32 vcc_lo, 0, v4
	v_cndmask_b32_e32 v45, 0x38000000, v3, vcc_lo
	s_delay_alu instid0(VALU_DEP_4)
	v_cndmask_b32_e32 v44, 0, v2, vcc_lo
	s_branch .LBB11_2379
.LBB11_2378:
	s_mov_b32 s1, -1
                                        ; implicit-def: $vgpr44_vgpr45
.LBB11_2379:
	s_mov_b32 s4, 0
.LBB11_2380:
	s_delay_alu instid0(SALU_CYCLE_1)
	s_and_b32 vcc_lo, exec_lo, s4
	s_cbranch_vccz .LBB11_2384
; %bb.2381:
	s_cmp_eq_u32 s0, 29
	s_cbranch_scc0 .LBB11_2383
; %bb.2382:
	global_load_b64 v[2:3], v[0:1], off
	s_mov_b32 s1, 0
	s_mov_b32 s3, -1
	s_mov_b32 s4, 0
	s_wait_loadcnt 0x0
	v_cvt_f64_u32_e32 v[4:5], v3
	v_cvt_f64_u32_e32 v[2:3], v2
	s_delay_alu instid0(VALU_DEP_2) | instskip(NEXT) | instid1(VALU_DEP_1)
	v_ldexp_f64 v[4:5], v[4:5], 32
	v_add_f64_e32 v[44:45], v[4:5], v[2:3]
	s_branch .LBB11_2385
.LBB11_2383:
	s_mov_b32 s1, -1
                                        ; implicit-def: $vgpr44_vgpr45
.LBB11_2384:
	s_mov_b32 s4, 0
.LBB11_2385:
	s_delay_alu instid0(SALU_CYCLE_1)
	s_and_b32 vcc_lo, exec_lo, s4
	s_cbranch_vccz .LBB11_2403
; %bb.2386:
	s_cmp_lt_i32 s0, 27
	s_cbranch_scc1 .LBB11_2389
; %bb.2387:
	s_cmp_gt_i32 s0, 27
	s_cbranch_scc0 .LBB11_2390
; %bb.2388:
	global_load_b32 v2, v[0:1], off
	s_mov_b32 s3, 0
	s_wait_loadcnt 0x0
	v_cvt_f64_u32_e32 v[44:45], v2
	s_branch .LBB11_2391
.LBB11_2389:
	s_mov_b32 s3, -1
                                        ; implicit-def: $vgpr44_vgpr45
	s_branch .LBB11_2394
.LBB11_2390:
	s_mov_b32 s3, -1
                                        ; implicit-def: $vgpr44_vgpr45
.LBB11_2391:
	s_delay_alu instid0(SALU_CYCLE_1)
	s_and_not1_b32 vcc_lo, exec_lo, s3
	s_cbranch_vccnz .LBB11_2393
; %bb.2392:
	global_load_u16 v2, v[0:1], off
	s_wait_loadcnt 0x0
	v_cvt_f64_u32_e32 v[44:45], v2
.LBB11_2393:
	s_mov_b32 s3, 0
.LBB11_2394:
	s_delay_alu instid0(SALU_CYCLE_1)
	s_and_not1_b32 vcc_lo, exec_lo, s3
	s_cbranch_vccnz .LBB11_2402
; %bb.2395:
	global_load_u8 v2, v[0:1], off
	s_mov_b32 s3, 0
	s_mov_b32 s4, exec_lo
	s_wait_loadcnt 0x0
	v_cmpx_lt_i16_e32 0x7f, v2
	s_xor_b32 s4, exec_lo, s4
	s_cbranch_execz .LBB11_2416
; %bb.2396:
	s_mov_b32 s3, -1
	s_mov_b32 s5, exec_lo
	v_cmpx_eq_u16_e32 0x80, v2
; %bb.2397:
	s_xor_b32 s3, exec_lo, -1
; %bb.2398:
	s_or_b32 exec_lo, exec_lo, s5
	s_delay_alu instid0(SALU_CYCLE_1)
	s_and_b32 s3, s3, exec_lo
	s_or_saveexec_b32 s4, s4
	v_mov_b64_e32 v[44:45], 0x7ff8000020000000
	s_xor_b32 exec_lo, exec_lo, s4
	s_cbranch_execnz .LBB11_2417
.LBB11_2399:
	s_or_b32 exec_lo, exec_lo, s4
	s_and_saveexec_b32 s4, s3
	s_cbranch_execz .LBB11_2401
.LBB11_2400:
	v_and_b32_e32 v3, 0xffff, v2
	s_delay_alu instid0(VALU_DEP_1) | instskip(SKIP_1) | instid1(VALU_DEP_2)
	v_and_b32_e32 v4, 7, v3
	v_bfe_u32 v7, v3, 3, 4
	v_clz_i32_u32_e32 v5, v4
	s_delay_alu instid0(VALU_DEP_2) | instskip(NEXT) | instid1(VALU_DEP_2)
	v_cmp_eq_u32_e32 vcc_lo, 0, v7
	v_min_u32_e32 v5, 32, v5
	s_delay_alu instid0(VALU_DEP_1) | instskip(NEXT) | instid1(VALU_DEP_1)
	v_subrev_nc_u32_e32 v6, 28, v5
	v_dual_lshlrev_b32 v3, v6, v3 :: v_dual_sub_nc_u32 v5, 29, v5
	s_delay_alu instid0(VALU_DEP_1) | instskip(NEXT) | instid1(VALU_DEP_1)
	v_dual_lshlrev_b32 v2, 24, v2 :: v_dual_bitop2_b32 v3, 7, v3 bitop3:0x40
	v_dual_cndmask_b32 v5, v7, v5, vcc_lo :: v_dual_cndmask_b32 v3, v4, v3, vcc_lo
	s_delay_alu instid0(VALU_DEP_2) | instskip(NEXT) | instid1(VALU_DEP_2)
	v_and_b32_e32 v2, 0x80000000, v2
	v_lshl_add_u32 v4, v5, 23, 0x3b800000
	s_delay_alu instid0(VALU_DEP_3) | instskip(NEXT) | instid1(VALU_DEP_1)
	v_lshlrev_b32_e32 v3, 20, v3
	v_or3_b32 v2, v2, v4, v3
	s_delay_alu instid0(VALU_DEP_1)
	v_cvt_f64_f32_e32 v[44:45], v2
.LBB11_2401:
	s_or_b32 exec_lo, exec_lo, s4
.LBB11_2402:
	s_mov_b32 s3, -1
.LBB11_2403:
	s_mov_b32 s4, 0
.LBB11_2404:
	s_delay_alu instid0(SALU_CYCLE_1)
	s_and_b32 vcc_lo, exec_lo, s4
	s_cbranch_vccz .LBB11_2437
; %bb.2405:
	s_cmp_gt_i32 s0, 22
	s_cbranch_scc0 .LBB11_2415
; %bb.2406:
	s_cmp_lt_i32 s0, 24
	s_cbranch_scc1 .LBB11_2418
; %bb.2407:
	s_cmp_gt_i32 s0, 24
	s_cbranch_scc0 .LBB11_2419
; %bb.2408:
	global_load_u8 v2, v[0:1], off
	s_mov_b32 s3, exec_lo
	s_wait_loadcnt 0x0
	v_cmpx_lt_i16_e32 0x7f, v2
	s_xor_b32 s3, exec_lo, s3
	s_cbranch_execz .LBB11_2431
; %bb.2409:
	s_mov_b32 s2, -1
	s_mov_b32 s4, exec_lo
	v_cmpx_eq_u16_e32 0x80, v2
; %bb.2410:
	s_xor_b32 s2, exec_lo, -1
; %bb.2411:
	s_or_b32 exec_lo, exec_lo, s4
	s_delay_alu instid0(SALU_CYCLE_1)
	s_and_b32 s2, s2, exec_lo
	s_or_saveexec_b32 s3, s3
	v_mov_b64_e32 v[44:45], 0x7ff8000020000000
	s_xor_b32 exec_lo, exec_lo, s3
	s_cbranch_execnz .LBB11_2432
.LBB11_2412:
	s_or_b32 exec_lo, exec_lo, s3
	s_and_saveexec_b32 s3, s2
	s_cbranch_execz .LBB11_2414
.LBB11_2413:
	v_and_b32_e32 v3, 0xffff, v2
	s_delay_alu instid0(VALU_DEP_1) | instskip(SKIP_1) | instid1(VALU_DEP_2)
	v_and_b32_e32 v4, 3, v3
	v_bfe_u32 v7, v3, 2, 5
	v_clz_i32_u32_e32 v5, v4
	s_delay_alu instid0(VALU_DEP_2) | instskip(NEXT) | instid1(VALU_DEP_2)
	v_cmp_eq_u32_e32 vcc_lo, 0, v7
	v_min_u32_e32 v5, 32, v5
	s_delay_alu instid0(VALU_DEP_1) | instskip(NEXT) | instid1(VALU_DEP_1)
	v_subrev_nc_u32_e32 v6, 29, v5
	v_dual_lshlrev_b32 v3, v6, v3 :: v_dual_sub_nc_u32 v5, 30, v5
	s_delay_alu instid0(VALU_DEP_1) | instskip(NEXT) | instid1(VALU_DEP_1)
	v_dual_lshlrev_b32 v2, 24, v2 :: v_dual_bitop2_b32 v3, 3, v3 bitop3:0x40
	v_dual_cndmask_b32 v5, v7, v5, vcc_lo :: v_dual_cndmask_b32 v3, v4, v3, vcc_lo
	s_delay_alu instid0(VALU_DEP_2) | instskip(NEXT) | instid1(VALU_DEP_2)
	v_and_b32_e32 v2, 0x80000000, v2
	v_lshl_add_u32 v4, v5, 23, 0x37800000
	s_delay_alu instid0(VALU_DEP_3) | instskip(NEXT) | instid1(VALU_DEP_1)
	v_lshlrev_b32_e32 v3, 21, v3
	v_or3_b32 v2, v2, v4, v3
	s_delay_alu instid0(VALU_DEP_1)
	v_cvt_f64_f32_e32 v[44:45], v2
.LBB11_2414:
	s_or_b32 exec_lo, exec_lo, s3
	s_mov_b32 s2, 0
	s_branch .LBB11_2420
.LBB11_2415:
	s_mov_b32 s2, -1
                                        ; implicit-def: $vgpr44_vgpr45
	s_branch .LBB11_2426
.LBB11_2416:
	s_or_saveexec_b32 s4, s4
	v_mov_b64_e32 v[44:45], 0x7ff8000020000000
	s_xor_b32 exec_lo, exec_lo, s4
	s_cbranch_execz .LBB11_2399
.LBB11_2417:
	v_cmp_ne_u16_e32 vcc_lo, 0, v2
	v_mov_b64_e32 v[44:45], 0
	s_and_not1_b32 s3, s3, exec_lo
	s_and_b32 s5, vcc_lo, exec_lo
	s_delay_alu instid0(SALU_CYCLE_1)
	s_or_b32 s3, s3, s5
	s_or_b32 exec_lo, exec_lo, s4
	s_and_saveexec_b32 s4, s3
	s_cbranch_execnz .LBB11_2400
	s_branch .LBB11_2401
.LBB11_2418:
	s_mov_b32 s2, -1
                                        ; implicit-def: $vgpr44_vgpr45
	s_branch .LBB11_2423
.LBB11_2419:
	s_mov_b32 s2, -1
                                        ; implicit-def: $vgpr44_vgpr45
.LBB11_2420:
	s_delay_alu instid0(SALU_CYCLE_1)
	s_and_b32 vcc_lo, exec_lo, s2
	s_cbranch_vccz .LBB11_2422
; %bb.2421:
	global_load_u8 v2, v[0:1], off
	s_wait_loadcnt 0x0
	v_lshlrev_b32_e32 v2, 24, v2
	s_delay_alu instid0(VALU_DEP_1) | instskip(NEXT) | instid1(VALU_DEP_1)
	v_and_b32_e32 v3, 0x7f000000, v2
	v_clz_i32_u32_e32 v4, v3
	v_cmp_ne_u32_e32 vcc_lo, 0, v3
	v_add_nc_u32_e32 v6, 0x1000000, v3
	s_delay_alu instid0(VALU_DEP_3) | instskip(NEXT) | instid1(VALU_DEP_1)
	v_min_u32_e32 v4, 32, v4
	v_sub_nc_u32_e64 v4, v4, 4 clamp
	s_delay_alu instid0(VALU_DEP_1) | instskip(NEXT) | instid1(VALU_DEP_1)
	v_dual_lshlrev_b32 v5, v4, v3 :: v_dual_lshlrev_b32 v4, 23, v4
	v_lshrrev_b32_e32 v5, 4, v5
	s_delay_alu instid0(VALU_DEP_1) | instskip(NEXT) | instid1(VALU_DEP_1)
	v_dual_sub_nc_u32 v4, v5, v4 :: v_dual_ashrrev_i32 v5, 8, v6
	v_add_nc_u32_e32 v4, 0x3c000000, v4
	s_delay_alu instid0(VALU_DEP_1) | instskip(NEXT) | instid1(VALU_DEP_1)
	v_and_or_b32 v4, 0x7f800000, v5, v4
	v_cndmask_b32_e32 v3, 0, v4, vcc_lo
	s_delay_alu instid0(VALU_DEP_1) | instskip(NEXT) | instid1(VALU_DEP_1)
	v_and_or_b32 v2, 0x80000000, v2, v3
	v_cvt_f64_f32_e32 v[44:45], v2
.LBB11_2422:
	s_mov_b32 s2, 0
.LBB11_2423:
	s_delay_alu instid0(SALU_CYCLE_1)
	s_and_not1_b32 vcc_lo, exec_lo, s2
	s_cbranch_vccnz .LBB11_2425
; %bb.2424:
	global_load_u8 v2, v[0:1], off
	s_wait_loadcnt 0x0
	v_lshlrev_b32_e32 v3, 25, v2
	v_lshlrev_b16 v2, 8, v2
	s_delay_alu instid0(VALU_DEP_1) | instskip(SKIP_1) | instid1(VALU_DEP_2)
	v_and_or_b32 v5, 0x7f00, v2, 0.5
	v_bfe_i32 v2, v2, 0, 16
	v_dual_add_f32 v5, -0.5, v5 :: v_dual_lshrrev_b32 v4, 4, v3
	v_cmp_gt_u32_e32 vcc_lo, 0x8000000, v3
	s_delay_alu instid0(VALU_DEP_2) | instskip(NEXT) | instid1(VALU_DEP_1)
	v_or_b32_e32 v4, 0x70000000, v4
	v_mul_f32_e32 v4, 0x7800000, v4
	s_delay_alu instid0(VALU_DEP_1) | instskip(NEXT) | instid1(VALU_DEP_1)
	v_cndmask_b32_e32 v3, v4, v5, vcc_lo
	v_and_or_b32 v2, 0x80000000, v2, v3
	s_delay_alu instid0(VALU_DEP_1)
	v_cvt_f64_f32_e32 v[44:45], v2
.LBB11_2425:
	s_mov_b32 s2, 0
	s_mov_b32 s3, -1
.LBB11_2426:
	s_and_not1_b32 vcc_lo, exec_lo, s2
	s_mov_b32 s2, 0
	s_cbranch_vccnz .LBB11_2437
; %bb.2427:
	s_cmp_gt_i32 s0, 14
	s_cbranch_scc0 .LBB11_2430
; %bb.2428:
	s_cmp_eq_u32 s0, 15
	s_cbranch_scc0 .LBB11_2433
; %bb.2429:
	global_load_u16 v2, v[0:1], off
	s_mov_b32 s1, 0
	s_mov_b32 s3, -1
	s_wait_loadcnt 0x0
	v_lshlrev_b32_e32 v2, 16, v2
	s_delay_alu instid0(VALU_DEP_1)
	v_cvt_f64_f32_e32 v[44:45], v2
	s_branch .LBB11_2435
.LBB11_2430:
	s_mov_b32 s2, -1
	s_branch .LBB11_2434
.LBB11_2431:
	s_or_saveexec_b32 s3, s3
	v_mov_b64_e32 v[44:45], 0x7ff8000020000000
	s_xor_b32 exec_lo, exec_lo, s3
	s_cbranch_execz .LBB11_2412
.LBB11_2432:
	v_cmp_ne_u16_e32 vcc_lo, 0, v2
	v_mov_b64_e32 v[44:45], 0
	s_and_not1_b32 s2, s2, exec_lo
	s_and_b32 s4, vcc_lo, exec_lo
	s_delay_alu instid0(SALU_CYCLE_1)
	s_or_b32 s2, s2, s4
	s_or_b32 exec_lo, exec_lo, s3
	s_and_saveexec_b32 s3, s2
	s_cbranch_execnz .LBB11_2413
	s_branch .LBB11_2414
.LBB11_2433:
	s_mov_b32 s1, -1
.LBB11_2434:
                                        ; implicit-def: $vgpr44_vgpr45
.LBB11_2435:
	s_and_b32 vcc_lo, exec_lo, s2
	s_mov_b32 s2, 0
	s_cbranch_vccz .LBB11_2437
; %bb.2436:
	s_cmp_lg_u32 s0, 11
	s_mov_b32 s2, -1
	s_cselect_b32 s1, -1, 0
.LBB11_2437:
	s_delay_alu instid0(SALU_CYCLE_1)
	s_and_b32 vcc_lo, exec_lo, s1
	s_cbranch_vccnz .LBB11_2502
; %bb.2438:
	s_and_not1_b32 vcc_lo, exec_lo, s2
	s_cbranch_vccnz .LBB11_2440
.LBB11_2439:
	global_load_u8 v2, v[0:1], off
	s_wait_loadcnt 0x1
	v_mov_b32_e32 v44, 0
	s_mov_b32 s3, -1
	s_wait_loadcnt 0x0
	v_cmp_ne_u16_e32 vcc_lo, 0, v2
	v_cndmask_b32_e64 v45, 0, 0x3ff00000, vcc_lo
.LBB11_2440:
	s_mov_b32 s0, 0
.LBB11_2441:
	s_delay_alu instid0(SALU_CYCLE_1)
	s_and_b32 vcc_lo, exec_lo, s0
	s_cbranch_vccz .LBB11_2490
; %bb.2442:
	s_and_b32 s0, 0xffff, s51
	s_delay_alu instid0(SALU_CYCLE_1)
	s_cmp_lt_i32 s0, 5
	s_cbranch_scc1 .LBB11_2447
; %bb.2443:
	s_cmp_lt_i32 s0, 8
	s_cbranch_scc1 .LBB11_2448
; %bb.2444:
	;; [unrolled: 3-line block ×3, first 2 shown]
	s_cmp_gt_i32 s0, 9
	s_cbranch_scc0 .LBB11_2450
; %bb.2446:
	s_wait_loadcnt 0x0
	global_load_b64 v[44:45], v[0:1], off
	s_mov_b32 s1, 0
	s_branch .LBB11_2451
.LBB11_2447:
	s_mov_b32 s1, -1
                                        ; implicit-def: $vgpr44_vgpr45
	s_branch .LBB11_2469
.LBB11_2448:
	s_mov_b32 s1, -1
                                        ; implicit-def: $vgpr44_vgpr45
	s_branch .LBB11_2457
.LBB11_2449:
	s_mov_b32 s1, -1
                                        ; implicit-def: $vgpr44_vgpr45
	s_branch .LBB11_2454
.LBB11_2450:
	s_mov_b32 s1, -1
                                        ; implicit-def: $vgpr44_vgpr45
.LBB11_2451:
	s_delay_alu instid0(SALU_CYCLE_1)
	s_and_not1_b32 vcc_lo, exec_lo, s1
	s_cbranch_vccnz .LBB11_2453
; %bb.2452:
	global_load_b32 v2, v[0:1], off
	s_wait_loadcnt 0x0
	v_cvt_f64_f32_e32 v[44:45], v2
.LBB11_2453:
	s_mov_b32 s1, 0
.LBB11_2454:
	s_delay_alu instid0(SALU_CYCLE_1)
	s_and_not1_b32 vcc_lo, exec_lo, s1
	s_cbranch_vccnz .LBB11_2456
; %bb.2455:
	global_load_b32 v2, v[0:1], off
	s_wait_loadcnt 0x0
	v_cvt_f32_f16_e32 v2, v2
	s_delay_alu instid0(VALU_DEP_1)
	v_cvt_f64_f32_e32 v[44:45], v2
.LBB11_2456:
	s_mov_b32 s1, 0
.LBB11_2457:
	s_delay_alu instid0(SALU_CYCLE_1)
	s_and_not1_b32 vcc_lo, exec_lo, s1
	s_cbranch_vccnz .LBB11_2468
; %bb.2458:
	s_cmp_lt_i32 s0, 6
	s_cbranch_scc1 .LBB11_2461
; %bb.2459:
	s_cmp_gt_i32 s0, 6
	s_cbranch_scc0 .LBB11_2462
; %bb.2460:
	s_wait_loadcnt 0x0
	global_load_b64 v[44:45], v[0:1], off
	s_mov_b32 s1, 0
	s_branch .LBB11_2463
.LBB11_2461:
	s_mov_b32 s1, -1
                                        ; implicit-def: $vgpr44_vgpr45
	s_branch .LBB11_2466
.LBB11_2462:
	s_mov_b32 s1, -1
                                        ; implicit-def: $vgpr44_vgpr45
.LBB11_2463:
	s_delay_alu instid0(SALU_CYCLE_1)
	s_and_not1_b32 vcc_lo, exec_lo, s1
	s_cbranch_vccnz .LBB11_2465
; %bb.2464:
	global_load_b32 v2, v[0:1], off
	s_wait_loadcnt 0x0
	v_cvt_f64_f32_e32 v[44:45], v2
.LBB11_2465:
	s_mov_b32 s1, 0
.LBB11_2466:
	s_delay_alu instid0(SALU_CYCLE_1)
	s_and_not1_b32 vcc_lo, exec_lo, s1
	s_cbranch_vccnz .LBB11_2468
; %bb.2467:
	global_load_u16 v2, v[0:1], off
	s_wait_loadcnt 0x0
	v_cvt_f32_f16_e32 v2, v2
	s_delay_alu instid0(VALU_DEP_1)
	v_cvt_f64_f32_e32 v[44:45], v2
.LBB11_2468:
	s_mov_b32 s1, 0
.LBB11_2469:
	s_delay_alu instid0(SALU_CYCLE_1)
	s_and_not1_b32 vcc_lo, exec_lo, s1
	s_cbranch_vccnz .LBB11_2489
; %bb.2470:
	s_cmp_lt_i32 s0, 2
	s_cbranch_scc1 .LBB11_2474
; %bb.2471:
	s_cmp_lt_i32 s0, 3
	s_cbranch_scc1 .LBB11_2475
; %bb.2472:
	s_cmp_gt_i32 s0, 3
	s_cbranch_scc0 .LBB11_2476
; %bb.2473:
	global_load_b64 v[2:3], v[0:1], off
	s_mov_b32 s1, 0
	s_wait_loadcnt 0x0
	v_cvt_f64_i32_e32 v[4:5], v3
	v_cvt_f64_u32_e32 v[2:3], v2
	s_delay_alu instid0(VALU_DEP_2) | instskip(NEXT) | instid1(VALU_DEP_1)
	v_ldexp_f64 v[4:5], v[4:5], 32
	v_add_f64_e32 v[44:45], v[4:5], v[2:3]
	s_branch .LBB11_2477
.LBB11_2474:
	s_mov_b32 s1, -1
                                        ; implicit-def: $vgpr44_vgpr45
	s_branch .LBB11_2483
.LBB11_2475:
	s_mov_b32 s1, -1
                                        ; implicit-def: $vgpr44_vgpr45
	s_branch .LBB11_2480
.LBB11_2476:
	s_mov_b32 s1, -1
                                        ; implicit-def: $vgpr44_vgpr45
.LBB11_2477:
	s_delay_alu instid0(SALU_CYCLE_1)
	s_and_not1_b32 vcc_lo, exec_lo, s1
	s_cbranch_vccnz .LBB11_2479
; %bb.2478:
	global_load_b32 v2, v[0:1], off
	s_wait_loadcnt 0x0
	v_cvt_f64_i32_e32 v[44:45], v2
.LBB11_2479:
	s_mov_b32 s1, 0
.LBB11_2480:
	s_delay_alu instid0(SALU_CYCLE_1)
	s_and_not1_b32 vcc_lo, exec_lo, s1
	s_cbranch_vccnz .LBB11_2482
; %bb.2481:
	global_load_i16 v2, v[0:1], off
	s_wait_loadcnt 0x0
	v_cvt_f64_i32_e32 v[44:45], v2
.LBB11_2482:
	s_mov_b32 s1, 0
.LBB11_2483:
	s_delay_alu instid0(SALU_CYCLE_1)
	s_and_not1_b32 vcc_lo, exec_lo, s1
	s_cbranch_vccnz .LBB11_2489
; %bb.2484:
	s_cmp_gt_i32 s0, 0
	s_mov_b32 s0, 0
	s_cbranch_scc0 .LBB11_2486
; %bb.2485:
	global_load_i8 v2, v[0:1], off
	s_wait_loadcnt 0x0
	v_cvt_f64_i32_e32 v[44:45], v2
	s_branch .LBB11_2487
.LBB11_2486:
	s_mov_b32 s0, -1
                                        ; implicit-def: $vgpr44_vgpr45
.LBB11_2487:
	s_delay_alu instid0(SALU_CYCLE_1)
	s_and_not1_b32 vcc_lo, exec_lo, s0
	s_cbranch_vccnz .LBB11_2489
; %bb.2488:
	global_load_u8 v0, v[0:1], off
	s_wait_loadcnt 0x0
	v_cvt_f64_u32_e32 v[44:45], v0
.LBB11_2489:
	s_mov_b32 s3, -1
.LBB11_2490:
	s_delay_alu instid0(SALU_CYCLE_1)
	s_and_not1_b32 vcc_lo, exec_lo, s3
	s_cbranch_vccnz .LBB11_2624
; %bb.2491:
	s_wait_xcnt 0x0
	v_add_nc_u32_e32 v0, s46, v58
	s_cmp_lt_i32 s49, 11
	s_delay_alu instid0(VALU_DEP_1) | instskip(NEXT) | instid1(VALU_DEP_1)
	v_ashrrev_i32_e32 v1, 31, v0
	v_add_nc_u64_e32 v[0:1], s[34:35], v[0:1]
	s_cbranch_scc1 .LBB11_2498
; %bb.2492:
	s_cmp_gt_i32 s49, 25
	s_mov_b32 s1, 0
	s_cbranch_scc0 .LBB11_2499
; %bb.2493:
	s_cmp_gt_i32 s49, 28
	s_cbranch_scc0 .LBB11_2500
; %bb.2494:
	s_cmp_gt_i32 s49, 43
	;; [unrolled: 3-line block ×3, first 2 shown]
	s_cbranch_scc0 .LBB11_2503
; %bb.2496:
	s_cmp_eq_u32 s49, 46
	s_mov_b32 s3, 0
	s_cbranch_scc0 .LBB11_2504
; %bb.2497:
	global_load_b32 v2, v[0:1], off
	s_mov_b32 s0, 0
	s_mov_b32 s2, -1
	s_wait_loadcnt 0x0
	v_lshlrev_b32_e32 v2, 16, v2
	s_delay_alu instid0(VALU_DEP_1)
	v_cvt_f64_f32_e32 v[46:47], v2
	s_branch .LBB11_2506
.LBB11_2498:
	s_mov_b32 s0, -1
	s_mov_b32 s2, 0
                                        ; implicit-def: $vgpr46_vgpr47
	s_branch .LBB11_2572
.LBB11_2499:
	s_mov_b32 s3, -1
	s_mov_b32 s2, 0
	s_mov_b32 s0, 0
                                        ; implicit-def: $vgpr46_vgpr47
	s_branch .LBB11_2535
.LBB11_2500:
	s_mov_b32 s3, -1
	s_mov_b32 s2, 0
	s_mov_b32 s0, 0
                                        ; implicit-def: $vgpr46_vgpr47
	s_branch .LBB11_2516
.LBB11_2501:
	s_mov_b32 s3, -1
	s_mov_b32 s2, 0
	s_mov_b32 s0, 0
                                        ; implicit-def: $vgpr46_vgpr47
	s_branch .LBB11_2511
.LBB11_2502:
	s_or_b32 s50, s50, exec_lo
	s_trap 2
	s_cbranch_execz .LBB11_2439
	s_branch .LBB11_2440
.LBB11_2503:
	s_mov_b32 s3, -1
	s_mov_b32 s2, 0
	s_mov_b32 s0, 0
	s_branch .LBB11_2505
.LBB11_2504:
	s_mov_b32 s0, -1
	s_mov_b32 s2, 0
.LBB11_2505:
                                        ; implicit-def: $vgpr46_vgpr47
.LBB11_2506:
	s_and_b32 vcc_lo, exec_lo, s3
	s_cbranch_vccz .LBB11_2510
; %bb.2507:
	s_cmp_eq_u32 s49, 44
	s_cbranch_scc0 .LBB11_2509
; %bb.2508:
	global_load_u8 v4, v[0:1], off
	s_mov_b32 s0, 0
	s_mov_b32 s2, -1
	s_wait_loadcnt 0x0
	v_cmp_ne_u32_e32 vcc_lo, 0xff, v4
	v_lshlrev_b32_e32 v2, 23, v4
	s_delay_alu instid0(VALU_DEP_1) | instskip(NEXT) | instid1(VALU_DEP_1)
	v_cvt_f64_f32_e32 v[2:3], v2
	v_cndmask_b32_e32 v2, 0x20000000, v2, vcc_lo
	s_delay_alu instid0(VALU_DEP_2) | instskip(SKIP_1) | instid1(VALU_DEP_2)
	v_cndmask_b32_e32 v3, 0x7ff80000, v3, vcc_lo
	v_cmp_ne_u32_e32 vcc_lo, 0, v4
	v_cndmask_b32_e32 v47, 0x38000000, v3, vcc_lo
	s_delay_alu instid0(VALU_DEP_4)
	v_cndmask_b32_e32 v46, 0, v2, vcc_lo
	s_branch .LBB11_2510
.LBB11_2509:
	s_mov_b32 s0, -1
                                        ; implicit-def: $vgpr46_vgpr47
.LBB11_2510:
	s_mov_b32 s3, 0
.LBB11_2511:
	s_delay_alu instid0(SALU_CYCLE_1)
	s_and_b32 vcc_lo, exec_lo, s3
	s_cbranch_vccz .LBB11_2515
; %bb.2512:
	s_cmp_eq_u32 s49, 29
	s_cbranch_scc0 .LBB11_2514
; %bb.2513:
	global_load_b64 v[2:3], v[0:1], off
	s_mov_b32 s0, 0
	s_mov_b32 s2, -1
	s_mov_b32 s3, 0
	s_wait_loadcnt 0x0
	v_cvt_f64_u32_e32 v[4:5], v3
	v_cvt_f64_u32_e32 v[2:3], v2
	s_delay_alu instid0(VALU_DEP_2) | instskip(NEXT) | instid1(VALU_DEP_1)
	v_ldexp_f64 v[4:5], v[4:5], 32
	v_add_f64_e32 v[46:47], v[4:5], v[2:3]
	s_branch .LBB11_2516
.LBB11_2514:
	s_mov_b32 s0, -1
                                        ; implicit-def: $vgpr46_vgpr47
.LBB11_2515:
	s_mov_b32 s3, 0
.LBB11_2516:
	s_delay_alu instid0(SALU_CYCLE_1)
	s_and_b32 vcc_lo, exec_lo, s3
	s_cbranch_vccz .LBB11_2534
; %bb.2517:
	s_cmp_lt_i32 s49, 27
	s_cbranch_scc1 .LBB11_2520
; %bb.2518:
	s_cmp_gt_i32 s49, 27
	s_cbranch_scc0 .LBB11_2521
; %bb.2519:
	global_load_b32 v2, v[0:1], off
	s_mov_b32 s2, 0
	s_wait_loadcnt 0x0
	v_cvt_f64_u32_e32 v[46:47], v2
	s_branch .LBB11_2522
.LBB11_2520:
	s_mov_b32 s2, -1
                                        ; implicit-def: $vgpr46_vgpr47
	s_branch .LBB11_2525
.LBB11_2521:
	s_mov_b32 s2, -1
                                        ; implicit-def: $vgpr46_vgpr47
.LBB11_2522:
	s_delay_alu instid0(SALU_CYCLE_1)
	s_and_not1_b32 vcc_lo, exec_lo, s2
	s_cbranch_vccnz .LBB11_2524
; %bb.2523:
	global_load_u16 v2, v[0:1], off
	s_wait_loadcnt 0x0
	v_cvt_f64_u32_e32 v[46:47], v2
.LBB11_2524:
	s_mov_b32 s2, 0
.LBB11_2525:
	s_delay_alu instid0(SALU_CYCLE_1)
	s_and_not1_b32 vcc_lo, exec_lo, s2
	s_cbranch_vccnz .LBB11_2533
; %bb.2526:
	global_load_u8 v2, v[0:1], off
	s_mov_b32 s2, 0
	s_mov_b32 s3, exec_lo
	s_wait_loadcnt 0x0
	v_cmpx_lt_i16_e32 0x7f, v2
	s_xor_b32 s3, exec_lo, s3
	s_cbranch_execz .LBB11_2547
; %bb.2527:
	s_mov_b32 s2, -1
	s_mov_b32 s4, exec_lo
	v_cmpx_eq_u16_e32 0x80, v2
; %bb.2528:
	s_xor_b32 s2, exec_lo, -1
; %bb.2529:
	s_or_b32 exec_lo, exec_lo, s4
	s_delay_alu instid0(SALU_CYCLE_1)
	s_and_b32 s2, s2, exec_lo
	s_or_saveexec_b32 s3, s3
	v_mov_b64_e32 v[46:47], 0x7ff8000020000000
	s_xor_b32 exec_lo, exec_lo, s3
	s_cbranch_execnz .LBB11_2548
.LBB11_2530:
	s_or_b32 exec_lo, exec_lo, s3
	s_and_saveexec_b32 s3, s2
	s_cbranch_execz .LBB11_2532
.LBB11_2531:
	v_and_b32_e32 v3, 0xffff, v2
	s_delay_alu instid0(VALU_DEP_1) | instskip(SKIP_1) | instid1(VALU_DEP_2)
	v_and_b32_e32 v4, 7, v3
	v_bfe_u32 v7, v3, 3, 4
	v_clz_i32_u32_e32 v5, v4
	s_delay_alu instid0(VALU_DEP_2) | instskip(NEXT) | instid1(VALU_DEP_2)
	v_cmp_eq_u32_e32 vcc_lo, 0, v7
	v_min_u32_e32 v5, 32, v5
	s_delay_alu instid0(VALU_DEP_1) | instskip(NEXT) | instid1(VALU_DEP_1)
	v_subrev_nc_u32_e32 v6, 28, v5
	v_dual_lshlrev_b32 v3, v6, v3 :: v_dual_sub_nc_u32 v5, 29, v5
	s_delay_alu instid0(VALU_DEP_1) | instskip(NEXT) | instid1(VALU_DEP_1)
	v_dual_lshlrev_b32 v2, 24, v2 :: v_dual_bitop2_b32 v3, 7, v3 bitop3:0x40
	v_dual_cndmask_b32 v5, v7, v5, vcc_lo :: v_dual_cndmask_b32 v3, v4, v3, vcc_lo
	s_delay_alu instid0(VALU_DEP_2) | instskip(NEXT) | instid1(VALU_DEP_2)
	v_and_b32_e32 v2, 0x80000000, v2
	v_lshl_add_u32 v4, v5, 23, 0x3b800000
	s_delay_alu instid0(VALU_DEP_3) | instskip(NEXT) | instid1(VALU_DEP_1)
	v_lshlrev_b32_e32 v3, 20, v3
	v_or3_b32 v2, v2, v4, v3
	s_delay_alu instid0(VALU_DEP_1)
	v_cvt_f64_f32_e32 v[46:47], v2
.LBB11_2532:
	s_or_b32 exec_lo, exec_lo, s3
.LBB11_2533:
	s_mov_b32 s2, -1
.LBB11_2534:
	s_mov_b32 s3, 0
.LBB11_2535:
	s_delay_alu instid0(SALU_CYCLE_1)
	s_and_b32 vcc_lo, exec_lo, s3
	s_cbranch_vccz .LBB11_2568
; %bb.2536:
	s_cmp_gt_i32 s49, 22
	s_cbranch_scc0 .LBB11_2546
; %bb.2537:
	s_cmp_lt_i32 s49, 24
	s_cbranch_scc1 .LBB11_2549
; %bb.2538:
	s_cmp_gt_i32 s49, 24
	s_cbranch_scc0 .LBB11_2550
; %bb.2539:
	global_load_u8 v2, v[0:1], off
	s_mov_b32 s2, exec_lo
	s_wait_loadcnt 0x0
	v_cmpx_lt_i16_e32 0x7f, v2
	s_xor_b32 s2, exec_lo, s2
	s_cbranch_execz .LBB11_2562
; %bb.2540:
	s_mov_b32 s1, -1
	s_mov_b32 s3, exec_lo
	v_cmpx_eq_u16_e32 0x80, v2
; %bb.2541:
	s_xor_b32 s1, exec_lo, -1
; %bb.2542:
	s_or_b32 exec_lo, exec_lo, s3
	s_delay_alu instid0(SALU_CYCLE_1)
	s_and_b32 s1, s1, exec_lo
	s_or_saveexec_b32 s2, s2
	v_mov_b64_e32 v[46:47], 0x7ff8000020000000
	s_xor_b32 exec_lo, exec_lo, s2
	s_cbranch_execnz .LBB11_2563
.LBB11_2543:
	s_or_b32 exec_lo, exec_lo, s2
	s_and_saveexec_b32 s2, s1
	s_cbranch_execz .LBB11_2545
.LBB11_2544:
	v_and_b32_e32 v3, 0xffff, v2
	s_delay_alu instid0(VALU_DEP_1) | instskip(SKIP_1) | instid1(VALU_DEP_2)
	v_and_b32_e32 v4, 3, v3
	v_bfe_u32 v7, v3, 2, 5
	v_clz_i32_u32_e32 v5, v4
	s_delay_alu instid0(VALU_DEP_2) | instskip(NEXT) | instid1(VALU_DEP_2)
	v_cmp_eq_u32_e32 vcc_lo, 0, v7
	v_min_u32_e32 v5, 32, v5
	s_delay_alu instid0(VALU_DEP_1) | instskip(NEXT) | instid1(VALU_DEP_1)
	v_subrev_nc_u32_e32 v6, 29, v5
	v_dual_lshlrev_b32 v3, v6, v3 :: v_dual_sub_nc_u32 v5, 30, v5
	s_delay_alu instid0(VALU_DEP_1) | instskip(NEXT) | instid1(VALU_DEP_1)
	v_dual_lshlrev_b32 v2, 24, v2 :: v_dual_bitop2_b32 v3, 3, v3 bitop3:0x40
	v_dual_cndmask_b32 v5, v7, v5, vcc_lo :: v_dual_cndmask_b32 v3, v4, v3, vcc_lo
	s_delay_alu instid0(VALU_DEP_2) | instskip(NEXT) | instid1(VALU_DEP_2)
	v_and_b32_e32 v2, 0x80000000, v2
	v_lshl_add_u32 v4, v5, 23, 0x37800000
	s_delay_alu instid0(VALU_DEP_3) | instskip(NEXT) | instid1(VALU_DEP_1)
	v_lshlrev_b32_e32 v3, 21, v3
	v_or3_b32 v2, v2, v4, v3
	s_delay_alu instid0(VALU_DEP_1)
	v_cvt_f64_f32_e32 v[46:47], v2
.LBB11_2545:
	s_or_b32 exec_lo, exec_lo, s2
	s_mov_b32 s1, 0
	s_branch .LBB11_2551
.LBB11_2546:
	s_mov_b32 s1, -1
                                        ; implicit-def: $vgpr46_vgpr47
	s_branch .LBB11_2557
.LBB11_2547:
	s_or_saveexec_b32 s3, s3
	v_mov_b64_e32 v[46:47], 0x7ff8000020000000
	s_xor_b32 exec_lo, exec_lo, s3
	s_cbranch_execz .LBB11_2530
.LBB11_2548:
	v_cmp_ne_u16_e32 vcc_lo, 0, v2
	v_mov_b64_e32 v[46:47], 0
	s_and_not1_b32 s2, s2, exec_lo
	s_and_b32 s4, vcc_lo, exec_lo
	s_delay_alu instid0(SALU_CYCLE_1)
	s_or_b32 s2, s2, s4
	s_or_b32 exec_lo, exec_lo, s3
	s_and_saveexec_b32 s3, s2
	s_cbranch_execnz .LBB11_2531
	s_branch .LBB11_2532
.LBB11_2549:
	s_mov_b32 s1, -1
                                        ; implicit-def: $vgpr46_vgpr47
	s_branch .LBB11_2554
.LBB11_2550:
	s_mov_b32 s1, -1
                                        ; implicit-def: $vgpr46_vgpr47
.LBB11_2551:
	s_delay_alu instid0(SALU_CYCLE_1)
	s_and_b32 vcc_lo, exec_lo, s1
	s_cbranch_vccz .LBB11_2553
; %bb.2552:
	global_load_u8 v2, v[0:1], off
	s_wait_loadcnt 0x0
	v_lshlrev_b32_e32 v2, 24, v2
	s_delay_alu instid0(VALU_DEP_1) | instskip(NEXT) | instid1(VALU_DEP_1)
	v_and_b32_e32 v3, 0x7f000000, v2
	v_clz_i32_u32_e32 v4, v3
	v_cmp_ne_u32_e32 vcc_lo, 0, v3
	v_add_nc_u32_e32 v6, 0x1000000, v3
	s_delay_alu instid0(VALU_DEP_3) | instskip(NEXT) | instid1(VALU_DEP_1)
	v_min_u32_e32 v4, 32, v4
	v_sub_nc_u32_e64 v4, v4, 4 clamp
	s_delay_alu instid0(VALU_DEP_1) | instskip(NEXT) | instid1(VALU_DEP_1)
	v_dual_lshlrev_b32 v5, v4, v3 :: v_dual_lshlrev_b32 v4, 23, v4
	v_lshrrev_b32_e32 v5, 4, v5
	s_delay_alu instid0(VALU_DEP_1) | instskip(NEXT) | instid1(VALU_DEP_1)
	v_dual_sub_nc_u32 v4, v5, v4 :: v_dual_ashrrev_i32 v5, 8, v6
	v_add_nc_u32_e32 v4, 0x3c000000, v4
	s_delay_alu instid0(VALU_DEP_1) | instskip(NEXT) | instid1(VALU_DEP_1)
	v_and_or_b32 v4, 0x7f800000, v5, v4
	v_cndmask_b32_e32 v3, 0, v4, vcc_lo
	s_delay_alu instid0(VALU_DEP_1) | instskip(NEXT) | instid1(VALU_DEP_1)
	v_and_or_b32 v2, 0x80000000, v2, v3
	v_cvt_f64_f32_e32 v[46:47], v2
.LBB11_2553:
	s_mov_b32 s1, 0
.LBB11_2554:
	s_delay_alu instid0(SALU_CYCLE_1)
	s_and_not1_b32 vcc_lo, exec_lo, s1
	s_cbranch_vccnz .LBB11_2556
; %bb.2555:
	global_load_u8 v2, v[0:1], off
	s_wait_loadcnt 0x0
	v_lshlrev_b32_e32 v3, 25, v2
	v_lshlrev_b16 v2, 8, v2
	s_delay_alu instid0(VALU_DEP_1) | instskip(SKIP_1) | instid1(VALU_DEP_2)
	v_and_or_b32 v5, 0x7f00, v2, 0.5
	v_bfe_i32 v2, v2, 0, 16
	v_dual_add_f32 v5, -0.5, v5 :: v_dual_lshrrev_b32 v4, 4, v3
	v_cmp_gt_u32_e32 vcc_lo, 0x8000000, v3
	s_delay_alu instid0(VALU_DEP_2) | instskip(NEXT) | instid1(VALU_DEP_1)
	v_or_b32_e32 v4, 0x70000000, v4
	v_mul_f32_e32 v4, 0x7800000, v4
	s_delay_alu instid0(VALU_DEP_1) | instskip(NEXT) | instid1(VALU_DEP_1)
	v_cndmask_b32_e32 v3, v4, v5, vcc_lo
	v_and_or_b32 v2, 0x80000000, v2, v3
	s_delay_alu instid0(VALU_DEP_1)
	v_cvt_f64_f32_e32 v[46:47], v2
.LBB11_2556:
	s_mov_b32 s1, 0
	s_mov_b32 s2, -1
.LBB11_2557:
	s_and_not1_b32 vcc_lo, exec_lo, s1
	s_mov_b32 s1, 0
	s_cbranch_vccnz .LBB11_2568
; %bb.2558:
	s_cmp_gt_i32 s49, 14
	s_cbranch_scc0 .LBB11_2561
; %bb.2559:
	s_cmp_eq_u32 s49, 15
	s_cbranch_scc0 .LBB11_2564
; %bb.2560:
	global_load_u16 v2, v[0:1], off
	s_mov_b32 s0, 0
	s_mov_b32 s2, -1
	s_wait_loadcnt 0x0
	v_lshlrev_b32_e32 v2, 16, v2
	s_delay_alu instid0(VALU_DEP_1)
	v_cvt_f64_f32_e32 v[46:47], v2
	s_branch .LBB11_2566
.LBB11_2561:
	s_mov_b32 s1, -1
	s_branch .LBB11_2565
.LBB11_2562:
	s_or_saveexec_b32 s2, s2
	v_mov_b64_e32 v[46:47], 0x7ff8000020000000
	s_xor_b32 exec_lo, exec_lo, s2
	s_cbranch_execz .LBB11_2543
.LBB11_2563:
	v_cmp_ne_u16_e32 vcc_lo, 0, v2
	v_mov_b64_e32 v[46:47], 0
	s_and_not1_b32 s1, s1, exec_lo
	s_and_b32 s3, vcc_lo, exec_lo
	s_delay_alu instid0(SALU_CYCLE_1)
	s_or_b32 s1, s1, s3
	s_or_b32 exec_lo, exec_lo, s2
	s_and_saveexec_b32 s2, s1
	s_cbranch_execnz .LBB11_2544
	s_branch .LBB11_2545
.LBB11_2564:
	s_mov_b32 s0, -1
.LBB11_2565:
                                        ; implicit-def: $vgpr46_vgpr47
.LBB11_2566:
	s_and_b32 vcc_lo, exec_lo, s1
	s_mov_b32 s1, 0
	s_cbranch_vccz .LBB11_2568
; %bb.2567:
	s_cmp_lg_u32 s49, 11
	s_mov_b32 s1, -1
	s_cselect_b32 s0, -1, 0
.LBB11_2568:
	s_delay_alu instid0(SALU_CYCLE_1)
	s_and_b32 vcc_lo, exec_lo, s0
	s_cbranch_vccnz .LBB11_3107
; %bb.2569:
	s_and_not1_b32 vcc_lo, exec_lo, s1
	s_cbranch_vccnz .LBB11_2571
.LBB11_2570:
	global_load_u8 v2, v[0:1], off
	s_wait_loadcnt 0x1
	v_mov_b32_e32 v46, 0
	s_mov_b32 s2, -1
	s_wait_loadcnt 0x0
	v_cmp_ne_u16_e32 vcc_lo, 0, v2
	v_cndmask_b32_e64 v47, 0, 0x3ff00000, vcc_lo
.LBB11_2571:
	s_mov_b32 s0, 0
.LBB11_2572:
	s_delay_alu instid0(SALU_CYCLE_1)
	s_and_b32 vcc_lo, exec_lo, s0
	s_cbranch_vccz .LBB11_2621
; %bb.2573:
	s_cmp_lt_i32 s49, 5
	s_cbranch_scc1 .LBB11_2578
; %bb.2574:
	s_cmp_lt_i32 s49, 8
	s_cbranch_scc1 .LBB11_2579
	;; [unrolled: 3-line block ×3, first 2 shown]
; %bb.2576:
	s_cmp_gt_i32 s49, 9
	s_cbranch_scc0 .LBB11_2581
; %bb.2577:
	s_wait_loadcnt 0x0
	global_load_b64 v[46:47], v[0:1], off
	s_mov_b32 s0, 0
	s_branch .LBB11_2582
.LBB11_2578:
	s_mov_b32 s0, -1
                                        ; implicit-def: $vgpr46_vgpr47
	s_branch .LBB11_2600
.LBB11_2579:
	s_mov_b32 s0, -1
                                        ; implicit-def: $vgpr46_vgpr47
	s_branch .LBB11_2588
.LBB11_2580:
	s_mov_b32 s0, -1
                                        ; implicit-def: $vgpr46_vgpr47
	s_branch .LBB11_2585
.LBB11_2581:
	s_mov_b32 s0, -1
                                        ; implicit-def: $vgpr46_vgpr47
.LBB11_2582:
	s_delay_alu instid0(SALU_CYCLE_1)
	s_and_not1_b32 vcc_lo, exec_lo, s0
	s_cbranch_vccnz .LBB11_2584
; %bb.2583:
	global_load_b32 v2, v[0:1], off
	s_wait_loadcnt 0x0
	v_cvt_f64_f32_e32 v[46:47], v2
.LBB11_2584:
	s_mov_b32 s0, 0
.LBB11_2585:
	s_delay_alu instid0(SALU_CYCLE_1)
	s_and_not1_b32 vcc_lo, exec_lo, s0
	s_cbranch_vccnz .LBB11_2587
; %bb.2586:
	global_load_b32 v2, v[0:1], off
	s_wait_loadcnt 0x0
	v_cvt_f32_f16_e32 v2, v2
	s_delay_alu instid0(VALU_DEP_1)
	v_cvt_f64_f32_e32 v[46:47], v2
.LBB11_2587:
	s_mov_b32 s0, 0
.LBB11_2588:
	s_delay_alu instid0(SALU_CYCLE_1)
	s_and_not1_b32 vcc_lo, exec_lo, s0
	s_cbranch_vccnz .LBB11_2599
; %bb.2589:
	s_cmp_lt_i32 s49, 6
	s_cbranch_scc1 .LBB11_2592
; %bb.2590:
	s_cmp_gt_i32 s49, 6
	s_cbranch_scc0 .LBB11_2593
; %bb.2591:
	s_wait_loadcnt 0x0
	global_load_b64 v[46:47], v[0:1], off
	s_mov_b32 s0, 0
	s_branch .LBB11_2594
.LBB11_2592:
	s_mov_b32 s0, -1
                                        ; implicit-def: $vgpr46_vgpr47
	s_branch .LBB11_2597
.LBB11_2593:
	s_mov_b32 s0, -1
                                        ; implicit-def: $vgpr46_vgpr47
.LBB11_2594:
	s_delay_alu instid0(SALU_CYCLE_1)
	s_and_not1_b32 vcc_lo, exec_lo, s0
	s_cbranch_vccnz .LBB11_2596
; %bb.2595:
	global_load_b32 v2, v[0:1], off
	s_wait_loadcnt 0x0
	v_cvt_f64_f32_e32 v[46:47], v2
.LBB11_2596:
	s_mov_b32 s0, 0
.LBB11_2597:
	s_delay_alu instid0(SALU_CYCLE_1)
	s_and_not1_b32 vcc_lo, exec_lo, s0
	s_cbranch_vccnz .LBB11_2599
; %bb.2598:
	global_load_u16 v2, v[0:1], off
	s_wait_loadcnt 0x0
	v_cvt_f32_f16_e32 v2, v2
	s_delay_alu instid0(VALU_DEP_1)
	v_cvt_f64_f32_e32 v[46:47], v2
.LBB11_2599:
	s_mov_b32 s0, 0
.LBB11_2600:
	s_delay_alu instid0(SALU_CYCLE_1)
	s_and_not1_b32 vcc_lo, exec_lo, s0
	s_cbranch_vccnz .LBB11_2620
; %bb.2601:
	s_cmp_lt_i32 s49, 2
	s_cbranch_scc1 .LBB11_2605
; %bb.2602:
	s_cmp_lt_i32 s49, 3
	s_cbranch_scc1 .LBB11_2606
; %bb.2603:
	s_cmp_gt_i32 s49, 3
	s_cbranch_scc0 .LBB11_2607
; %bb.2604:
	global_load_b64 v[2:3], v[0:1], off
	s_mov_b32 s0, 0
	s_wait_loadcnt 0x0
	v_cvt_f64_i32_e32 v[4:5], v3
	v_cvt_f64_u32_e32 v[2:3], v2
	s_delay_alu instid0(VALU_DEP_2) | instskip(NEXT) | instid1(VALU_DEP_1)
	v_ldexp_f64 v[4:5], v[4:5], 32
	v_add_f64_e32 v[46:47], v[4:5], v[2:3]
	s_branch .LBB11_2608
.LBB11_2605:
	s_mov_b32 s0, -1
                                        ; implicit-def: $vgpr46_vgpr47
	s_branch .LBB11_2614
.LBB11_2606:
	s_mov_b32 s0, -1
                                        ; implicit-def: $vgpr46_vgpr47
	s_branch .LBB11_2611
.LBB11_2607:
	s_mov_b32 s0, -1
                                        ; implicit-def: $vgpr46_vgpr47
.LBB11_2608:
	s_delay_alu instid0(SALU_CYCLE_1)
	s_and_not1_b32 vcc_lo, exec_lo, s0
	s_cbranch_vccnz .LBB11_2610
; %bb.2609:
	global_load_b32 v2, v[0:1], off
	s_wait_loadcnt 0x0
	v_cvt_f64_i32_e32 v[46:47], v2
.LBB11_2610:
	s_mov_b32 s0, 0
.LBB11_2611:
	s_delay_alu instid0(SALU_CYCLE_1)
	s_and_not1_b32 vcc_lo, exec_lo, s0
	s_cbranch_vccnz .LBB11_2613
; %bb.2612:
	global_load_i16 v2, v[0:1], off
	s_wait_loadcnt 0x0
	v_cvt_f64_i32_e32 v[46:47], v2
.LBB11_2613:
	s_mov_b32 s0, 0
.LBB11_2614:
	s_delay_alu instid0(SALU_CYCLE_1)
	s_and_not1_b32 vcc_lo, exec_lo, s0
	s_cbranch_vccnz .LBB11_2620
; %bb.2615:
	s_cmp_gt_i32 s49, 0
	s_mov_b32 s0, 0
	s_cbranch_scc0 .LBB11_2617
; %bb.2616:
	global_load_i8 v2, v[0:1], off
	s_wait_loadcnt 0x0
	v_cvt_f64_i32_e32 v[46:47], v2
	s_branch .LBB11_2618
.LBB11_2617:
	s_mov_b32 s0, -1
                                        ; implicit-def: $vgpr46_vgpr47
.LBB11_2618:
	s_delay_alu instid0(SALU_CYCLE_1)
	s_and_not1_b32 vcc_lo, exec_lo, s0
	s_cbranch_vccnz .LBB11_2620
; %bb.2619:
	global_load_u8 v0, v[0:1], off
	s_wait_loadcnt 0x0
	v_cvt_f64_u32_e32 v[46:47], v0
.LBB11_2620:
	s_mov_b32 s2, -1
.LBB11_2621:
	s_delay_alu instid0(SALU_CYCLE_1)
	s_and_not1_b32 vcc_lo, exec_lo, s2
	s_cbranch_vccnz .LBB11_2624
; %bb.2622:
	s_and_b32 vcc_lo, exec_lo, s47
	s_cbranch_vccz .LBB11_2669
; %bb.2623:
	s_wait_loadcnt 0x0
	s_delay_alu instid0(VALU_DEP_4) | instskip(NEXT) | instid1(VALU_DEP_2)
	v_dual_mov_b32 v0, v44 :: v_dual_mov_b32 v1, v45
	v_dual_mov_b32 v2, v46 :: v_dual_mov_b32 v3, v47
	s_get_pc_i64 s[0:1]
	s_add_nc_u64 s[0:1], s[0:1], _ZN12_GLOBAL__N_111calc_igammaIdEET_S1_S1_@rel64+4
	s_delay_alu instid0(SALU_CYCLE_1)
	s_swap_pc_i64 s[30:31], s[0:1]
	s_mov_b32 s0, 0
	s_branch .LBB11_2670
.LBB11_2624:
	s_mov_b32 s0, 0
	s_mov_b32 s3, 0
                                        ; implicit-def: $sgpr1
                                        ; implicit-def: $vgpr4_vgpr5
                                        ; implicit-def: $vgpr0_vgpr1
.LBB11_2625:
	s_and_not1_b32 s2, s53, exec_lo
	s_and_b32 s4, s50, exec_lo
	s_and_b32 s0, s0, exec_lo
	;; [unrolled: 1-line block ×3, first 2 shown]
	s_or_b32 s53, s2, s4
.LBB11_2626:
	s_wait_xcnt 0x0
	s_or_b32 exec_lo, exec_lo, s52
	s_and_saveexec_b32 s2, s53
	s_cbranch_execz .LBB11_2629
; %bb.2627:
	; divergent unreachable
	s_or_b32 exec_lo, exec_lo, s2
	s_and_saveexec_b32 s2, s50
	s_delay_alu instid0(SALU_CYCLE_1)
	s_xor_b32 s2, exec_lo, s2
	s_cbranch_execnz .LBB11_2630
.LBB11_2628:
	s_or_b32 exec_lo, exec_lo, s2
	s_and_saveexec_b32 s2, s0
	s_cbranch_execnz .LBB11_2631
	s_branch .LBB11_2668
.LBB11_2629:
	s_or_b32 exec_lo, exec_lo, s2
	s_and_saveexec_b32 s2, s50
	s_delay_alu instid0(SALU_CYCLE_1)
	s_xor_b32 s2, exec_lo, s2
	s_cbranch_execz .LBB11_2628
.LBB11_2630:
	v_cmp_neq_f64_e32 vcc_lo, 0, v[0:1]
	v_cndmask_b32_e64 v2, 0, 1, vcc_lo
	global_store_b8 v[4:5], v2, off
	s_wait_xcnt 0x0
	s_or_b32 exec_lo, exec_lo, s2
	s_and_saveexec_b32 s2, s0
	s_cbranch_execz .LBB11_2668
.LBB11_2631:
	s_sext_i32_i16 s2, s1
	s_mov_b32 s0, -1
	s_cmp_lt_i32 s2, 5
	s_cbranch_scc1 .LBB11_2652
; %bb.2632:
	s_cmp_lt_i32 s2, 8
	s_cbranch_scc1 .LBB11_2642
; %bb.2633:
	;; [unrolled: 3-line block ×3, first 2 shown]
	s_cmp_gt_i32 s2, 9
	s_cbranch_scc0 .LBB11_2636
; %bb.2635:
	v_mov_b32_e32 v2, 0
	s_mov_b32 s0, 0
	s_delay_alu instid0(VALU_DEP_1)
	v_mov_b32_e32 v3, v2
	global_store_b128 v[4:5], v[0:3], off
.LBB11_2636:
	s_and_not1_b32 vcc_lo, exec_lo, s0
	s_cbranch_vccnz .LBB11_2638
; %bb.2637:
	s_wait_xcnt 0x0
	v_cvt_f32_f64_e32 v2, v[0:1]
	v_mov_b32_e32 v3, 0
	global_store_b64 v[4:5], v[2:3], off
.LBB11_2638:
	s_mov_b32 s0, 0
.LBB11_2639:
	s_delay_alu instid0(SALU_CYCLE_1)
	s_and_not1_b32 vcc_lo, exec_lo, s0
	s_cbranch_vccnz .LBB11_2641
; %bb.2640:
	s_wait_xcnt 0x0
	v_and_or_b32 v2, 0x1ff, v1, v0
	v_lshrrev_b32_e32 v3, 8, v1
	v_bfe_u32 v6, v1, 20, 11
	s_delay_alu instid0(VALU_DEP_3) | instskip(NEXT) | instid1(VALU_DEP_2)
	v_cmp_ne_u32_e32 vcc_lo, 0, v2
	v_sub_nc_u32_e32 v7, 0x3f1, v6
	v_cndmask_b32_e64 v2, 0, 1, vcc_lo
	s_delay_alu instid0(VALU_DEP_1) | instskip(NEXT) | instid1(VALU_DEP_3)
	v_and_or_b32 v2, 0xffe, v3, v2
	v_med3_i32 v3, v7, 0, 13
	s_delay_alu instid0(VALU_DEP_2) | instskip(NEXT) | instid1(VALU_DEP_1)
	v_or_b32_e32 v7, 0x1000, v2
	v_lshrrev_b32_e32 v8, v3, v7
	s_delay_alu instid0(VALU_DEP_1) | instskip(NEXT) | instid1(VALU_DEP_1)
	v_lshlrev_b32_e32 v3, v3, v8
	v_cmp_ne_u32_e32 vcc_lo, v3, v7
	v_cndmask_b32_e64 v3, 0, 1, vcc_lo
	s_delay_alu instid0(VALU_DEP_1) | instskip(SKIP_1) | instid1(VALU_DEP_1)
	v_or_b32_e32 v3, v8, v3
	v_add_nc_u32_e32 v6, 0xfffffc10, v6
	v_lshl_or_b32 v7, v6, 12, v2
	v_cmp_gt_i32_e32 vcc_lo, 1, v6
	s_delay_alu instid0(VALU_DEP_2) | instskip(NEXT) | instid1(VALU_DEP_1)
	v_cndmask_b32_e32 v3, v7, v3, vcc_lo
	v_dual_lshrrev_b32 v3, 2, v3 :: v_dual_bitop2_b32 v7, 7, v3 bitop3:0x40
	s_delay_alu instid0(VALU_DEP_1) | instskip(SKIP_4) | instid1(VALU_DEP_2)
	v_cmp_lt_i32_e32 vcc_lo, 5, v7
	v_cndmask_b32_e64 v8, 0, 1, vcc_lo
	v_cmp_eq_u32_e32 vcc_lo, 3, v7
	v_cndmask_b32_e64 v7, 0, 1, vcc_lo
	v_cmp_ne_u32_e32 vcc_lo, 0, v2
	v_or_b32_e32 v7, v7, v8
	s_delay_alu instid0(VALU_DEP_1) | instskip(NEXT) | instid1(VALU_DEP_1)
	v_dual_mov_b32 v8, 0x7e00 :: v_dual_add_nc_u32 v3, v3, v7
	v_cndmask_b32_e32 v2, 0x7c00, v8, vcc_lo
	v_cmp_gt_i32_e32 vcc_lo, 31, v6
	v_lshrrev_b32_e32 v7, 16, v1
	s_delay_alu instid0(VALU_DEP_4) | instskip(SKIP_1) | instid1(VALU_DEP_2)
	v_cndmask_b32_e32 v3, 0x7c00, v3, vcc_lo
	v_cmp_eq_u32_e32 vcc_lo, 0x40f, v6
	v_cndmask_b32_e32 v2, v3, v2, vcc_lo
	s_delay_alu instid0(VALU_DEP_4) | instskip(NEXT) | instid1(VALU_DEP_1)
	v_and_b32_e32 v3, 0x8000, v7
	v_bitop3_b32 v2, v3, 0xffff, v2 bitop3:0xc8
	global_store_b32 v[4:5], v2, off
.LBB11_2641:
	s_mov_b32 s0, 0
.LBB11_2642:
	s_delay_alu instid0(SALU_CYCLE_1)
	s_and_not1_b32 vcc_lo, exec_lo, s0
	s_cbranch_vccnz .LBB11_2651
; %bb.2643:
	s_sext_i32_i16 s2, s1
	s_mov_b32 s0, -1
	s_cmp_lt_i32 s2, 6
	s_cbranch_scc1 .LBB11_2649
; %bb.2644:
	s_cmp_gt_i32 s2, 6
	s_cbranch_scc0 .LBB11_2646
; %bb.2645:
	s_mov_b32 s0, 0
	global_store_b64 v[4:5], v[0:1], off
.LBB11_2646:
	s_and_not1_b32 vcc_lo, exec_lo, s0
	s_cbranch_vccnz .LBB11_2648
; %bb.2647:
	s_wait_xcnt 0x0
	v_cvt_f32_f64_e32 v2, v[0:1]
	global_store_b32 v[4:5], v2, off
.LBB11_2648:
	s_mov_b32 s0, 0
.LBB11_2649:
	s_delay_alu instid0(SALU_CYCLE_1)
	s_and_not1_b32 vcc_lo, exec_lo, s0
	s_cbranch_vccnz .LBB11_2651
; %bb.2650:
	s_wait_xcnt 0x0
	v_and_or_b32 v2, 0x1ff, v1, v0
	v_lshrrev_b32_e32 v3, 8, v1
	v_bfe_u32 v6, v1, 20, 11
	s_delay_alu instid0(VALU_DEP_3) | instskip(NEXT) | instid1(VALU_DEP_2)
	v_cmp_ne_u32_e32 vcc_lo, 0, v2
	v_sub_nc_u32_e32 v7, 0x3f1, v6
	v_cndmask_b32_e64 v2, 0, 1, vcc_lo
	s_delay_alu instid0(VALU_DEP_1) | instskip(NEXT) | instid1(VALU_DEP_3)
	v_and_or_b32 v2, 0xffe, v3, v2
	v_med3_i32 v3, v7, 0, 13
	s_delay_alu instid0(VALU_DEP_2) | instskip(NEXT) | instid1(VALU_DEP_1)
	v_or_b32_e32 v7, 0x1000, v2
	v_lshrrev_b32_e32 v8, v3, v7
	s_delay_alu instid0(VALU_DEP_1) | instskip(NEXT) | instid1(VALU_DEP_1)
	v_lshlrev_b32_e32 v3, v3, v8
	v_cmp_ne_u32_e32 vcc_lo, v3, v7
	v_cndmask_b32_e64 v3, 0, 1, vcc_lo
	s_delay_alu instid0(VALU_DEP_1) | instskip(SKIP_1) | instid1(VALU_DEP_1)
	v_or_b32_e32 v3, v8, v3
	v_add_nc_u32_e32 v6, 0xfffffc10, v6
	v_lshl_or_b32 v7, v6, 12, v2
	v_cmp_gt_i32_e32 vcc_lo, 1, v6
	s_delay_alu instid0(VALU_DEP_2) | instskip(NEXT) | instid1(VALU_DEP_1)
	v_cndmask_b32_e32 v3, v7, v3, vcc_lo
	v_dual_lshrrev_b32 v3, 2, v3 :: v_dual_bitop2_b32 v7, 7, v3 bitop3:0x40
	s_delay_alu instid0(VALU_DEP_1) | instskip(SKIP_4) | instid1(VALU_DEP_2)
	v_cmp_lt_i32_e32 vcc_lo, 5, v7
	v_cndmask_b32_e64 v8, 0, 1, vcc_lo
	v_cmp_eq_u32_e32 vcc_lo, 3, v7
	v_cndmask_b32_e64 v7, 0, 1, vcc_lo
	v_cmp_ne_u32_e32 vcc_lo, 0, v2
	v_or_b32_e32 v7, v7, v8
	s_delay_alu instid0(VALU_DEP_1) | instskip(NEXT) | instid1(VALU_DEP_1)
	v_dual_mov_b32 v8, 0x7e00 :: v_dual_add_nc_u32 v3, v3, v7
	v_cndmask_b32_e32 v2, 0x7c00, v8, vcc_lo
	v_cmp_gt_i32_e32 vcc_lo, 31, v6
	s_delay_alu instid0(VALU_DEP_3) | instskip(SKIP_1) | instid1(VALU_DEP_2)
	v_cndmask_b32_e32 v3, 0x7c00, v3, vcc_lo
	v_cmp_eq_u32_e32 vcc_lo, 0x40f, v6
	v_dual_cndmask_b32 v2, v3, v2 :: v_dual_lshrrev_b32 v3, 16, v1
	s_delay_alu instid0(VALU_DEP_1)
	v_and_or_b32 v2, 0x8000, v3, v2
	global_store_b16 v[4:5], v2, off
.LBB11_2651:
	s_mov_b32 s0, 0
.LBB11_2652:
	s_delay_alu instid0(SALU_CYCLE_1)
	s_and_not1_b32 vcc_lo, exec_lo, s0
	s_cbranch_vccnz .LBB11_2668
; %bb.2653:
	s_sext_i32_i16 s2, s1
	s_mov_b32 s0, -1
	s_cmp_lt_i32 s2, 2
	s_cbranch_scc1 .LBB11_2663
; %bb.2654:
	s_cmp_lt_i32 s2, 3
	s_cbranch_scc1 .LBB11_2660
; %bb.2655:
	s_cmp_gt_i32 s2, 3
	s_cbranch_scc0 .LBB11_2657
; %bb.2656:
	s_wait_xcnt 0x0
	v_trunc_f64_e32 v[2:3], v[0:1]
	s_mov_b32 s0, 0
	s_delay_alu instid0(VALU_DEP_1) | instskip(NEXT) | instid1(VALU_DEP_1)
	v_ldexp_f64 v[6:7], v[2:3], 0xffffffe0
	v_floor_f64_e32 v[6:7], v[6:7]
	s_delay_alu instid0(VALU_DEP_1) | instskip(SKIP_1) | instid1(VALU_DEP_2)
	v_fmamk_f64 v[2:3], v[6:7], 0xc1f00000, v[2:3]
	v_cvt_i32_f64_e32 v7, v[6:7]
	v_cvt_u32_f64_e32 v6, v[2:3]
	global_store_b64 v[4:5], v[6:7], off
.LBB11_2657:
	s_and_not1_b32 vcc_lo, exec_lo, s0
	s_cbranch_vccnz .LBB11_2659
; %bb.2658:
	s_wait_xcnt 0x0
	v_cvt_i32_f64_e32 v2, v[0:1]
	global_store_b32 v[4:5], v2, off
.LBB11_2659:
	s_mov_b32 s0, 0
.LBB11_2660:
	s_delay_alu instid0(SALU_CYCLE_1)
	s_and_not1_b32 vcc_lo, exec_lo, s0
	s_cbranch_vccnz .LBB11_2662
; %bb.2661:
	s_wait_xcnt 0x0
	v_cvt_i32_f64_e32 v2, v[0:1]
	global_store_b16 v[4:5], v2, off
.LBB11_2662:
	s_mov_b32 s0, 0
.LBB11_2663:
	s_delay_alu instid0(SALU_CYCLE_1)
	s_and_not1_b32 vcc_lo, exec_lo, s0
	s_cbranch_vccnz .LBB11_2668
; %bb.2664:
	s_sext_i32_i16 s0, s1
	s_delay_alu instid0(SALU_CYCLE_1)
	s_cmp_gt_i32 s0, 0
	s_mov_b32 s0, -1
	s_cbranch_scc0 .LBB11_2666
; %bb.2665:
	s_wait_xcnt 0x0
	v_cvt_i32_f64_e32 v2, v[0:1]
	s_mov_b32 s0, 0
	global_store_b8 v[4:5], v2, off
.LBB11_2666:
	s_and_not1_b32 vcc_lo, exec_lo, s0
	s_cbranch_vccnz .LBB11_2668
; %bb.2667:
	s_wait_xcnt 0x0
	v_trunc_f64_e32 v[0:1], v[0:1]
	s_delay_alu instid0(VALU_DEP_1) | instskip(NEXT) | instid1(VALU_DEP_1)
	v_ldexp_f64 v[2:3], v[0:1], 0xffffffe0
	v_floor_f64_e32 v[2:3], v[2:3]
	s_delay_alu instid0(VALU_DEP_1) | instskip(NEXT) | instid1(VALU_DEP_1)
	v_fmamk_f64 v[0:1], v[2:3], 0xc1f00000, v[0:1]
	v_cvt_u32_f64_e32 v0, v[0:1]
	global_store_b8 v[4:5], v0, off
	s_endpgm
.LBB11_2668:
	s_endpgm
.LBB11_2669:
	s_mov_b32 s0, -1
                                        ; implicit-def: $vgpr0_vgpr1
.LBB11_2670:
	s_delay_alu instid0(SALU_CYCLE_1)
	s_and_not1_b32 vcc_lo, exec_lo, s0
	s_cbranch_vccnz .LBB11_2672
; %bb.2671:
	s_wait_loadcnt 0x0
	s_delay_alu instid0(VALU_DEP_4) | instskip(NEXT) | instid1(VALU_DEP_2)
	v_dual_mov_b32 v0, v44 :: v_dual_mov_b32 v1, v45
	v_dual_mov_b32 v2, v46 :: v_dual_mov_b32 v3, v47
	s_get_pc_i64 s[0:1]
	s_add_nc_u64 s[0:1], s[0:1], _ZN12_GLOBAL__N_112calc_igammacIdEET_S1_S1_@rel64+4
	s_delay_alu instid0(SALU_CYCLE_1)
	s_swap_pc_i64 s[30:31], s[0:1]
.LBB11_2672:
	v_mul_lo_u32 v2, s44, v72
	s_and_b32 s1, s48, 0xff
	s_delay_alu instid0(SALU_CYCLE_1) | instskip(NEXT) | instid1(VALU_DEP_1)
	s_cmp_lt_i32 s1, 11
	v_ashrrev_i32_e32 v3, 31, v2
	s_delay_alu instid0(VALU_DEP_1)
	v_add_nc_u64_e32 v[4:5], s[36:37], v[2:3]
	s_cbranch_scc1 .LBB11_2750
; %bb.2673:
	s_and_b32 s2, 0xffff, s1
	s_mov_b32 s5, -1
	s_mov_b32 s3, 0
	s_cmp_gt_i32 s2, 25
	s_mov_b32 s4, 0
	s_mov_b32 s0, 0
	s_cbranch_scc0 .LBB11_2706
; %bb.2674:
	s_cmp_gt_i32 s2, 28
	s_cbranch_scc0 .LBB11_2689
; %bb.2675:
	s_cmp_gt_i32 s2, 43
	;; [unrolled: 3-line block ×3, first 2 shown]
	s_cbranch_scc0 .LBB11_2679
; %bb.2677:
	s_mov_b32 s0, -1
	s_mov_b32 s5, 0
	s_cmp_eq_u32 s2, 46
	s_cbranch_scc0 .LBB11_2679
; %bb.2678:
	s_wait_loadcnt 0x0
	v_cvt_f32_f64_e32 v3, v[42:43]
	s_mov_b32 s0, 0
	s_mov_b32 s4, -1
	s_delay_alu instid0(VALU_DEP_1) | instskip(SKIP_1) | instid1(VALU_DEP_2)
	v_bfe_u32 v6, v3, 16, 1
	v_cmp_o_f32_e32 vcc_lo, v3, v3
	v_add3_u32 v6, v3, v6, 0x7fff
	s_delay_alu instid0(VALU_DEP_1) | instskip(NEXT) | instid1(VALU_DEP_1)
	v_lshrrev_b32_e32 v6, 16, v6
	v_cndmask_b32_e32 v3, 0x7fc0, v6, vcc_lo
	global_store_b32 v[4:5], v3, off
.LBB11_2679:
	s_and_b32 vcc_lo, exec_lo, s5
	s_cbranch_vccz .LBB11_2684
; %bb.2680:
	s_cmp_eq_u32 s2, 44
	s_mov_b32 s0, -1
	s_cbranch_scc0 .LBB11_2684
; %bb.2681:
	s_wait_loadcnt 0x0
	v_cvt_f32_f64_e32 v3, v[42:43]
	v_mov_b32_e32 v6, 0xff
	s_mov_b32 s4, exec_lo
	s_delay_alu instid0(VALU_DEP_2) | instskip(NEXT) | instid1(VALU_DEP_1)
	v_bfe_u32 v7, v3, 23, 8
	v_cmpx_ne_u32_e32 0xff, v7
	s_cbranch_execz .LBB11_2683
; %bb.2682:
	v_and_b32_e32 v6, 0x400000, v3
	v_and_or_b32 v7, 0x3fffff, v3, v7
	v_lshrrev_b32_e32 v3, 23, v3
	s_delay_alu instid0(VALU_DEP_3) | instskip(NEXT) | instid1(VALU_DEP_3)
	v_cmp_ne_u32_e32 vcc_lo, 0, v6
	v_cmp_ne_u32_e64 s0, 0, v7
	s_and_b32 s0, vcc_lo, s0
	s_delay_alu instid0(SALU_CYCLE_1) | instskip(NEXT) | instid1(VALU_DEP_1)
	v_cndmask_b32_e64 v6, 0, 1, s0
	v_add_nc_u32_e32 v6, v3, v6
.LBB11_2683:
	s_or_b32 exec_lo, exec_lo, s4
	s_mov_b32 s0, 0
	s_mov_b32 s4, -1
	global_store_b8 v[4:5], v6, off
.LBB11_2684:
	s_mov_b32 s5, 0
.LBB11_2685:
	s_delay_alu instid0(SALU_CYCLE_1)
	s_and_b32 vcc_lo, exec_lo, s5
	s_cbranch_vccz .LBB11_2688
; %bb.2686:
	s_cmp_eq_u32 s2, 29
	s_mov_b32 s0, -1
	s_cbranch_scc0 .LBB11_2688
; %bb.2687:
	s_wait_loadcnt 0x0
	v_trunc_f64_e32 v[6:7], v[42:43]
	s_mov_b32 s0, 0
	s_mov_b32 s4, -1
	s_delay_alu instid0(VALU_DEP_1) | instskip(NEXT) | instid1(VALU_DEP_1)
	v_ldexp_f64 v[8:9], v[6:7], 0xffffffe0
	v_floor_f64_e32 v[8:9], v[8:9]
	s_delay_alu instid0(VALU_DEP_1) | instskip(SKIP_1) | instid1(VALU_DEP_2)
	v_fmamk_f64 v[6:7], v[8:9], 0xc1f00000, v[6:7]
	v_cvt_u32_f64_e32 v9, v[8:9]
	v_cvt_u32_f64_e32 v8, v[6:7]
	global_store_b64 v[4:5], v[8:9], off
.LBB11_2688:
	s_mov_b32 s5, 0
.LBB11_2689:
	s_delay_alu instid0(SALU_CYCLE_1)
	s_and_b32 vcc_lo, exec_lo, s5
	s_cbranch_vccz .LBB11_2705
; %bb.2690:
	s_cmp_lt_i32 s2, 27
	s_mov_b32 s4, -1
	s_cbranch_scc1 .LBB11_2696
; %bb.2691:
	s_wait_loadcnt 0x0
	v_cvt_u32_f64_e32 v3, v[42:43]
	s_cmp_gt_i32 s2, 27
	s_cbranch_scc0 .LBB11_2693
; %bb.2692:
	s_mov_b32 s4, 0
	global_store_b32 v[4:5], v3, off
.LBB11_2693:
	s_and_not1_b32 vcc_lo, exec_lo, s4
	s_cbranch_vccnz .LBB11_2695
; %bb.2694:
	global_store_b16 v[4:5], v3, off
.LBB11_2695:
	s_mov_b32 s4, 0
.LBB11_2696:
	s_delay_alu instid0(SALU_CYCLE_1)
	s_and_not1_b32 vcc_lo, exec_lo, s4
	s_cbranch_vccnz .LBB11_2704
; %bb.2697:
	s_wait_loadcnt 0x0
	v_cvt_f32_f64_e32 v3, v[42:43]
	v_mov_b32_e32 v7, 0x80
	s_mov_b32 s4, exec_lo
	s_delay_alu instid0(VALU_DEP_2) | instskip(NEXT) | instid1(VALU_DEP_1)
	v_and_b32_e32 v6, 0x7fffffff, v3
	v_cmpx_gt_u32_e32 0x43800000, v6
	s_cbranch_execz .LBB11_2703
; %bb.2698:
	v_cmp_lt_u32_e32 vcc_lo, 0x3bffffff, v6
	s_mov_b32 s5, 0
                                        ; implicit-def: $vgpr6
	s_and_saveexec_b32 s6, vcc_lo
	s_delay_alu instid0(SALU_CYCLE_1)
	s_xor_b32 s6, exec_lo, s6
	s_cbranch_execz .LBB11_3108
; %bb.2699:
	v_bfe_u32 v6, v3, 20, 1
	s_mov_b32 s5, exec_lo
	s_delay_alu instid0(VALU_DEP_1) | instskip(NEXT) | instid1(VALU_DEP_1)
	v_add3_u32 v6, v3, v6, 0x487ffff
	v_lshrrev_b32_e32 v6, 20, v6
	s_and_not1_saveexec_b32 s6, s6
	s_cbranch_execnz .LBB11_3109
.LBB11_2700:
	s_or_b32 exec_lo, exec_lo, s6
	v_mov_b32_e32 v7, 0
	s_and_saveexec_b32 s6, s5
.LBB11_2701:
	v_lshrrev_b32_e32 v3, 24, v3
	s_delay_alu instid0(VALU_DEP_1)
	v_and_or_b32 v7, 0x80, v3, v6
.LBB11_2702:
	s_or_b32 exec_lo, exec_lo, s6
.LBB11_2703:
	s_delay_alu instid0(SALU_CYCLE_1)
	s_or_b32 exec_lo, exec_lo, s4
	global_store_b8 v[4:5], v7, off
.LBB11_2704:
	s_mov_b32 s4, -1
.LBB11_2705:
	s_mov_b32 s5, 0
.LBB11_2706:
	s_delay_alu instid0(SALU_CYCLE_1)
	s_and_b32 vcc_lo, exec_lo, s5
	s_cbranch_vccz .LBB11_2746
; %bb.2707:
	s_cmp_gt_i32 s2, 22
	s_mov_b32 s3, -1
	s_cbranch_scc0 .LBB11_2739
; %bb.2708:
	s_cmp_lt_i32 s2, 24
	s_cbranch_scc1 .LBB11_2728
; %bb.2709:
	s_cmp_gt_i32 s2, 24
	s_cbranch_scc0 .LBB11_2717
; %bb.2710:
	s_wait_loadcnt 0x0
	v_cvt_f32_f64_e32 v3, v[42:43]
	v_mov_b32_e32 v7, 0x80
	s_mov_b32 s3, exec_lo
	s_delay_alu instid0(VALU_DEP_2) | instskip(NEXT) | instid1(VALU_DEP_1)
	v_and_b32_e32 v6, 0x7fffffff, v3
	v_cmpx_gt_u32_e32 0x47800000, v6
	s_cbranch_execz .LBB11_2716
; %bb.2711:
	v_cmp_lt_u32_e32 vcc_lo, 0x37ffffff, v6
	s_mov_b32 s4, 0
                                        ; implicit-def: $vgpr6
	s_and_saveexec_b32 s5, vcc_lo
	s_delay_alu instid0(SALU_CYCLE_1)
	s_xor_b32 s5, exec_lo, s5
	s_cbranch_execz .LBB11_3111
; %bb.2712:
	v_bfe_u32 v6, v3, 21, 1
	s_mov_b32 s4, exec_lo
	s_delay_alu instid0(VALU_DEP_1) | instskip(NEXT) | instid1(VALU_DEP_1)
	v_add3_u32 v6, v3, v6, 0x88fffff
	v_lshrrev_b32_e32 v6, 21, v6
	s_and_not1_saveexec_b32 s5, s5
	s_cbranch_execnz .LBB11_3112
.LBB11_2713:
	s_or_b32 exec_lo, exec_lo, s5
	v_mov_b32_e32 v7, 0
	s_and_saveexec_b32 s5, s4
.LBB11_2714:
	v_lshrrev_b32_e32 v3, 24, v3
	s_delay_alu instid0(VALU_DEP_1)
	v_and_or_b32 v7, 0x80, v3, v6
.LBB11_2715:
	s_or_b32 exec_lo, exec_lo, s5
.LBB11_2716:
	s_delay_alu instid0(SALU_CYCLE_1)
	s_or_b32 exec_lo, exec_lo, s3
	s_mov_b32 s3, 0
	global_store_b8 v[4:5], v7, off
.LBB11_2717:
	s_and_b32 vcc_lo, exec_lo, s3
	s_cbranch_vccz .LBB11_2727
; %bb.2718:
	s_wait_loadcnt 0x0
	v_cvt_f32_f64_e32 v3, v[42:43]
	s_mov_b32 s3, exec_lo
                                        ; implicit-def: $vgpr6
	s_delay_alu instid0(VALU_DEP_1) | instskip(NEXT) | instid1(VALU_DEP_1)
	v_and_b32_e32 v7, 0x7fffffff, v3
	v_cmpx_gt_u32_e32 0x43f00000, v7
	s_xor_b32 s3, exec_lo, s3
	s_cbranch_execz .LBB11_2724
; %bb.2719:
	s_mov_b32 s4, exec_lo
                                        ; implicit-def: $vgpr6
	v_cmpx_lt_u32_e32 0x3c7fffff, v7
	s_xor_b32 s4, exec_lo, s4
; %bb.2720:
	v_bfe_u32 v6, v3, 20, 1
	s_delay_alu instid0(VALU_DEP_1) | instskip(NEXT) | instid1(VALU_DEP_1)
	v_add3_u32 v6, v3, v6, 0x407ffff
	v_and_b32_e32 v7, 0xff00000, v6
	v_lshrrev_b32_e32 v6, 20, v6
	s_delay_alu instid0(VALU_DEP_2) | instskip(NEXT) | instid1(VALU_DEP_2)
	v_cmp_ne_u32_e32 vcc_lo, 0x7f00000, v7
	v_cndmask_b32_e32 v6, 0x7e, v6, vcc_lo
; %bb.2721:
	s_and_not1_saveexec_b32 s4, s4
; %bb.2722:
	v_add_f32_e64 v6, 0x46800000, |v3|
; %bb.2723:
	s_or_b32 exec_lo, exec_lo, s4
                                        ; implicit-def: $vgpr7
.LBB11_2724:
	s_and_not1_saveexec_b32 s3, s3
; %bb.2725:
	v_mov_b32_e32 v6, 0x7f
	v_cmp_lt_u32_e32 vcc_lo, 0x7f800000, v7
	s_delay_alu instid0(VALU_DEP_2)
	v_cndmask_b32_e32 v6, 0x7e, v6, vcc_lo
; %bb.2726:
	s_or_b32 exec_lo, exec_lo, s3
	v_lshrrev_b32_e32 v3, 24, v3
	s_delay_alu instid0(VALU_DEP_1)
	v_and_or_b32 v3, 0x80, v3, v6
	global_store_b8 v[4:5], v3, off
.LBB11_2727:
	s_mov_b32 s3, 0
.LBB11_2728:
	s_delay_alu instid0(SALU_CYCLE_1)
	s_and_not1_b32 vcc_lo, exec_lo, s3
	s_cbranch_vccnz .LBB11_2738
; %bb.2729:
	s_wait_loadcnt 0x0
	v_cvt_f32_f64_e32 v3, v[42:43]
	s_mov_b32 s3, exec_lo
                                        ; implicit-def: $vgpr6
	s_delay_alu instid0(VALU_DEP_1) | instskip(NEXT) | instid1(VALU_DEP_1)
	v_and_b32_e32 v7, 0x7fffffff, v3
	v_cmpx_gt_u32_e32 0x47800000, v7
	s_xor_b32 s3, exec_lo, s3
	s_cbranch_execz .LBB11_2735
; %bb.2730:
	s_mov_b32 s4, exec_lo
                                        ; implicit-def: $vgpr6
	v_cmpx_lt_u32_e32 0x387fffff, v7
	s_xor_b32 s4, exec_lo, s4
; %bb.2731:
	v_bfe_u32 v6, v3, 21, 1
	s_delay_alu instid0(VALU_DEP_1) | instskip(NEXT) | instid1(VALU_DEP_1)
	v_add3_u32 v6, v3, v6, 0x80fffff
	v_lshrrev_b32_e32 v6, 21, v6
; %bb.2732:
	s_and_not1_saveexec_b32 s4, s4
; %bb.2733:
	v_add_f32_e64 v6, 0x43000000, |v3|
; %bb.2734:
	s_or_b32 exec_lo, exec_lo, s4
                                        ; implicit-def: $vgpr7
.LBB11_2735:
	s_and_not1_saveexec_b32 s3, s3
; %bb.2736:
	v_mov_b32_e32 v6, 0x7f
	v_cmp_lt_u32_e32 vcc_lo, 0x7f800000, v7
	s_delay_alu instid0(VALU_DEP_2)
	v_cndmask_b32_e32 v6, 0x7c, v6, vcc_lo
; %bb.2737:
	s_or_b32 exec_lo, exec_lo, s3
	v_lshrrev_b32_e32 v3, 24, v3
	s_delay_alu instid0(VALU_DEP_1)
	v_and_or_b32 v3, 0x80, v3, v6
	global_store_b8 v[4:5], v3, off
.LBB11_2738:
	s_mov_b32 s3, 0
	s_mov_b32 s4, -1
.LBB11_2739:
	s_and_not1_b32 vcc_lo, exec_lo, s3
	s_mov_b32 s3, 0
	s_cbranch_vccnz .LBB11_2746
; %bb.2740:
	s_cmp_gt_i32 s2, 14
	s_mov_b32 s3, -1
	s_cbranch_scc0 .LBB11_2744
; %bb.2741:
	s_cmp_eq_u32 s2, 15
	s_mov_b32 s0, -1
	s_cbranch_scc0 .LBB11_2743
; %bb.2742:
	s_wait_loadcnt 0x0
	v_cvt_f32_f64_e32 v3, v[42:43]
	s_mov_b32 s0, 0
	s_mov_b32 s4, -1
	s_delay_alu instid0(VALU_DEP_1) | instskip(SKIP_1) | instid1(VALU_DEP_2)
	v_bfe_u32 v6, v3, 16, 1
	v_cmp_o_f32_e32 vcc_lo, v3, v3
	v_add3_u32 v6, v3, v6, 0x7fff
	s_delay_alu instid0(VALU_DEP_1) | instskip(NEXT) | instid1(VALU_DEP_1)
	v_lshrrev_b32_e32 v6, 16, v6
	v_cndmask_b32_e32 v3, 0x7fc0, v6, vcc_lo
	global_store_b16 v[4:5], v3, off
.LBB11_2743:
	s_mov_b32 s3, 0
.LBB11_2744:
	s_delay_alu instid0(SALU_CYCLE_1)
	s_and_b32 vcc_lo, exec_lo, s3
	s_mov_b32 s3, 0
	s_cbranch_vccz .LBB11_2746
; %bb.2745:
	s_cmp_lg_u32 s2, 11
	s_mov_b32 s3, -1
	s_cselect_b32 s0, -1, 0
.LBB11_2746:
	s_delay_alu instid0(SALU_CYCLE_1)
	s_and_b32 vcc_lo, exec_lo, s0
	s_cbranch_vccnz .LBB11_3110
; %bb.2747:
	s_and_not1_b32 vcc_lo, exec_lo, s3
	s_cbranch_vccnz .LBB11_2749
.LBB11_2748:
	s_wait_loadcnt 0x0
	v_cmp_neq_f64_e32 vcc_lo, 0, v[42:43]
	s_mov_b32 s4, -1
	s_wait_xcnt 0x0
	v_cndmask_b32_e64 v3, 0, 1, vcc_lo
	global_store_b8 v[4:5], v3, off
.LBB11_2749:
	s_mov_b32 s0, 0
	s_branch .LBB11_2751
.LBB11_2750:
	s_mov_b32 s0, -1
	s_mov_b32 s4, 0
.LBB11_2751:
	s_and_b32 vcc_lo, exec_lo, s0
	s_cbranch_vccz .LBB11_2790
; %bb.2752:
	s_and_b32 s0, 0xffff, s1
	s_mov_b32 s2, -1
	s_cmp_lt_i32 s0, 5
	s_cbranch_scc1 .LBB11_2773
; %bb.2753:
	s_cmp_lt_i32 s0, 8
	s_cbranch_scc1 .LBB11_2763
; %bb.2754:
	;; [unrolled: 3-line block ×3, first 2 shown]
	s_cmp_gt_i32 s0, 9
	s_cbranch_scc0 .LBB11_2757
; %bb.2756:
	s_wait_loadcnt 0x0
	v_mov_b32_e32 v44, 0
	s_mov_b32 s2, 0
	s_delay_alu instid0(VALU_DEP_1)
	v_mov_b32_e32 v45, v44
	global_store_b128 v[4:5], v[42:45], off
.LBB11_2757:
	s_and_not1_b32 vcc_lo, exec_lo, s2
	s_cbranch_vccnz .LBB11_2759
; %bb.2758:
	s_wait_loadcnt 0x0
	v_cvt_f32_f64_e32 v6, v[42:43]
	v_mov_b32_e32 v7, 0
	global_store_b64 v[4:5], v[6:7], off
.LBB11_2759:
	s_mov_b32 s2, 0
.LBB11_2760:
	s_delay_alu instid0(SALU_CYCLE_1)
	s_and_not1_b32 vcc_lo, exec_lo, s2
	s_cbranch_vccnz .LBB11_2762
; %bb.2761:
	s_wait_loadcnt 0x0
	v_and_or_b32 v3, 0x1ff, v43, v42
	v_lshrrev_b32_e32 v6, 8, v43
	v_bfe_u32 v7, v43, 20, 11
	s_delay_alu instid0(VALU_DEP_3) | instskip(NEXT) | instid1(VALU_DEP_2)
	v_cmp_ne_u32_e32 vcc_lo, 0, v3
	v_sub_nc_u32_e32 v8, 0x3f1, v7
	v_add_nc_u32_e32 v7, 0xfffffc10, v7
	v_cndmask_b32_e64 v3, 0, 1, vcc_lo
	s_delay_alu instid0(VALU_DEP_1) | instskip(NEXT) | instid1(VALU_DEP_4)
	v_and_or_b32 v3, 0xffe, v6, v3
	v_med3_i32 v6, v8, 0, 13
	s_delay_alu instid0(VALU_DEP_2) | instskip(NEXT) | instid1(VALU_DEP_1)
	v_or_b32_e32 v8, 0x1000, v3
	v_lshrrev_b32_e32 v9, v6, v8
	s_delay_alu instid0(VALU_DEP_1) | instskip(NEXT) | instid1(VALU_DEP_1)
	v_lshlrev_b32_e32 v6, v6, v9
	v_cmp_ne_u32_e32 vcc_lo, v6, v8
	v_lshl_or_b32 v8, v7, 12, v3
	v_cndmask_b32_e64 v6, 0, 1, vcc_lo
	v_cmp_gt_i32_e32 vcc_lo, 1, v7
	s_delay_alu instid0(VALU_DEP_2) | instskip(NEXT) | instid1(VALU_DEP_1)
	v_or_b32_e32 v6, v9, v6
	v_cndmask_b32_e32 v6, v8, v6, vcc_lo
	s_delay_alu instid0(VALU_DEP_1) | instskip(NEXT) | instid1(VALU_DEP_1)
	v_dual_lshrrev_b32 v6, 2, v6 :: v_dual_bitop2_b32 v8, 7, v6 bitop3:0x40
	v_cmp_lt_i32_e32 vcc_lo, 5, v8
	v_cndmask_b32_e64 v9, 0, 1, vcc_lo
	v_cmp_eq_u32_e32 vcc_lo, 3, v8
	v_cndmask_b32_e64 v8, 0, 1, vcc_lo
	v_cmp_ne_u32_e32 vcc_lo, 0, v3
	s_delay_alu instid0(VALU_DEP_2) | instskip(NEXT) | instid1(VALU_DEP_1)
	v_or_b32_e32 v8, v8, v9
	v_dual_mov_b32 v9, 0x7e00 :: v_dual_add_nc_u32 v6, v6, v8
	s_delay_alu instid0(VALU_DEP_1) | instskip(SKIP_2) | instid1(VALU_DEP_4)
	v_cndmask_b32_e32 v3, 0x7c00, v9, vcc_lo
	v_cmp_gt_i32_e32 vcc_lo, 31, v7
	v_lshrrev_b32_e32 v8, 16, v43
	v_cndmask_b32_e32 v6, 0x7c00, v6, vcc_lo
	v_cmp_eq_u32_e32 vcc_lo, 0x40f, v7
	s_delay_alu instid0(VALU_DEP_2) | instskip(NEXT) | instid1(VALU_DEP_4)
	v_cndmask_b32_e32 v3, v6, v3, vcc_lo
	v_and_b32_e32 v6, 0x8000, v8
	s_delay_alu instid0(VALU_DEP_1)
	v_bitop3_b32 v3, v6, 0xffff, v3 bitop3:0xc8
	global_store_b32 v[4:5], v3, off
.LBB11_2762:
	s_mov_b32 s2, 0
.LBB11_2763:
	s_delay_alu instid0(SALU_CYCLE_1)
	s_and_not1_b32 vcc_lo, exec_lo, s2
	s_cbranch_vccnz .LBB11_2772
; %bb.2764:
	s_cmp_lt_i32 s0, 6
	s_mov_b32 s2, -1
	s_cbranch_scc1 .LBB11_2770
; %bb.2765:
	s_cmp_gt_i32 s0, 6
	s_cbranch_scc0 .LBB11_2767
; %bb.2766:
	s_mov_b32 s2, 0
	s_wait_loadcnt 0x0
	global_store_b64 v[4:5], v[42:43], off
.LBB11_2767:
	s_and_not1_b32 vcc_lo, exec_lo, s2
	s_cbranch_vccnz .LBB11_2769
; %bb.2768:
	s_wait_loadcnt 0x0
	v_cvt_f32_f64_e32 v3, v[42:43]
	global_store_b32 v[4:5], v3, off
.LBB11_2769:
	s_mov_b32 s2, 0
.LBB11_2770:
	s_delay_alu instid0(SALU_CYCLE_1)
	s_and_not1_b32 vcc_lo, exec_lo, s2
	s_cbranch_vccnz .LBB11_2772
; %bb.2771:
	s_wait_loadcnt 0x0
	v_and_or_b32 v3, 0x1ff, v43, v42
	v_lshrrev_b32_e32 v6, 8, v43
	v_bfe_u32 v7, v43, 20, 11
	s_delay_alu instid0(VALU_DEP_3) | instskip(NEXT) | instid1(VALU_DEP_2)
	v_cmp_ne_u32_e32 vcc_lo, 0, v3
	v_sub_nc_u32_e32 v8, 0x3f1, v7
	v_add_nc_u32_e32 v7, 0xfffffc10, v7
	v_cndmask_b32_e64 v3, 0, 1, vcc_lo
	s_delay_alu instid0(VALU_DEP_1) | instskip(NEXT) | instid1(VALU_DEP_4)
	v_and_or_b32 v3, 0xffe, v6, v3
	v_med3_i32 v6, v8, 0, 13
	s_delay_alu instid0(VALU_DEP_2) | instskip(NEXT) | instid1(VALU_DEP_1)
	v_or_b32_e32 v8, 0x1000, v3
	v_lshrrev_b32_e32 v9, v6, v8
	s_delay_alu instid0(VALU_DEP_1) | instskip(NEXT) | instid1(VALU_DEP_1)
	v_lshlrev_b32_e32 v6, v6, v9
	v_cmp_ne_u32_e32 vcc_lo, v6, v8
	v_lshl_or_b32 v8, v7, 12, v3
	v_cndmask_b32_e64 v6, 0, 1, vcc_lo
	v_cmp_gt_i32_e32 vcc_lo, 1, v7
	s_delay_alu instid0(VALU_DEP_2) | instskip(NEXT) | instid1(VALU_DEP_1)
	v_or_b32_e32 v6, v9, v6
	v_cndmask_b32_e32 v6, v8, v6, vcc_lo
	s_delay_alu instid0(VALU_DEP_1) | instskip(NEXT) | instid1(VALU_DEP_1)
	v_dual_lshrrev_b32 v6, 2, v6 :: v_dual_bitop2_b32 v8, 7, v6 bitop3:0x40
	v_cmp_lt_i32_e32 vcc_lo, 5, v8
	v_cndmask_b32_e64 v9, 0, 1, vcc_lo
	v_cmp_eq_u32_e32 vcc_lo, 3, v8
	v_cndmask_b32_e64 v8, 0, 1, vcc_lo
	v_cmp_ne_u32_e32 vcc_lo, 0, v3
	s_delay_alu instid0(VALU_DEP_2) | instskip(NEXT) | instid1(VALU_DEP_1)
	v_or_b32_e32 v8, v8, v9
	v_dual_mov_b32 v9, 0x7e00 :: v_dual_add_nc_u32 v6, v6, v8
	s_delay_alu instid0(VALU_DEP_1) | instskip(SKIP_1) | instid1(VALU_DEP_3)
	v_cndmask_b32_e32 v3, 0x7c00, v9, vcc_lo
	v_cmp_gt_i32_e32 vcc_lo, 31, v7
	v_cndmask_b32_e32 v6, 0x7c00, v6, vcc_lo
	v_cmp_eq_u32_e32 vcc_lo, 0x40f, v7
	s_delay_alu instid0(VALU_DEP_2) | instskip(SKIP_1) | instid1(VALU_DEP_1)
	v_cndmask_b32_e32 v3, v6, v3, vcc_lo
	v_lshrrev_b32_e32 v6, 16, v43
	v_and_or_b32 v3, 0x8000, v6, v3
	global_store_b16 v[4:5], v3, off
.LBB11_2772:
	s_mov_b32 s2, 0
.LBB11_2773:
	s_delay_alu instid0(SALU_CYCLE_1)
	s_and_not1_b32 vcc_lo, exec_lo, s2
	s_cbranch_vccnz .LBB11_2789
; %bb.2774:
	s_cmp_lt_i32 s0, 2
	s_mov_b32 s2, -1
	s_cbranch_scc1 .LBB11_2784
; %bb.2775:
	s_cmp_lt_i32 s0, 3
	s_cbranch_scc1 .LBB11_2781
; %bb.2776:
	s_cmp_gt_i32 s0, 3
	s_cbranch_scc0 .LBB11_2778
; %bb.2777:
	s_wait_loadcnt 0x0
	v_trunc_f64_e32 v[6:7], v[42:43]
	s_mov_b32 s2, 0
	s_delay_alu instid0(VALU_DEP_1) | instskip(NEXT) | instid1(VALU_DEP_1)
	v_ldexp_f64 v[8:9], v[6:7], 0xffffffe0
	v_floor_f64_e32 v[8:9], v[8:9]
	s_delay_alu instid0(VALU_DEP_1) | instskip(SKIP_1) | instid1(VALU_DEP_2)
	v_fmamk_f64 v[6:7], v[8:9], 0xc1f00000, v[6:7]
	v_cvt_i32_f64_e32 v9, v[8:9]
	v_cvt_u32_f64_e32 v8, v[6:7]
	global_store_b64 v[4:5], v[8:9], off
.LBB11_2778:
	s_and_not1_b32 vcc_lo, exec_lo, s2
	s_cbranch_vccnz .LBB11_2780
; %bb.2779:
	s_wait_loadcnt 0x0
	v_cvt_i32_f64_e32 v3, v[42:43]
	global_store_b32 v[4:5], v3, off
.LBB11_2780:
	s_mov_b32 s2, 0
.LBB11_2781:
	s_delay_alu instid0(SALU_CYCLE_1)
	s_and_not1_b32 vcc_lo, exec_lo, s2
	s_cbranch_vccnz .LBB11_2783
; %bb.2782:
	s_wait_loadcnt 0x0
	v_cvt_i32_f64_e32 v3, v[42:43]
	global_store_b16 v[4:5], v3, off
.LBB11_2783:
	s_mov_b32 s2, 0
.LBB11_2784:
	s_delay_alu instid0(SALU_CYCLE_1)
	s_and_not1_b32 vcc_lo, exec_lo, s2
	s_cbranch_vccnz .LBB11_2789
; %bb.2785:
	s_cmp_gt_i32 s0, 0
	s_mov_b32 s0, -1
	s_cbranch_scc0 .LBB11_2787
; %bb.2786:
	s_wait_loadcnt 0x0
	v_cvt_i32_f64_e32 v3, v[42:43]
	s_mov_b32 s0, 0
	global_store_b8 v[4:5], v3, off
.LBB11_2787:
	s_and_not1_b32 vcc_lo, exec_lo, s0
	s_cbranch_vccnz .LBB11_2789
; %bb.2788:
	s_wait_loadcnt 0x0
	v_trunc_f64_e32 v[6:7], v[42:43]
	s_delay_alu instid0(VALU_DEP_1) | instskip(NEXT) | instid1(VALU_DEP_1)
	v_ldexp_f64 v[8:9], v[6:7], 0xffffffe0
	v_floor_f64_e32 v[8:9], v[8:9]
	s_delay_alu instid0(VALU_DEP_1) | instskip(NEXT) | instid1(VALU_DEP_1)
	v_fmamk_f64 v[6:7], v[8:9], 0xc1f00000, v[6:7]
	v_cvt_u32_f64_e32 v3, v[6:7]
	global_store_b8 v[4:5], v3, off
.LBB11_2789:
	s_mov_b32 s4, -1
.LBB11_2790:
	s_delay_alu instid0(SALU_CYCLE_1)
	s_and_not1_b32 vcc_lo, exec_lo, s4
	s_cbranch_vccnz .LBB11_3105
; %bb.2791:
	s_lshl_b32 s2, s44, 7
	s_cmp_lt_i32 s1, 11
	v_add_nc_u32_e32 v2, s2, v2
	s_wait_xcnt 0x0
	s_delay_alu instid0(VALU_DEP_1) | instskip(NEXT) | instid1(VALU_DEP_1)
	v_ashrrev_i32_e32 v3, 31, v2
	v_add_nc_u64_e32 v[4:5], s[36:37], v[2:3]
	s_cbranch_scc1 .LBB11_2869
; %bb.2792:
	s_and_b32 s3, 0xffff, s1
	s_mov_b32 s6, -1
	s_mov_b32 s4, 0
	s_cmp_gt_i32 s3, 25
	s_mov_b32 s5, 0
	s_mov_b32 s0, 0
	s_cbranch_scc0 .LBB11_2825
; %bb.2793:
	s_cmp_gt_i32 s3, 28
	s_cbranch_scc0 .LBB11_2808
; %bb.2794:
	s_cmp_gt_i32 s3, 43
	;; [unrolled: 3-line block ×3, first 2 shown]
	s_cbranch_scc0 .LBB11_2798
; %bb.2796:
	s_mov_b32 s0, -1
	s_mov_b32 s6, 0
	s_cmp_eq_u32 s3, 46
	s_cbranch_scc0 .LBB11_2798
; %bb.2797:
	v_cvt_f32_f64_e32 v3, v[56:57]
	s_mov_b32 s0, 0
	s_mov_b32 s5, -1
	s_delay_alu instid0(VALU_DEP_1) | instskip(SKIP_1) | instid1(VALU_DEP_2)
	v_bfe_u32 v6, v3, 16, 1
	v_cmp_o_f32_e32 vcc_lo, v3, v3
	v_add3_u32 v6, v3, v6, 0x7fff
	s_delay_alu instid0(VALU_DEP_1) | instskip(NEXT) | instid1(VALU_DEP_1)
	v_lshrrev_b32_e32 v6, 16, v6
	v_cndmask_b32_e32 v3, 0x7fc0, v6, vcc_lo
	global_store_b32 v[4:5], v3, off
.LBB11_2798:
	s_and_b32 vcc_lo, exec_lo, s6
	s_cbranch_vccz .LBB11_2803
; %bb.2799:
	s_cmp_eq_u32 s3, 44
	s_mov_b32 s0, -1
	s_cbranch_scc0 .LBB11_2803
; %bb.2800:
	s_wait_xcnt 0x0
	v_cvt_f32_f64_e32 v3, v[56:57]
	v_mov_b32_e32 v6, 0xff
	s_mov_b32 s5, exec_lo
	s_delay_alu instid0(VALU_DEP_2) | instskip(NEXT) | instid1(VALU_DEP_1)
	v_bfe_u32 v7, v3, 23, 8
	v_cmpx_ne_u32_e32 0xff, v7
	s_cbranch_execz .LBB11_2802
; %bb.2801:
	v_and_b32_e32 v6, 0x400000, v3
	v_and_or_b32 v7, 0x3fffff, v3, v7
	v_lshrrev_b32_e32 v3, 23, v3
	s_delay_alu instid0(VALU_DEP_3) | instskip(NEXT) | instid1(VALU_DEP_3)
	v_cmp_ne_u32_e32 vcc_lo, 0, v6
	v_cmp_ne_u32_e64 s0, 0, v7
	s_and_b32 s0, vcc_lo, s0
	s_delay_alu instid0(SALU_CYCLE_1) | instskip(NEXT) | instid1(VALU_DEP_1)
	v_cndmask_b32_e64 v6, 0, 1, s0
	v_add_nc_u32_e32 v6, v3, v6
.LBB11_2802:
	s_or_b32 exec_lo, exec_lo, s5
	s_mov_b32 s0, 0
	s_mov_b32 s5, -1
	global_store_b8 v[4:5], v6, off
.LBB11_2803:
	s_mov_b32 s6, 0
.LBB11_2804:
	s_delay_alu instid0(SALU_CYCLE_1)
	s_and_b32 vcc_lo, exec_lo, s6
	s_cbranch_vccz .LBB11_2807
; %bb.2805:
	s_cmp_eq_u32 s3, 29
	s_mov_b32 s0, -1
	s_cbranch_scc0 .LBB11_2807
; %bb.2806:
	s_wait_xcnt 0x0
	v_trunc_f64_e32 v[6:7], v[56:57]
	s_mov_b32 s0, 0
	s_mov_b32 s5, -1
	s_delay_alu instid0(VALU_DEP_1) | instskip(NEXT) | instid1(VALU_DEP_1)
	v_ldexp_f64 v[8:9], v[6:7], 0xffffffe0
	v_floor_f64_e32 v[8:9], v[8:9]
	s_delay_alu instid0(VALU_DEP_1) | instskip(SKIP_1) | instid1(VALU_DEP_2)
	v_fmamk_f64 v[6:7], v[8:9], 0xc1f00000, v[6:7]
	v_cvt_u32_f64_e32 v9, v[8:9]
	v_cvt_u32_f64_e32 v8, v[6:7]
	global_store_b64 v[4:5], v[8:9], off
.LBB11_2807:
	s_mov_b32 s6, 0
.LBB11_2808:
	s_delay_alu instid0(SALU_CYCLE_1)
	s_and_b32 vcc_lo, exec_lo, s6
	s_cbranch_vccz .LBB11_2824
; %bb.2809:
	s_cmp_lt_i32 s3, 27
	s_mov_b32 s5, -1
	s_cbranch_scc1 .LBB11_2815
; %bb.2810:
	s_wait_xcnt 0x0
	v_cvt_u32_f64_e32 v3, v[56:57]
	s_cmp_gt_i32 s3, 27
	s_cbranch_scc0 .LBB11_2812
; %bb.2811:
	s_mov_b32 s5, 0
	global_store_b32 v[4:5], v3, off
.LBB11_2812:
	s_and_not1_b32 vcc_lo, exec_lo, s5
	s_cbranch_vccnz .LBB11_2814
; %bb.2813:
	global_store_b16 v[4:5], v3, off
.LBB11_2814:
	s_mov_b32 s5, 0
.LBB11_2815:
	s_delay_alu instid0(SALU_CYCLE_1)
	s_and_not1_b32 vcc_lo, exec_lo, s5
	s_cbranch_vccnz .LBB11_2823
; %bb.2816:
	s_wait_xcnt 0x0
	v_cvt_f32_f64_e32 v3, v[56:57]
	v_mov_b32_e32 v7, 0x80
	s_mov_b32 s5, exec_lo
	s_delay_alu instid0(VALU_DEP_2) | instskip(NEXT) | instid1(VALU_DEP_1)
	v_and_b32_e32 v6, 0x7fffffff, v3
	v_cmpx_gt_u32_e32 0x43800000, v6
	s_cbranch_execz .LBB11_2822
; %bb.2817:
	v_cmp_lt_u32_e32 vcc_lo, 0x3bffffff, v6
	s_mov_b32 s6, 0
                                        ; implicit-def: $vgpr6
	s_and_saveexec_b32 s7, vcc_lo
	s_delay_alu instid0(SALU_CYCLE_1)
	s_xor_b32 s7, exec_lo, s7
	s_cbranch_execz .LBB11_3113
; %bb.2818:
	v_bfe_u32 v6, v3, 20, 1
	s_mov_b32 s6, exec_lo
	s_delay_alu instid0(VALU_DEP_1) | instskip(NEXT) | instid1(VALU_DEP_1)
	v_add3_u32 v6, v3, v6, 0x487ffff
	v_lshrrev_b32_e32 v6, 20, v6
	s_and_not1_saveexec_b32 s7, s7
	s_cbranch_execnz .LBB11_3114
.LBB11_2819:
	s_or_b32 exec_lo, exec_lo, s7
	v_mov_b32_e32 v7, 0
	s_and_saveexec_b32 s7, s6
.LBB11_2820:
	v_lshrrev_b32_e32 v3, 24, v3
	s_delay_alu instid0(VALU_DEP_1)
	v_and_or_b32 v7, 0x80, v3, v6
.LBB11_2821:
	s_or_b32 exec_lo, exec_lo, s7
.LBB11_2822:
	s_delay_alu instid0(SALU_CYCLE_1)
	s_or_b32 exec_lo, exec_lo, s5
	global_store_b8 v[4:5], v7, off
.LBB11_2823:
	s_mov_b32 s5, -1
.LBB11_2824:
	s_mov_b32 s6, 0
.LBB11_2825:
	s_delay_alu instid0(SALU_CYCLE_1)
	s_and_b32 vcc_lo, exec_lo, s6
	s_cbranch_vccz .LBB11_2865
; %bb.2826:
	s_cmp_gt_i32 s3, 22
	s_mov_b32 s4, -1
	s_cbranch_scc0 .LBB11_2858
; %bb.2827:
	s_cmp_lt_i32 s3, 24
	s_cbranch_scc1 .LBB11_2847
; %bb.2828:
	s_cmp_gt_i32 s3, 24
	s_cbranch_scc0 .LBB11_2836
; %bb.2829:
	s_wait_xcnt 0x0
	v_cvt_f32_f64_e32 v3, v[56:57]
	v_mov_b32_e32 v7, 0x80
	s_mov_b32 s4, exec_lo
	s_delay_alu instid0(VALU_DEP_2) | instskip(NEXT) | instid1(VALU_DEP_1)
	v_and_b32_e32 v6, 0x7fffffff, v3
	v_cmpx_gt_u32_e32 0x47800000, v6
	s_cbranch_execz .LBB11_2835
; %bb.2830:
	v_cmp_lt_u32_e32 vcc_lo, 0x37ffffff, v6
	s_mov_b32 s5, 0
                                        ; implicit-def: $vgpr6
	s_and_saveexec_b32 s6, vcc_lo
	s_delay_alu instid0(SALU_CYCLE_1)
	s_xor_b32 s6, exec_lo, s6
	s_cbranch_execz .LBB11_3116
; %bb.2831:
	v_bfe_u32 v6, v3, 21, 1
	s_mov_b32 s5, exec_lo
	s_delay_alu instid0(VALU_DEP_1) | instskip(NEXT) | instid1(VALU_DEP_1)
	v_add3_u32 v6, v3, v6, 0x88fffff
	v_lshrrev_b32_e32 v6, 21, v6
	s_and_not1_saveexec_b32 s6, s6
	s_cbranch_execnz .LBB11_3117
.LBB11_2832:
	s_or_b32 exec_lo, exec_lo, s6
	v_mov_b32_e32 v7, 0
	s_and_saveexec_b32 s6, s5
.LBB11_2833:
	v_lshrrev_b32_e32 v3, 24, v3
	s_delay_alu instid0(VALU_DEP_1)
	v_and_or_b32 v7, 0x80, v3, v6
.LBB11_2834:
	s_or_b32 exec_lo, exec_lo, s6
.LBB11_2835:
	s_delay_alu instid0(SALU_CYCLE_1)
	s_or_b32 exec_lo, exec_lo, s4
	s_mov_b32 s4, 0
	global_store_b8 v[4:5], v7, off
.LBB11_2836:
	s_and_b32 vcc_lo, exec_lo, s4
	s_cbranch_vccz .LBB11_2846
; %bb.2837:
	s_wait_xcnt 0x0
	v_cvt_f32_f64_e32 v3, v[56:57]
	s_mov_b32 s4, exec_lo
                                        ; implicit-def: $vgpr6
	s_delay_alu instid0(VALU_DEP_1) | instskip(NEXT) | instid1(VALU_DEP_1)
	v_and_b32_e32 v7, 0x7fffffff, v3
	v_cmpx_gt_u32_e32 0x43f00000, v7
	s_xor_b32 s4, exec_lo, s4
	s_cbranch_execz .LBB11_2843
; %bb.2838:
	s_mov_b32 s5, exec_lo
                                        ; implicit-def: $vgpr6
	v_cmpx_lt_u32_e32 0x3c7fffff, v7
	s_xor_b32 s5, exec_lo, s5
; %bb.2839:
	v_bfe_u32 v6, v3, 20, 1
	s_delay_alu instid0(VALU_DEP_1) | instskip(NEXT) | instid1(VALU_DEP_1)
	v_add3_u32 v6, v3, v6, 0x407ffff
	v_and_b32_e32 v7, 0xff00000, v6
	v_lshrrev_b32_e32 v6, 20, v6
	s_delay_alu instid0(VALU_DEP_2) | instskip(NEXT) | instid1(VALU_DEP_2)
	v_cmp_ne_u32_e32 vcc_lo, 0x7f00000, v7
	v_cndmask_b32_e32 v6, 0x7e, v6, vcc_lo
; %bb.2840:
	s_and_not1_saveexec_b32 s5, s5
; %bb.2841:
	v_add_f32_e64 v6, 0x46800000, |v3|
; %bb.2842:
	s_or_b32 exec_lo, exec_lo, s5
                                        ; implicit-def: $vgpr7
.LBB11_2843:
	s_and_not1_saveexec_b32 s4, s4
; %bb.2844:
	v_mov_b32_e32 v6, 0x7f
	v_cmp_lt_u32_e32 vcc_lo, 0x7f800000, v7
	s_delay_alu instid0(VALU_DEP_2)
	v_cndmask_b32_e32 v6, 0x7e, v6, vcc_lo
; %bb.2845:
	s_or_b32 exec_lo, exec_lo, s4
	v_lshrrev_b32_e32 v3, 24, v3
	s_delay_alu instid0(VALU_DEP_1)
	v_and_or_b32 v3, 0x80, v3, v6
	global_store_b8 v[4:5], v3, off
.LBB11_2846:
	s_mov_b32 s4, 0
.LBB11_2847:
	s_delay_alu instid0(SALU_CYCLE_1)
	s_and_not1_b32 vcc_lo, exec_lo, s4
	s_cbranch_vccnz .LBB11_2857
; %bb.2848:
	s_wait_xcnt 0x0
	v_cvt_f32_f64_e32 v3, v[56:57]
	s_mov_b32 s4, exec_lo
                                        ; implicit-def: $vgpr6
	s_delay_alu instid0(VALU_DEP_1) | instskip(NEXT) | instid1(VALU_DEP_1)
	v_and_b32_e32 v7, 0x7fffffff, v3
	v_cmpx_gt_u32_e32 0x47800000, v7
	s_xor_b32 s4, exec_lo, s4
	s_cbranch_execz .LBB11_2854
; %bb.2849:
	s_mov_b32 s5, exec_lo
                                        ; implicit-def: $vgpr6
	v_cmpx_lt_u32_e32 0x387fffff, v7
	s_xor_b32 s5, exec_lo, s5
; %bb.2850:
	v_bfe_u32 v6, v3, 21, 1
	s_delay_alu instid0(VALU_DEP_1) | instskip(NEXT) | instid1(VALU_DEP_1)
	v_add3_u32 v6, v3, v6, 0x80fffff
	v_lshrrev_b32_e32 v6, 21, v6
; %bb.2851:
	s_and_not1_saveexec_b32 s5, s5
; %bb.2852:
	v_add_f32_e64 v6, 0x43000000, |v3|
; %bb.2853:
	s_or_b32 exec_lo, exec_lo, s5
                                        ; implicit-def: $vgpr7
.LBB11_2854:
	s_and_not1_saveexec_b32 s4, s4
; %bb.2855:
	v_mov_b32_e32 v6, 0x7f
	v_cmp_lt_u32_e32 vcc_lo, 0x7f800000, v7
	s_delay_alu instid0(VALU_DEP_2)
	v_cndmask_b32_e32 v6, 0x7c, v6, vcc_lo
; %bb.2856:
	s_or_b32 exec_lo, exec_lo, s4
	v_lshrrev_b32_e32 v3, 24, v3
	s_delay_alu instid0(VALU_DEP_1)
	v_and_or_b32 v3, 0x80, v3, v6
	global_store_b8 v[4:5], v3, off
.LBB11_2857:
	s_mov_b32 s4, 0
	s_mov_b32 s5, -1
.LBB11_2858:
	s_and_not1_b32 vcc_lo, exec_lo, s4
	s_mov_b32 s4, 0
	s_cbranch_vccnz .LBB11_2865
; %bb.2859:
	s_cmp_gt_i32 s3, 14
	s_mov_b32 s4, -1
	s_cbranch_scc0 .LBB11_2863
; %bb.2860:
	s_cmp_eq_u32 s3, 15
	s_mov_b32 s0, -1
	s_cbranch_scc0 .LBB11_2862
; %bb.2861:
	s_wait_xcnt 0x0
	v_cvt_f32_f64_e32 v3, v[56:57]
	s_mov_b32 s0, 0
	s_mov_b32 s5, -1
	s_delay_alu instid0(VALU_DEP_1) | instskip(SKIP_1) | instid1(VALU_DEP_2)
	v_bfe_u32 v6, v3, 16, 1
	v_cmp_o_f32_e32 vcc_lo, v3, v3
	v_add3_u32 v6, v3, v6, 0x7fff
	s_delay_alu instid0(VALU_DEP_1) | instskip(NEXT) | instid1(VALU_DEP_1)
	v_lshrrev_b32_e32 v6, 16, v6
	v_cndmask_b32_e32 v3, 0x7fc0, v6, vcc_lo
	global_store_b16 v[4:5], v3, off
.LBB11_2862:
	s_mov_b32 s4, 0
.LBB11_2863:
	s_delay_alu instid0(SALU_CYCLE_1)
	s_and_b32 vcc_lo, exec_lo, s4
	s_mov_b32 s4, 0
	s_cbranch_vccz .LBB11_2865
; %bb.2864:
	s_cmp_lg_u32 s3, 11
	s_mov_b32 s4, -1
	s_cselect_b32 s0, -1, 0
.LBB11_2865:
	s_delay_alu instid0(SALU_CYCLE_1)
	s_and_b32 vcc_lo, exec_lo, s0
	s_cbranch_vccnz .LBB11_3115
; %bb.2866:
	s_and_not1_b32 vcc_lo, exec_lo, s4
	s_cbranch_vccnz .LBB11_2868
.LBB11_2867:
	v_cmp_neq_f64_e32 vcc_lo, 0, v[56:57]
	s_mov_b32 s5, -1
	s_wait_xcnt 0x0
	v_cndmask_b32_e64 v3, 0, 1, vcc_lo
	global_store_b8 v[4:5], v3, off
.LBB11_2868:
	s_mov_b32 s0, 0
	s_branch .LBB11_2870
.LBB11_2869:
	s_mov_b32 s0, -1
	s_mov_b32 s5, 0
.LBB11_2870:
	s_and_b32 vcc_lo, exec_lo, s0
	s_cbranch_vccz .LBB11_2909
; %bb.2871:
	s_and_b32 s0, 0xffff, s1
	s_mov_b32 s3, -1
	s_cmp_lt_i32 s0, 5
	s_cbranch_scc1 .LBB11_2892
; %bb.2872:
	s_cmp_lt_i32 s0, 8
	s_cbranch_scc1 .LBB11_2882
; %bb.2873:
	;; [unrolled: 3-line block ×3, first 2 shown]
	s_cmp_gt_i32 s0, 9
	s_cbranch_scc0 .LBB11_2876
; %bb.2875:
	v_mov_b32_e32 v58, 0
	s_mov_b32 s3, 0
	s_delay_alu instid0(VALU_DEP_1)
	v_mov_b32_e32 v59, v58
	global_store_b128 v[4:5], v[56:59], off
.LBB11_2876:
	s_and_not1_b32 vcc_lo, exec_lo, s3
	s_cbranch_vccnz .LBB11_2878
; %bb.2877:
	s_wait_xcnt 0x0
	v_cvt_f32_f64_e32 v6, v[56:57]
	v_mov_b32_e32 v7, 0
	global_store_b64 v[4:5], v[6:7], off
.LBB11_2878:
	s_mov_b32 s3, 0
.LBB11_2879:
	s_delay_alu instid0(SALU_CYCLE_1)
	s_and_not1_b32 vcc_lo, exec_lo, s3
	s_cbranch_vccnz .LBB11_2881
; %bb.2880:
	s_wait_xcnt 0x0
	v_and_or_b32 v3, 0x1ff, v57, v56
	v_lshrrev_b32_e32 v6, 8, v57
	v_bfe_u32 v7, v57, 20, 11
	s_delay_alu instid0(VALU_DEP_3) | instskip(NEXT) | instid1(VALU_DEP_2)
	v_cmp_ne_u32_e32 vcc_lo, 0, v3
	v_sub_nc_u32_e32 v8, 0x3f1, v7
	v_add_nc_u32_e32 v7, 0xfffffc10, v7
	v_cndmask_b32_e64 v3, 0, 1, vcc_lo
	s_delay_alu instid0(VALU_DEP_1) | instskip(NEXT) | instid1(VALU_DEP_4)
	v_and_or_b32 v3, 0xffe, v6, v3
	v_med3_i32 v6, v8, 0, 13
	s_delay_alu instid0(VALU_DEP_2) | instskip(NEXT) | instid1(VALU_DEP_1)
	v_or_b32_e32 v8, 0x1000, v3
	v_lshrrev_b32_e32 v9, v6, v8
	s_delay_alu instid0(VALU_DEP_1) | instskip(NEXT) | instid1(VALU_DEP_1)
	v_lshlrev_b32_e32 v6, v6, v9
	v_cmp_ne_u32_e32 vcc_lo, v6, v8
	v_lshl_or_b32 v8, v7, 12, v3
	v_cndmask_b32_e64 v6, 0, 1, vcc_lo
	v_cmp_gt_i32_e32 vcc_lo, 1, v7
	s_delay_alu instid0(VALU_DEP_2) | instskip(NEXT) | instid1(VALU_DEP_1)
	v_or_b32_e32 v6, v9, v6
	v_cndmask_b32_e32 v6, v8, v6, vcc_lo
	s_delay_alu instid0(VALU_DEP_1) | instskip(NEXT) | instid1(VALU_DEP_1)
	v_dual_lshrrev_b32 v6, 2, v6 :: v_dual_bitop2_b32 v8, 7, v6 bitop3:0x40
	v_cmp_lt_i32_e32 vcc_lo, 5, v8
	v_cndmask_b32_e64 v9, 0, 1, vcc_lo
	v_cmp_eq_u32_e32 vcc_lo, 3, v8
	v_cndmask_b32_e64 v8, 0, 1, vcc_lo
	v_cmp_ne_u32_e32 vcc_lo, 0, v3
	s_delay_alu instid0(VALU_DEP_2) | instskip(NEXT) | instid1(VALU_DEP_1)
	v_or_b32_e32 v8, v8, v9
	v_dual_mov_b32 v9, 0x7e00 :: v_dual_add_nc_u32 v6, v6, v8
	s_delay_alu instid0(VALU_DEP_1) | instskip(SKIP_2) | instid1(VALU_DEP_4)
	v_cndmask_b32_e32 v3, 0x7c00, v9, vcc_lo
	v_cmp_gt_i32_e32 vcc_lo, 31, v7
	v_lshrrev_b32_e32 v8, 16, v57
	v_cndmask_b32_e32 v6, 0x7c00, v6, vcc_lo
	v_cmp_eq_u32_e32 vcc_lo, 0x40f, v7
	s_delay_alu instid0(VALU_DEP_2) | instskip(NEXT) | instid1(VALU_DEP_4)
	v_cndmask_b32_e32 v3, v6, v3, vcc_lo
	v_and_b32_e32 v6, 0x8000, v8
	s_delay_alu instid0(VALU_DEP_1)
	v_bitop3_b32 v3, v6, 0xffff, v3 bitop3:0xc8
	global_store_b32 v[4:5], v3, off
.LBB11_2881:
	s_mov_b32 s3, 0
.LBB11_2882:
	s_delay_alu instid0(SALU_CYCLE_1)
	s_and_not1_b32 vcc_lo, exec_lo, s3
	s_cbranch_vccnz .LBB11_2891
; %bb.2883:
	s_cmp_lt_i32 s0, 6
	s_mov_b32 s3, -1
	s_cbranch_scc1 .LBB11_2889
; %bb.2884:
	s_cmp_gt_i32 s0, 6
	s_cbranch_scc0 .LBB11_2886
; %bb.2885:
	s_mov_b32 s3, 0
	global_store_b64 v[4:5], v[56:57], off
.LBB11_2886:
	s_and_not1_b32 vcc_lo, exec_lo, s3
	s_cbranch_vccnz .LBB11_2888
; %bb.2887:
	s_wait_xcnt 0x0
	v_cvt_f32_f64_e32 v3, v[56:57]
	global_store_b32 v[4:5], v3, off
.LBB11_2888:
	s_mov_b32 s3, 0
.LBB11_2889:
	s_delay_alu instid0(SALU_CYCLE_1)
	s_and_not1_b32 vcc_lo, exec_lo, s3
	s_cbranch_vccnz .LBB11_2891
; %bb.2890:
	s_wait_xcnt 0x0
	v_and_or_b32 v3, 0x1ff, v57, v56
	v_lshrrev_b32_e32 v6, 8, v57
	v_bfe_u32 v7, v57, 20, 11
	s_delay_alu instid0(VALU_DEP_3) | instskip(NEXT) | instid1(VALU_DEP_2)
	v_cmp_ne_u32_e32 vcc_lo, 0, v3
	v_sub_nc_u32_e32 v8, 0x3f1, v7
	v_add_nc_u32_e32 v7, 0xfffffc10, v7
	v_cndmask_b32_e64 v3, 0, 1, vcc_lo
	s_delay_alu instid0(VALU_DEP_1) | instskip(NEXT) | instid1(VALU_DEP_4)
	v_and_or_b32 v3, 0xffe, v6, v3
	v_med3_i32 v6, v8, 0, 13
	s_delay_alu instid0(VALU_DEP_2) | instskip(NEXT) | instid1(VALU_DEP_1)
	v_or_b32_e32 v8, 0x1000, v3
	v_lshrrev_b32_e32 v9, v6, v8
	s_delay_alu instid0(VALU_DEP_1) | instskip(NEXT) | instid1(VALU_DEP_1)
	v_lshlrev_b32_e32 v6, v6, v9
	v_cmp_ne_u32_e32 vcc_lo, v6, v8
	v_lshl_or_b32 v8, v7, 12, v3
	v_cndmask_b32_e64 v6, 0, 1, vcc_lo
	v_cmp_gt_i32_e32 vcc_lo, 1, v7
	s_delay_alu instid0(VALU_DEP_2) | instskip(NEXT) | instid1(VALU_DEP_1)
	v_or_b32_e32 v6, v9, v6
	v_cndmask_b32_e32 v6, v8, v6, vcc_lo
	s_delay_alu instid0(VALU_DEP_1) | instskip(NEXT) | instid1(VALU_DEP_1)
	v_dual_lshrrev_b32 v6, 2, v6 :: v_dual_bitop2_b32 v8, 7, v6 bitop3:0x40
	v_cmp_lt_i32_e32 vcc_lo, 5, v8
	v_cndmask_b32_e64 v9, 0, 1, vcc_lo
	v_cmp_eq_u32_e32 vcc_lo, 3, v8
	v_cndmask_b32_e64 v8, 0, 1, vcc_lo
	v_cmp_ne_u32_e32 vcc_lo, 0, v3
	s_delay_alu instid0(VALU_DEP_2) | instskip(NEXT) | instid1(VALU_DEP_1)
	v_or_b32_e32 v8, v8, v9
	v_dual_mov_b32 v9, 0x7e00 :: v_dual_add_nc_u32 v6, v6, v8
	s_delay_alu instid0(VALU_DEP_1) | instskip(SKIP_1) | instid1(VALU_DEP_3)
	v_cndmask_b32_e32 v3, 0x7c00, v9, vcc_lo
	v_cmp_gt_i32_e32 vcc_lo, 31, v7
	v_cndmask_b32_e32 v6, 0x7c00, v6, vcc_lo
	v_cmp_eq_u32_e32 vcc_lo, 0x40f, v7
	s_delay_alu instid0(VALU_DEP_2) | instskip(NEXT) | instid1(VALU_DEP_1)
	v_dual_cndmask_b32 v3, v6, v3 :: v_dual_lshrrev_b32 v6, 16, v57
	v_and_or_b32 v3, 0x8000, v6, v3
	global_store_b16 v[4:5], v3, off
.LBB11_2891:
	s_mov_b32 s3, 0
.LBB11_2892:
	s_delay_alu instid0(SALU_CYCLE_1)
	s_and_not1_b32 vcc_lo, exec_lo, s3
	s_cbranch_vccnz .LBB11_2908
; %bb.2893:
	s_cmp_lt_i32 s0, 2
	s_mov_b32 s3, -1
	s_cbranch_scc1 .LBB11_2903
; %bb.2894:
	s_cmp_lt_i32 s0, 3
	s_cbranch_scc1 .LBB11_2900
; %bb.2895:
	s_cmp_gt_i32 s0, 3
	s_cbranch_scc0 .LBB11_2897
; %bb.2896:
	s_wait_xcnt 0x0
	v_trunc_f64_e32 v[6:7], v[56:57]
	s_mov_b32 s3, 0
	s_delay_alu instid0(VALU_DEP_1) | instskip(NEXT) | instid1(VALU_DEP_1)
	v_ldexp_f64 v[8:9], v[6:7], 0xffffffe0
	v_floor_f64_e32 v[8:9], v[8:9]
	s_delay_alu instid0(VALU_DEP_1) | instskip(SKIP_1) | instid1(VALU_DEP_2)
	v_fmamk_f64 v[6:7], v[8:9], 0xc1f00000, v[6:7]
	v_cvt_i32_f64_e32 v9, v[8:9]
	v_cvt_u32_f64_e32 v8, v[6:7]
	global_store_b64 v[4:5], v[8:9], off
.LBB11_2897:
	s_and_not1_b32 vcc_lo, exec_lo, s3
	s_cbranch_vccnz .LBB11_2899
; %bb.2898:
	s_wait_xcnt 0x0
	v_cvt_i32_f64_e32 v3, v[56:57]
	global_store_b32 v[4:5], v3, off
.LBB11_2899:
	s_mov_b32 s3, 0
.LBB11_2900:
	s_delay_alu instid0(SALU_CYCLE_1)
	s_and_not1_b32 vcc_lo, exec_lo, s3
	s_cbranch_vccnz .LBB11_2902
; %bb.2901:
	s_wait_xcnt 0x0
	v_cvt_i32_f64_e32 v3, v[56:57]
	global_store_b16 v[4:5], v3, off
.LBB11_2902:
	s_mov_b32 s3, 0
.LBB11_2903:
	s_delay_alu instid0(SALU_CYCLE_1)
	s_and_not1_b32 vcc_lo, exec_lo, s3
	s_cbranch_vccnz .LBB11_2908
; %bb.2904:
	s_cmp_gt_i32 s0, 0
	s_mov_b32 s0, -1
	s_cbranch_scc0 .LBB11_2906
; %bb.2905:
	s_wait_xcnt 0x0
	v_cvt_i32_f64_e32 v3, v[56:57]
	s_mov_b32 s0, 0
	global_store_b8 v[4:5], v3, off
.LBB11_2906:
	s_and_not1_b32 vcc_lo, exec_lo, s0
	s_cbranch_vccnz .LBB11_2908
; %bb.2907:
	s_wait_xcnt 0x0
	v_trunc_f64_e32 v[6:7], v[56:57]
	s_delay_alu instid0(VALU_DEP_1) | instskip(NEXT) | instid1(VALU_DEP_1)
	v_ldexp_f64 v[8:9], v[6:7], 0xffffffe0
	v_floor_f64_e32 v[8:9], v[8:9]
	s_delay_alu instid0(VALU_DEP_1) | instskip(NEXT) | instid1(VALU_DEP_1)
	v_fmamk_f64 v[6:7], v[8:9], 0xc1f00000, v[6:7]
	v_cvt_u32_f64_e32 v3, v[6:7]
	global_store_b8 v[4:5], v3, off
.LBB11_2908:
	s_mov_b32 s5, -1
.LBB11_2909:
	s_delay_alu instid0(SALU_CYCLE_1)
	s_and_not1_b32 vcc_lo, exec_lo, s5
	s_cbranch_vccnz .LBB11_3105
; %bb.2910:
	v_add_nc_u32_e32 v2, s2, v2
	s_cmp_lt_i32 s1, 11
	s_wait_xcnt 0x0
	s_delay_alu instid0(VALU_DEP_1) | instskip(NEXT) | instid1(VALU_DEP_1)
	v_ashrrev_i32_e32 v3, 31, v2
	v_add_nc_u64_e32 v[4:5], s[36:37], v[2:3]
	s_cbranch_scc1 .LBB11_2988
; %bb.2911:
	s_and_b32 s3, 0xffff, s1
	s_mov_b32 s6, -1
	s_mov_b32 s4, 0
	s_cmp_gt_i32 s3, 25
	s_mov_b32 s5, 0
	s_mov_b32 s0, 0
	s_cbranch_scc0 .LBB11_2944
; %bb.2912:
	s_cmp_gt_i32 s3, 28
	s_cbranch_scc0 .LBB11_2927
; %bb.2913:
	s_cmp_gt_i32 s3, 43
	;; [unrolled: 3-line block ×3, first 2 shown]
	s_cbranch_scc0 .LBB11_2917
; %bb.2915:
	s_mov_b32 s0, -1
	s_mov_b32 s6, 0
	s_cmp_eq_u32 s3, 46
	s_cbranch_scc0 .LBB11_2917
; %bb.2916:
	v_cvt_f32_f64_e32 v3, v[60:61]
	s_mov_b32 s0, 0
	s_mov_b32 s5, -1
	s_delay_alu instid0(VALU_DEP_1) | instskip(SKIP_1) | instid1(VALU_DEP_2)
	v_bfe_u32 v6, v3, 16, 1
	v_cmp_o_f32_e32 vcc_lo, v3, v3
	v_add3_u32 v6, v3, v6, 0x7fff
	s_delay_alu instid0(VALU_DEP_1) | instskip(NEXT) | instid1(VALU_DEP_1)
	v_lshrrev_b32_e32 v6, 16, v6
	v_cndmask_b32_e32 v3, 0x7fc0, v6, vcc_lo
	global_store_b32 v[4:5], v3, off
.LBB11_2917:
	s_and_b32 vcc_lo, exec_lo, s6
	s_cbranch_vccz .LBB11_2922
; %bb.2918:
	s_cmp_eq_u32 s3, 44
	s_mov_b32 s0, -1
	s_cbranch_scc0 .LBB11_2922
; %bb.2919:
	s_wait_xcnt 0x0
	v_cvt_f32_f64_e32 v3, v[60:61]
	v_mov_b32_e32 v6, 0xff
	s_mov_b32 s5, exec_lo
	s_delay_alu instid0(VALU_DEP_2) | instskip(NEXT) | instid1(VALU_DEP_1)
	v_bfe_u32 v7, v3, 23, 8
	v_cmpx_ne_u32_e32 0xff, v7
	s_cbranch_execz .LBB11_2921
; %bb.2920:
	v_and_b32_e32 v6, 0x400000, v3
	v_and_or_b32 v7, 0x3fffff, v3, v7
	v_lshrrev_b32_e32 v3, 23, v3
	s_delay_alu instid0(VALU_DEP_3) | instskip(NEXT) | instid1(VALU_DEP_3)
	v_cmp_ne_u32_e32 vcc_lo, 0, v6
	v_cmp_ne_u32_e64 s0, 0, v7
	s_and_b32 s0, vcc_lo, s0
	s_delay_alu instid0(SALU_CYCLE_1) | instskip(NEXT) | instid1(VALU_DEP_1)
	v_cndmask_b32_e64 v6, 0, 1, s0
	v_add_nc_u32_e32 v6, v3, v6
.LBB11_2921:
	s_or_b32 exec_lo, exec_lo, s5
	s_mov_b32 s0, 0
	s_mov_b32 s5, -1
	global_store_b8 v[4:5], v6, off
.LBB11_2922:
	s_mov_b32 s6, 0
.LBB11_2923:
	s_delay_alu instid0(SALU_CYCLE_1)
	s_and_b32 vcc_lo, exec_lo, s6
	s_cbranch_vccz .LBB11_2926
; %bb.2924:
	s_cmp_eq_u32 s3, 29
	s_mov_b32 s0, -1
	s_cbranch_scc0 .LBB11_2926
; %bb.2925:
	s_wait_xcnt 0x0
	v_trunc_f64_e32 v[6:7], v[60:61]
	s_mov_b32 s0, 0
	s_mov_b32 s5, -1
	s_delay_alu instid0(VALU_DEP_1) | instskip(NEXT) | instid1(VALU_DEP_1)
	v_ldexp_f64 v[8:9], v[6:7], 0xffffffe0
	v_floor_f64_e32 v[8:9], v[8:9]
	s_delay_alu instid0(VALU_DEP_1) | instskip(SKIP_1) | instid1(VALU_DEP_2)
	v_fmamk_f64 v[6:7], v[8:9], 0xc1f00000, v[6:7]
	v_cvt_u32_f64_e32 v9, v[8:9]
	v_cvt_u32_f64_e32 v8, v[6:7]
	global_store_b64 v[4:5], v[8:9], off
.LBB11_2926:
	s_mov_b32 s6, 0
.LBB11_2927:
	s_delay_alu instid0(SALU_CYCLE_1)
	s_and_b32 vcc_lo, exec_lo, s6
	s_cbranch_vccz .LBB11_2943
; %bb.2928:
	s_cmp_lt_i32 s3, 27
	s_mov_b32 s5, -1
	s_cbranch_scc1 .LBB11_2934
; %bb.2929:
	s_wait_xcnt 0x0
	v_cvt_u32_f64_e32 v3, v[60:61]
	s_cmp_gt_i32 s3, 27
	s_cbranch_scc0 .LBB11_2931
; %bb.2930:
	s_mov_b32 s5, 0
	global_store_b32 v[4:5], v3, off
.LBB11_2931:
	s_and_not1_b32 vcc_lo, exec_lo, s5
	s_cbranch_vccnz .LBB11_2933
; %bb.2932:
	global_store_b16 v[4:5], v3, off
.LBB11_2933:
	s_mov_b32 s5, 0
.LBB11_2934:
	s_delay_alu instid0(SALU_CYCLE_1)
	s_and_not1_b32 vcc_lo, exec_lo, s5
	s_cbranch_vccnz .LBB11_2942
; %bb.2935:
	s_wait_xcnt 0x0
	v_cvt_f32_f64_e32 v3, v[60:61]
	v_mov_b32_e32 v7, 0x80
	s_mov_b32 s5, exec_lo
	s_delay_alu instid0(VALU_DEP_2) | instskip(NEXT) | instid1(VALU_DEP_1)
	v_and_b32_e32 v6, 0x7fffffff, v3
	v_cmpx_gt_u32_e32 0x43800000, v6
	s_cbranch_execz .LBB11_2941
; %bb.2936:
	v_cmp_lt_u32_e32 vcc_lo, 0x3bffffff, v6
	s_mov_b32 s6, 0
                                        ; implicit-def: $vgpr6
	s_and_saveexec_b32 s7, vcc_lo
	s_delay_alu instid0(SALU_CYCLE_1)
	s_xor_b32 s7, exec_lo, s7
	s_cbranch_execz .LBB11_3118
; %bb.2937:
	v_bfe_u32 v6, v3, 20, 1
	s_mov_b32 s6, exec_lo
	s_delay_alu instid0(VALU_DEP_1) | instskip(NEXT) | instid1(VALU_DEP_1)
	v_add3_u32 v6, v3, v6, 0x487ffff
	v_lshrrev_b32_e32 v6, 20, v6
	s_and_not1_saveexec_b32 s7, s7
	s_cbranch_execnz .LBB11_3119
.LBB11_2938:
	s_or_b32 exec_lo, exec_lo, s7
	v_mov_b32_e32 v7, 0
	s_and_saveexec_b32 s7, s6
.LBB11_2939:
	v_lshrrev_b32_e32 v3, 24, v3
	s_delay_alu instid0(VALU_DEP_1)
	v_and_or_b32 v7, 0x80, v3, v6
.LBB11_2940:
	s_or_b32 exec_lo, exec_lo, s7
.LBB11_2941:
	s_delay_alu instid0(SALU_CYCLE_1)
	s_or_b32 exec_lo, exec_lo, s5
	global_store_b8 v[4:5], v7, off
.LBB11_2942:
	s_mov_b32 s5, -1
.LBB11_2943:
	s_mov_b32 s6, 0
.LBB11_2944:
	s_delay_alu instid0(SALU_CYCLE_1)
	s_and_b32 vcc_lo, exec_lo, s6
	s_cbranch_vccz .LBB11_2984
; %bb.2945:
	s_cmp_gt_i32 s3, 22
	s_mov_b32 s4, -1
	s_cbranch_scc0 .LBB11_2977
; %bb.2946:
	s_cmp_lt_i32 s3, 24
	s_cbranch_scc1 .LBB11_2966
; %bb.2947:
	s_cmp_gt_i32 s3, 24
	s_cbranch_scc0 .LBB11_2955
; %bb.2948:
	s_wait_xcnt 0x0
	v_cvt_f32_f64_e32 v3, v[60:61]
	v_mov_b32_e32 v7, 0x80
	s_mov_b32 s4, exec_lo
	s_delay_alu instid0(VALU_DEP_2) | instskip(NEXT) | instid1(VALU_DEP_1)
	v_and_b32_e32 v6, 0x7fffffff, v3
	v_cmpx_gt_u32_e32 0x47800000, v6
	s_cbranch_execz .LBB11_2954
; %bb.2949:
	v_cmp_lt_u32_e32 vcc_lo, 0x37ffffff, v6
	s_mov_b32 s5, 0
                                        ; implicit-def: $vgpr6
	s_and_saveexec_b32 s6, vcc_lo
	s_delay_alu instid0(SALU_CYCLE_1)
	s_xor_b32 s6, exec_lo, s6
	s_cbranch_execz .LBB11_3121
; %bb.2950:
	v_bfe_u32 v6, v3, 21, 1
	s_mov_b32 s5, exec_lo
	s_delay_alu instid0(VALU_DEP_1) | instskip(NEXT) | instid1(VALU_DEP_1)
	v_add3_u32 v6, v3, v6, 0x88fffff
	v_lshrrev_b32_e32 v6, 21, v6
	s_and_not1_saveexec_b32 s6, s6
	s_cbranch_execnz .LBB11_3122
.LBB11_2951:
	s_or_b32 exec_lo, exec_lo, s6
	v_mov_b32_e32 v7, 0
	s_and_saveexec_b32 s6, s5
.LBB11_2952:
	v_lshrrev_b32_e32 v3, 24, v3
	s_delay_alu instid0(VALU_DEP_1)
	v_and_or_b32 v7, 0x80, v3, v6
.LBB11_2953:
	s_or_b32 exec_lo, exec_lo, s6
.LBB11_2954:
	s_delay_alu instid0(SALU_CYCLE_1)
	s_or_b32 exec_lo, exec_lo, s4
	s_mov_b32 s4, 0
	global_store_b8 v[4:5], v7, off
.LBB11_2955:
	s_and_b32 vcc_lo, exec_lo, s4
	s_cbranch_vccz .LBB11_2965
; %bb.2956:
	s_wait_xcnt 0x0
	v_cvt_f32_f64_e32 v3, v[60:61]
	s_mov_b32 s4, exec_lo
                                        ; implicit-def: $vgpr6
	s_delay_alu instid0(VALU_DEP_1) | instskip(NEXT) | instid1(VALU_DEP_1)
	v_and_b32_e32 v7, 0x7fffffff, v3
	v_cmpx_gt_u32_e32 0x43f00000, v7
	s_xor_b32 s4, exec_lo, s4
	s_cbranch_execz .LBB11_2962
; %bb.2957:
	s_mov_b32 s5, exec_lo
                                        ; implicit-def: $vgpr6
	v_cmpx_lt_u32_e32 0x3c7fffff, v7
	s_xor_b32 s5, exec_lo, s5
; %bb.2958:
	v_bfe_u32 v6, v3, 20, 1
	s_delay_alu instid0(VALU_DEP_1) | instskip(NEXT) | instid1(VALU_DEP_1)
	v_add3_u32 v6, v3, v6, 0x407ffff
	v_and_b32_e32 v7, 0xff00000, v6
	v_lshrrev_b32_e32 v6, 20, v6
	s_delay_alu instid0(VALU_DEP_2) | instskip(NEXT) | instid1(VALU_DEP_2)
	v_cmp_ne_u32_e32 vcc_lo, 0x7f00000, v7
	v_cndmask_b32_e32 v6, 0x7e, v6, vcc_lo
; %bb.2959:
	s_and_not1_saveexec_b32 s5, s5
; %bb.2960:
	v_add_f32_e64 v6, 0x46800000, |v3|
; %bb.2961:
	s_or_b32 exec_lo, exec_lo, s5
                                        ; implicit-def: $vgpr7
.LBB11_2962:
	s_and_not1_saveexec_b32 s4, s4
; %bb.2963:
	v_mov_b32_e32 v6, 0x7f
	v_cmp_lt_u32_e32 vcc_lo, 0x7f800000, v7
	s_delay_alu instid0(VALU_DEP_2)
	v_cndmask_b32_e32 v6, 0x7e, v6, vcc_lo
; %bb.2964:
	s_or_b32 exec_lo, exec_lo, s4
	v_lshrrev_b32_e32 v3, 24, v3
	s_delay_alu instid0(VALU_DEP_1)
	v_and_or_b32 v3, 0x80, v3, v6
	global_store_b8 v[4:5], v3, off
.LBB11_2965:
	s_mov_b32 s4, 0
.LBB11_2966:
	s_delay_alu instid0(SALU_CYCLE_1)
	s_and_not1_b32 vcc_lo, exec_lo, s4
	s_cbranch_vccnz .LBB11_2976
; %bb.2967:
	s_wait_xcnt 0x0
	v_cvt_f32_f64_e32 v3, v[60:61]
	s_mov_b32 s4, exec_lo
                                        ; implicit-def: $vgpr6
	s_delay_alu instid0(VALU_DEP_1) | instskip(NEXT) | instid1(VALU_DEP_1)
	v_and_b32_e32 v7, 0x7fffffff, v3
	v_cmpx_gt_u32_e32 0x47800000, v7
	s_xor_b32 s4, exec_lo, s4
	s_cbranch_execz .LBB11_2973
; %bb.2968:
	s_mov_b32 s5, exec_lo
                                        ; implicit-def: $vgpr6
	v_cmpx_lt_u32_e32 0x387fffff, v7
	s_xor_b32 s5, exec_lo, s5
; %bb.2969:
	v_bfe_u32 v6, v3, 21, 1
	s_delay_alu instid0(VALU_DEP_1) | instskip(NEXT) | instid1(VALU_DEP_1)
	v_add3_u32 v6, v3, v6, 0x80fffff
	v_lshrrev_b32_e32 v6, 21, v6
; %bb.2970:
	s_and_not1_saveexec_b32 s5, s5
; %bb.2971:
	v_add_f32_e64 v6, 0x43000000, |v3|
; %bb.2972:
	s_or_b32 exec_lo, exec_lo, s5
                                        ; implicit-def: $vgpr7
.LBB11_2973:
	s_and_not1_saveexec_b32 s4, s4
; %bb.2974:
	v_mov_b32_e32 v6, 0x7f
	v_cmp_lt_u32_e32 vcc_lo, 0x7f800000, v7
	s_delay_alu instid0(VALU_DEP_2)
	v_cndmask_b32_e32 v6, 0x7c, v6, vcc_lo
; %bb.2975:
	s_or_b32 exec_lo, exec_lo, s4
	v_lshrrev_b32_e32 v3, 24, v3
	s_delay_alu instid0(VALU_DEP_1)
	v_and_or_b32 v3, 0x80, v3, v6
	global_store_b8 v[4:5], v3, off
.LBB11_2976:
	s_mov_b32 s4, 0
	s_mov_b32 s5, -1
.LBB11_2977:
	s_and_not1_b32 vcc_lo, exec_lo, s4
	s_mov_b32 s4, 0
	s_cbranch_vccnz .LBB11_2984
; %bb.2978:
	s_cmp_gt_i32 s3, 14
	s_mov_b32 s4, -1
	s_cbranch_scc0 .LBB11_2982
; %bb.2979:
	s_cmp_eq_u32 s3, 15
	s_mov_b32 s0, -1
	s_cbranch_scc0 .LBB11_2981
; %bb.2980:
	s_wait_xcnt 0x0
	v_cvt_f32_f64_e32 v3, v[60:61]
	s_mov_b32 s0, 0
	s_mov_b32 s5, -1
	s_delay_alu instid0(VALU_DEP_1) | instskip(SKIP_1) | instid1(VALU_DEP_2)
	v_bfe_u32 v6, v3, 16, 1
	v_cmp_o_f32_e32 vcc_lo, v3, v3
	v_add3_u32 v6, v3, v6, 0x7fff
	s_delay_alu instid0(VALU_DEP_1) | instskip(NEXT) | instid1(VALU_DEP_1)
	v_lshrrev_b32_e32 v6, 16, v6
	v_cndmask_b32_e32 v3, 0x7fc0, v6, vcc_lo
	global_store_b16 v[4:5], v3, off
.LBB11_2981:
	s_mov_b32 s4, 0
.LBB11_2982:
	s_delay_alu instid0(SALU_CYCLE_1)
	s_and_b32 vcc_lo, exec_lo, s4
	s_mov_b32 s4, 0
	s_cbranch_vccz .LBB11_2984
; %bb.2983:
	s_cmp_lg_u32 s3, 11
	s_mov_b32 s4, -1
	s_cselect_b32 s0, -1, 0
.LBB11_2984:
	s_delay_alu instid0(SALU_CYCLE_1)
	s_and_b32 vcc_lo, exec_lo, s0
	s_cbranch_vccnz .LBB11_3120
; %bb.2985:
	s_and_not1_b32 vcc_lo, exec_lo, s4
	s_cbranch_vccnz .LBB11_2987
.LBB11_2986:
	v_cmp_neq_f64_e32 vcc_lo, 0, v[60:61]
	s_mov_b32 s5, -1
	s_wait_xcnt 0x0
	v_cndmask_b32_e64 v3, 0, 1, vcc_lo
	global_store_b8 v[4:5], v3, off
.LBB11_2987:
	s_mov_b32 s0, 0
	s_branch .LBB11_2989
.LBB11_2988:
	s_mov_b32 s0, -1
	s_mov_b32 s5, 0
.LBB11_2989:
	s_and_b32 vcc_lo, exec_lo, s0
	s_cbranch_vccz .LBB11_3028
; %bb.2990:
	s_and_b32 s0, 0xffff, s1
	s_mov_b32 s3, -1
	s_cmp_lt_i32 s0, 5
	s_cbranch_scc1 .LBB11_3011
; %bb.2991:
	s_cmp_lt_i32 s0, 8
	s_cbranch_scc1 .LBB11_3001
; %bb.2992:
	;; [unrolled: 3-line block ×3, first 2 shown]
	s_cmp_gt_i32 s0, 9
	s_cbranch_scc0 .LBB11_2995
; %bb.2994:
	v_mov_b32_e32 v62, 0
	s_mov_b32 s3, 0
	s_delay_alu instid0(VALU_DEP_1)
	v_mov_b32_e32 v63, v62
	global_store_b128 v[4:5], v[60:63], off
.LBB11_2995:
	s_and_not1_b32 vcc_lo, exec_lo, s3
	s_cbranch_vccnz .LBB11_2997
; %bb.2996:
	s_wait_xcnt 0x0
	v_cvt_f32_f64_e32 v6, v[60:61]
	v_mov_b32_e32 v7, 0
	global_store_b64 v[4:5], v[6:7], off
.LBB11_2997:
	s_mov_b32 s3, 0
.LBB11_2998:
	s_delay_alu instid0(SALU_CYCLE_1)
	s_and_not1_b32 vcc_lo, exec_lo, s3
	s_cbranch_vccnz .LBB11_3000
; %bb.2999:
	s_wait_xcnt 0x0
	v_and_or_b32 v3, 0x1ff, v61, v60
	v_lshrrev_b32_e32 v6, 8, v61
	v_bfe_u32 v7, v61, 20, 11
	s_delay_alu instid0(VALU_DEP_3) | instskip(NEXT) | instid1(VALU_DEP_2)
	v_cmp_ne_u32_e32 vcc_lo, 0, v3
	v_sub_nc_u32_e32 v8, 0x3f1, v7
	v_add_nc_u32_e32 v7, 0xfffffc10, v7
	v_cndmask_b32_e64 v3, 0, 1, vcc_lo
	s_delay_alu instid0(VALU_DEP_1) | instskip(NEXT) | instid1(VALU_DEP_4)
	v_and_or_b32 v3, 0xffe, v6, v3
	v_med3_i32 v6, v8, 0, 13
	s_delay_alu instid0(VALU_DEP_2) | instskip(NEXT) | instid1(VALU_DEP_1)
	v_or_b32_e32 v8, 0x1000, v3
	v_lshrrev_b32_e32 v9, v6, v8
	s_delay_alu instid0(VALU_DEP_1) | instskip(NEXT) | instid1(VALU_DEP_1)
	v_lshlrev_b32_e32 v6, v6, v9
	v_cmp_ne_u32_e32 vcc_lo, v6, v8
	v_lshl_or_b32 v8, v7, 12, v3
	v_cndmask_b32_e64 v6, 0, 1, vcc_lo
	v_cmp_gt_i32_e32 vcc_lo, 1, v7
	s_delay_alu instid0(VALU_DEP_2) | instskip(NEXT) | instid1(VALU_DEP_1)
	v_or_b32_e32 v6, v9, v6
	v_cndmask_b32_e32 v6, v8, v6, vcc_lo
	s_delay_alu instid0(VALU_DEP_1) | instskip(NEXT) | instid1(VALU_DEP_1)
	v_dual_lshrrev_b32 v6, 2, v6 :: v_dual_bitop2_b32 v8, 7, v6 bitop3:0x40
	v_cmp_lt_i32_e32 vcc_lo, 5, v8
	v_cndmask_b32_e64 v9, 0, 1, vcc_lo
	v_cmp_eq_u32_e32 vcc_lo, 3, v8
	v_cndmask_b32_e64 v8, 0, 1, vcc_lo
	v_cmp_ne_u32_e32 vcc_lo, 0, v3
	s_delay_alu instid0(VALU_DEP_2) | instskip(NEXT) | instid1(VALU_DEP_1)
	v_or_b32_e32 v8, v8, v9
	v_dual_mov_b32 v9, 0x7e00 :: v_dual_add_nc_u32 v6, v6, v8
	s_delay_alu instid0(VALU_DEP_1) | instskip(SKIP_2) | instid1(VALU_DEP_4)
	v_cndmask_b32_e32 v3, 0x7c00, v9, vcc_lo
	v_cmp_gt_i32_e32 vcc_lo, 31, v7
	v_lshrrev_b32_e32 v8, 16, v61
	v_cndmask_b32_e32 v6, 0x7c00, v6, vcc_lo
	v_cmp_eq_u32_e32 vcc_lo, 0x40f, v7
	s_delay_alu instid0(VALU_DEP_2) | instskip(NEXT) | instid1(VALU_DEP_4)
	v_cndmask_b32_e32 v3, v6, v3, vcc_lo
	v_and_b32_e32 v6, 0x8000, v8
	s_delay_alu instid0(VALU_DEP_1)
	v_bitop3_b32 v3, v6, 0xffff, v3 bitop3:0xc8
	global_store_b32 v[4:5], v3, off
.LBB11_3000:
	s_mov_b32 s3, 0
.LBB11_3001:
	s_delay_alu instid0(SALU_CYCLE_1)
	s_and_not1_b32 vcc_lo, exec_lo, s3
	s_cbranch_vccnz .LBB11_3010
; %bb.3002:
	s_cmp_lt_i32 s0, 6
	s_mov_b32 s3, -1
	s_cbranch_scc1 .LBB11_3008
; %bb.3003:
	s_cmp_gt_i32 s0, 6
	s_cbranch_scc0 .LBB11_3005
; %bb.3004:
	s_mov_b32 s3, 0
	global_store_b64 v[4:5], v[60:61], off
.LBB11_3005:
	s_and_not1_b32 vcc_lo, exec_lo, s3
	s_cbranch_vccnz .LBB11_3007
; %bb.3006:
	s_wait_xcnt 0x0
	v_cvt_f32_f64_e32 v3, v[60:61]
	global_store_b32 v[4:5], v3, off
.LBB11_3007:
	s_mov_b32 s3, 0
.LBB11_3008:
	s_delay_alu instid0(SALU_CYCLE_1)
	s_and_not1_b32 vcc_lo, exec_lo, s3
	s_cbranch_vccnz .LBB11_3010
; %bb.3009:
	s_wait_xcnt 0x0
	v_and_or_b32 v3, 0x1ff, v61, v60
	v_lshrrev_b32_e32 v6, 8, v61
	v_bfe_u32 v7, v61, 20, 11
	s_delay_alu instid0(VALU_DEP_3) | instskip(NEXT) | instid1(VALU_DEP_2)
	v_cmp_ne_u32_e32 vcc_lo, 0, v3
	v_sub_nc_u32_e32 v8, 0x3f1, v7
	v_add_nc_u32_e32 v7, 0xfffffc10, v7
	v_cndmask_b32_e64 v3, 0, 1, vcc_lo
	s_delay_alu instid0(VALU_DEP_1) | instskip(NEXT) | instid1(VALU_DEP_4)
	v_and_or_b32 v3, 0xffe, v6, v3
	v_med3_i32 v6, v8, 0, 13
	s_delay_alu instid0(VALU_DEP_2) | instskip(NEXT) | instid1(VALU_DEP_1)
	v_or_b32_e32 v8, 0x1000, v3
	v_lshrrev_b32_e32 v9, v6, v8
	s_delay_alu instid0(VALU_DEP_1) | instskip(NEXT) | instid1(VALU_DEP_1)
	v_lshlrev_b32_e32 v6, v6, v9
	v_cmp_ne_u32_e32 vcc_lo, v6, v8
	v_lshl_or_b32 v8, v7, 12, v3
	v_cndmask_b32_e64 v6, 0, 1, vcc_lo
	v_cmp_gt_i32_e32 vcc_lo, 1, v7
	s_delay_alu instid0(VALU_DEP_2) | instskip(NEXT) | instid1(VALU_DEP_1)
	v_or_b32_e32 v6, v9, v6
	v_cndmask_b32_e32 v6, v8, v6, vcc_lo
	s_delay_alu instid0(VALU_DEP_1) | instskip(NEXT) | instid1(VALU_DEP_1)
	v_dual_lshrrev_b32 v6, 2, v6 :: v_dual_bitop2_b32 v8, 7, v6 bitop3:0x40
	v_cmp_lt_i32_e32 vcc_lo, 5, v8
	v_cndmask_b32_e64 v9, 0, 1, vcc_lo
	v_cmp_eq_u32_e32 vcc_lo, 3, v8
	v_cndmask_b32_e64 v8, 0, 1, vcc_lo
	v_cmp_ne_u32_e32 vcc_lo, 0, v3
	s_delay_alu instid0(VALU_DEP_2) | instskip(NEXT) | instid1(VALU_DEP_1)
	v_or_b32_e32 v8, v8, v9
	v_dual_mov_b32 v9, 0x7e00 :: v_dual_add_nc_u32 v6, v6, v8
	s_delay_alu instid0(VALU_DEP_1) | instskip(SKIP_1) | instid1(VALU_DEP_3)
	v_cndmask_b32_e32 v3, 0x7c00, v9, vcc_lo
	v_cmp_gt_i32_e32 vcc_lo, 31, v7
	v_cndmask_b32_e32 v6, 0x7c00, v6, vcc_lo
	v_cmp_eq_u32_e32 vcc_lo, 0x40f, v7
	s_delay_alu instid0(VALU_DEP_2) | instskip(NEXT) | instid1(VALU_DEP_1)
	v_dual_cndmask_b32 v3, v6, v3 :: v_dual_lshrrev_b32 v6, 16, v61
	v_and_or_b32 v3, 0x8000, v6, v3
	global_store_b16 v[4:5], v3, off
.LBB11_3010:
	s_mov_b32 s3, 0
.LBB11_3011:
	s_delay_alu instid0(SALU_CYCLE_1)
	s_and_not1_b32 vcc_lo, exec_lo, s3
	s_cbranch_vccnz .LBB11_3027
; %bb.3012:
	s_cmp_lt_i32 s0, 2
	s_mov_b32 s3, -1
	s_cbranch_scc1 .LBB11_3022
; %bb.3013:
	s_cmp_lt_i32 s0, 3
	s_cbranch_scc1 .LBB11_3019
; %bb.3014:
	s_cmp_gt_i32 s0, 3
	s_cbranch_scc0 .LBB11_3016
; %bb.3015:
	s_wait_xcnt 0x0
	v_trunc_f64_e32 v[6:7], v[60:61]
	s_mov_b32 s3, 0
	s_delay_alu instid0(VALU_DEP_1) | instskip(NEXT) | instid1(VALU_DEP_1)
	v_ldexp_f64 v[8:9], v[6:7], 0xffffffe0
	v_floor_f64_e32 v[8:9], v[8:9]
	s_delay_alu instid0(VALU_DEP_1) | instskip(SKIP_1) | instid1(VALU_DEP_2)
	v_fmamk_f64 v[6:7], v[8:9], 0xc1f00000, v[6:7]
	v_cvt_i32_f64_e32 v9, v[8:9]
	v_cvt_u32_f64_e32 v8, v[6:7]
	global_store_b64 v[4:5], v[8:9], off
.LBB11_3016:
	s_and_not1_b32 vcc_lo, exec_lo, s3
	s_cbranch_vccnz .LBB11_3018
; %bb.3017:
	s_wait_xcnt 0x0
	v_cvt_i32_f64_e32 v3, v[60:61]
	global_store_b32 v[4:5], v3, off
.LBB11_3018:
	s_mov_b32 s3, 0
.LBB11_3019:
	s_delay_alu instid0(SALU_CYCLE_1)
	s_and_not1_b32 vcc_lo, exec_lo, s3
	s_cbranch_vccnz .LBB11_3021
; %bb.3020:
	s_wait_xcnt 0x0
	v_cvt_i32_f64_e32 v3, v[60:61]
	global_store_b16 v[4:5], v3, off
.LBB11_3021:
	s_mov_b32 s3, 0
.LBB11_3022:
	s_delay_alu instid0(SALU_CYCLE_1)
	s_and_not1_b32 vcc_lo, exec_lo, s3
	s_cbranch_vccnz .LBB11_3027
; %bb.3023:
	s_cmp_gt_i32 s0, 0
	s_mov_b32 s0, -1
	s_cbranch_scc0 .LBB11_3025
; %bb.3024:
	s_wait_xcnt 0x0
	v_cvt_i32_f64_e32 v3, v[60:61]
	s_mov_b32 s0, 0
	global_store_b8 v[4:5], v3, off
.LBB11_3025:
	s_and_not1_b32 vcc_lo, exec_lo, s0
	s_cbranch_vccnz .LBB11_3027
; %bb.3026:
	s_wait_xcnt 0x0
	v_trunc_f64_e32 v[6:7], v[60:61]
	s_delay_alu instid0(VALU_DEP_1) | instskip(NEXT) | instid1(VALU_DEP_1)
	v_ldexp_f64 v[8:9], v[6:7], 0xffffffe0
	v_floor_f64_e32 v[8:9], v[8:9]
	s_delay_alu instid0(VALU_DEP_1) | instskip(NEXT) | instid1(VALU_DEP_1)
	v_fmamk_f64 v[6:7], v[8:9], 0xc1f00000, v[6:7]
	v_cvt_u32_f64_e32 v3, v[6:7]
	global_store_b8 v[4:5], v3, off
.LBB11_3027:
	s_mov_b32 s5, -1
.LBB11_3028:
	s_delay_alu instid0(SALU_CYCLE_1)
	s_and_not1_b32 vcc_lo, exec_lo, s5
	s_cbranch_vccnz .LBB11_3105
; %bb.3029:
	v_add_nc_u32_e32 v2, s2, v2
	s_cmp_lt_i32 s1, 11
	s_wait_xcnt 0x0
	s_delay_alu instid0(VALU_DEP_1) | instskip(NEXT) | instid1(VALU_DEP_1)
	v_ashrrev_i32_e32 v3, 31, v2
	v_add_nc_u64_e32 v[4:5], s[36:37], v[2:3]
	s_cbranch_scc1 .LBB11_3106
; %bb.3030:
	s_and_b32 s2, 0xffff, s1
	s_mov_b32 s4, -1
	s_mov_b32 s3, 0
	s_cmp_gt_i32 s2, 25
	s_mov_b32 s0, 0
	s_cbranch_scc0 .LBB11_3063
; %bb.3031:
	s_cmp_gt_i32 s2, 28
	s_cbranch_scc0 .LBB11_3047
; %bb.3032:
	s_cmp_gt_i32 s2, 43
	s_cbranch_scc0 .LBB11_3043
; %bb.3033:
	s_cmp_gt_i32 s2, 45
	s_cbranch_scc0 .LBB11_3037
; %bb.3034:
	s_cmp_eq_u32 s2, 46
	s_mov_b32 s0, -1
	s_cbranch_scc0 .LBB11_3036
; %bb.3035:
	v_cvt_f32_f64_e32 v2, v[0:1]
	s_mov_b32 s0, 0
	s_delay_alu instid0(VALU_DEP_1) | instskip(SKIP_1) | instid1(VALU_DEP_2)
	v_bfe_u32 v3, v2, 16, 1
	v_cmp_o_f32_e32 vcc_lo, v2, v2
	v_add3_u32 v3, v2, v3, 0x7fff
	s_delay_alu instid0(VALU_DEP_1) | instskip(NEXT) | instid1(VALU_DEP_1)
	v_lshrrev_b32_e32 v3, 16, v3
	v_cndmask_b32_e32 v2, 0x7fc0, v3, vcc_lo
	global_store_b32 v[4:5], v2, off
.LBB11_3036:
	s_mov_b32 s4, 0
.LBB11_3037:
	s_delay_alu instid0(SALU_CYCLE_1)
	s_and_b32 vcc_lo, exec_lo, s4
	s_cbranch_vccz .LBB11_3042
; %bb.3038:
	s_cmp_eq_u32 s2, 44
	s_mov_b32 s0, -1
	s_cbranch_scc0 .LBB11_3042
; %bb.3039:
	s_wait_xcnt 0x0
	v_cvt_f32_f64_e32 v2, v[0:1]
	v_mov_b32_e32 v3, 0xff
	s_mov_b32 s4, exec_lo
	s_delay_alu instid0(VALU_DEP_2) | instskip(NEXT) | instid1(VALU_DEP_1)
	v_bfe_u32 v6, v2, 23, 8
	v_cmpx_ne_u32_e32 0xff, v6
	s_cbranch_execz .LBB11_3041
; %bb.3040:
	v_and_b32_e32 v3, 0x400000, v2
	v_and_or_b32 v6, 0x3fffff, v2, v6
	v_lshrrev_b32_e32 v2, 23, v2
	s_delay_alu instid0(VALU_DEP_3) | instskip(NEXT) | instid1(VALU_DEP_3)
	v_cmp_ne_u32_e32 vcc_lo, 0, v3
	v_cmp_ne_u32_e64 s0, 0, v6
	s_and_b32 s0, vcc_lo, s0
	s_delay_alu instid0(SALU_CYCLE_1) | instskip(NEXT) | instid1(VALU_DEP_1)
	v_cndmask_b32_e64 v3, 0, 1, s0
	v_add_nc_u32_e32 v3, v2, v3
.LBB11_3041:
	s_or_b32 exec_lo, exec_lo, s4
	s_mov_b32 s0, 0
	global_store_b8 v[4:5], v3, off
.LBB11_3042:
	s_mov_b32 s4, 0
.LBB11_3043:
	s_delay_alu instid0(SALU_CYCLE_1)
	s_and_b32 vcc_lo, exec_lo, s4
	s_cbranch_vccz .LBB11_3046
; %bb.3044:
	s_cmp_eq_u32 s2, 29
	s_mov_b32 s0, -1
	s_cbranch_scc0 .LBB11_3046
; %bb.3045:
	s_wait_xcnt 0x0
	v_trunc_f64_e32 v[2:3], v[0:1]
	s_mov_b32 s0, 0
	s_delay_alu instid0(VALU_DEP_1) | instskip(NEXT) | instid1(VALU_DEP_1)
	v_ldexp_f64 v[6:7], v[2:3], 0xffffffe0
	v_floor_f64_e32 v[6:7], v[6:7]
	s_delay_alu instid0(VALU_DEP_1) | instskip(SKIP_1) | instid1(VALU_DEP_2)
	v_fmamk_f64 v[2:3], v[6:7], 0xc1f00000, v[2:3]
	v_cvt_u32_f64_e32 v7, v[6:7]
	v_cvt_u32_f64_e32 v6, v[2:3]
	global_store_b64 v[4:5], v[6:7], off
.LBB11_3046:
	s_mov_b32 s4, 0
.LBB11_3047:
	s_delay_alu instid0(SALU_CYCLE_1)
	s_and_b32 vcc_lo, exec_lo, s4
	s_cbranch_vccz .LBB11_3062
; %bb.3048:
	s_cmp_lt_i32 s2, 27
	s_mov_b32 s4, -1
	s_cbranch_scc1 .LBB11_3054
; %bb.3049:
	s_wait_xcnt 0x0
	v_cvt_u32_f64_e32 v2, v[0:1]
	s_cmp_gt_i32 s2, 27
	s_cbranch_scc0 .LBB11_3051
; %bb.3050:
	s_mov_b32 s4, 0
	global_store_b32 v[4:5], v2, off
.LBB11_3051:
	s_and_not1_b32 vcc_lo, exec_lo, s4
	s_cbranch_vccnz .LBB11_3053
; %bb.3052:
	global_store_b16 v[4:5], v2, off
.LBB11_3053:
	s_mov_b32 s4, 0
.LBB11_3054:
	s_delay_alu instid0(SALU_CYCLE_1)
	s_and_not1_b32 vcc_lo, exec_lo, s4
	s_cbranch_vccnz .LBB11_3062
; %bb.3055:
	s_wait_xcnt 0x0
	v_cvt_f32_f64_e32 v2, v[0:1]
	v_mov_b32_e32 v6, 0x80
	s_mov_b32 s4, exec_lo
	s_delay_alu instid0(VALU_DEP_2) | instskip(NEXT) | instid1(VALU_DEP_1)
	v_and_b32_e32 v3, 0x7fffffff, v2
	v_cmpx_gt_u32_e32 0x43800000, v3
	s_cbranch_execz .LBB11_3061
; %bb.3056:
	v_cmp_lt_u32_e32 vcc_lo, 0x3bffffff, v3
	s_mov_b32 s5, 0
                                        ; implicit-def: $vgpr3
	s_and_saveexec_b32 s6, vcc_lo
	s_delay_alu instid0(SALU_CYCLE_1)
	s_xor_b32 s6, exec_lo, s6
	s_cbranch_execz .LBB11_3123
; %bb.3057:
	v_bfe_u32 v3, v2, 20, 1
	s_mov_b32 s5, exec_lo
	s_delay_alu instid0(VALU_DEP_1) | instskip(NEXT) | instid1(VALU_DEP_1)
	v_add3_u32 v3, v2, v3, 0x487ffff
	v_lshrrev_b32_e32 v3, 20, v3
	s_and_not1_saveexec_b32 s6, s6
	s_cbranch_execnz .LBB11_3124
.LBB11_3058:
	s_or_b32 exec_lo, exec_lo, s6
	v_mov_b32_e32 v6, 0
	s_and_saveexec_b32 s6, s5
.LBB11_3059:
	v_lshrrev_b32_e32 v2, 24, v2
	s_delay_alu instid0(VALU_DEP_1)
	v_and_or_b32 v6, 0x80, v2, v3
.LBB11_3060:
	s_or_b32 exec_lo, exec_lo, s6
.LBB11_3061:
	s_delay_alu instid0(SALU_CYCLE_1)
	s_or_b32 exec_lo, exec_lo, s4
	global_store_b8 v[4:5], v6, off
.LBB11_3062:
	s_mov_b32 s4, 0
.LBB11_3063:
	s_delay_alu instid0(SALU_CYCLE_1)
	s_and_b32 vcc_lo, exec_lo, s4
	s_cbranch_vccz .LBB11_3103
; %bb.3064:
	s_cmp_gt_i32 s2, 22
	s_mov_b32 s3, -1
	s_cbranch_scc0 .LBB11_3096
; %bb.3065:
	s_cmp_lt_i32 s2, 24
	s_cbranch_scc1 .LBB11_3085
; %bb.3066:
	s_cmp_gt_i32 s2, 24
	s_cbranch_scc0 .LBB11_3074
; %bb.3067:
	s_wait_xcnt 0x0
	v_cvt_f32_f64_e32 v2, v[0:1]
	v_mov_b32_e32 v6, 0x80
	s_mov_b32 s3, exec_lo
	s_delay_alu instid0(VALU_DEP_2) | instskip(NEXT) | instid1(VALU_DEP_1)
	v_and_b32_e32 v3, 0x7fffffff, v2
	v_cmpx_gt_u32_e32 0x47800000, v3
	s_cbranch_execz .LBB11_3073
; %bb.3068:
	v_cmp_lt_u32_e32 vcc_lo, 0x37ffffff, v3
	s_mov_b32 s4, 0
                                        ; implicit-def: $vgpr3
	s_and_saveexec_b32 s5, vcc_lo
	s_delay_alu instid0(SALU_CYCLE_1)
	s_xor_b32 s5, exec_lo, s5
	s_cbranch_execz .LBB11_3126
; %bb.3069:
	v_bfe_u32 v3, v2, 21, 1
	s_mov_b32 s4, exec_lo
	s_delay_alu instid0(VALU_DEP_1) | instskip(NEXT) | instid1(VALU_DEP_1)
	v_add3_u32 v3, v2, v3, 0x88fffff
	v_lshrrev_b32_e32 v3, 21, v3
	s_and_not1_saveexec_b32 s5, s5
	s_cbranch_execnz .LBB11_3127
.LBB11_3070:
	s_or_b32 exec_lo, exec_lo, s5
	v_mov_b32_e32 v6, 0
	s_and_saveexec_b32 s5, s4
.LBB11_3071:
	v_lshrrev_b32_e32 v2, 24, v2
	s_delay_alu instid0(VALU_DEP_1)
	v_and_or_b32 v6, 0x80, v2, v3
.LBB11_3072:
	s_or_b32 exec_lo, exec_lo, s5
.LBB11_3073:
	s_delay_alu instid0(SALU_CYCLE_1)
	s_or_b32 exec_lo, exec_lo, s3
	s_mov_b32 s3, 0
	global_store_b8 v[4:5], v6, off
.LBB11_3074:
	s_and_b32 vcc_lo, exec_lo, s3
	s_cbranch_vccz .LBB11_3084
; %bb.3075:
	s_wait_xcnt 0x0
	v_cvt_f32_f64_e32 v2, v[0:1]
	s_mov_b32 s3, exec_lo
                                        ; implicit-def: $vgpr3
	s_delay_alu instid0(VALU_DEP_1) | instskip(NEXT) | instid1(VALU_DEP_1)
	v_and_b32_e32 v6, 0x7fffffff, v2
	v_cmpx_gt_u32_e32 0x43f00000, v6
	s_xor_b32 s3, exec_lo, s3
	s_cbranch_execz .LBB11_3081
; %bb.3076:
	s_mov_b32 s4, exec_lo
                                        ; implicit-def: $vgpr3
	v_cmpx_lt_u32_e32 0x3c7fffff, v6
	s_xor_b32 s4, exec_lo, s4
; %bb.3077:
	v_bfe_u32 v3, v2, 20, 1
	s_delay_alu instid0(VALU_DEP_1) | instskip(NEXT) | instid1(VALU_DEP_1)
	v_add3_u32 v3, v2, v3, 0x407ffff
	v_and_b32_e32 v6, 0xff00000, v3
	v_lshrrev_b32_e32 v3, 20, v3
	s_delay_alu instid0(VALU_DEP_2) | instskip(NEXT) | instid1(VALU_DEP_2)
	v_cmp_ne_u32_e32 vcc_lo, 0x7f00000, v6
	v_cndmask_b32_e32 v3, 0x7e, v3, vcc_lo
; %bb.3078:
	s_and_not1_saveexec_b32 s4, s4
; %bb.3079:
	v_add_f32_e64 v3, 0x46800000, |v2|
; %bb.3080:
	s_or_b32 exec_lo, exec_lo, s4
                                        ; implicit-def: $vgpr6
.LBB11_3081:
	s_and_not1_saveexec_b32 s3, s3
; %bb.3082:
	v_mov_b32_e32 v3, 0x7f
	v_cmp_lt_u32_e32 vcc_lo, 0x7f800000, v6
	s_delay_alu instid0(VALU_DEP_2)
	v_cndmask_b32_e32 v3, 0x7e, v3, vcc_lo
; %bb.3083:
	s_or_b32 exec_lo, exec_lo, s3
	v_lshrrev_b32_e32 v2, 24, v2
	s_delay_alu instid0(VALU_DEP_1)
	v_and_or_b32 v2, 0x80, v2, v3
	global_store_b8 v[4:5], v2, off
.LBB11_3084:
	s_mov_b32 s3, 0
.LBB11_3085:
	s_delay_alu instid0(SALU_CYCLE_1)
	s_and_not1_b32 vcc_lo, exec_lo, s3
	s_cbranch_vccnz .LBB11_3095
; %bb.3086:
	s_wait_xcnt 0x0
	v_cvt_f32_f64_e32 v2, v[0:1]
	s_mov_b32 s3, exec_lo
                                        ; implicit-def: $vgpr3
	s_delay_alu instid0(VALU_DEP_1) | instskip(NEXT) | instid1(VALU_DEP_1)
	v_and_b32_e32 v6, 0x7fffffff, v2
	v_cmpx_gt_u32_e32 0x47800000, v6
	s_xor_b32 s3, exec_lo, s3
	s_cbranch_execz .LBB11_3092
; %bb.3087:
	s_mov_b32 s4, exec_lo
                                        ; implicit-def: $vgpr3
	v_cmpx_lt_u32_e32 0x387fffff, v6
	s_xor_b32 s4, exec_lo, s4
; %bb.3088:
	v_bfe_u32 v3, v2, 21, 1
	s_delay_alu instid0(VALU_DEP_1) | instskip(NEXT) | instid1(VALU_DEP_1)
	v_add3_u32 v3, v2, v3, 0x80fffff
	v_lshrrev_b32_e32 v3, 21, v3
; %bb.3089:
	s_and_not1_saveexec_b32 s4, s4
; %bb.3090:
	v_add_f32_e64 v3, 0x43000000, |v2|
; %bb.3091:
	s_or_b32 exec_lo, exec_lo, s4
                                        ; implicit-def: $vgpr6
.LBB11_3092:
	s_and_not1_saveexec_b32 s3, s3
; %bb.3093:
	v_mov_b32_e32 v3, 0x7f
	v_cmp_lt_u32_e32 vcc_lo, 0x7f800000, v6
	s_delay_alu instid0(VALU_DEP_2)
	v_cndmask_b32_e32 v3, 0x7c, v3, vcc_lo
; %bb.3094:
	s_or_b32 exec_lo, exec_lo, s3
	v_lshrrev_b32_e32 v2, 24, v2
	s_delay_alu instid0(VALU_DEP_1)
	v_and_or_b32 v2, 0x80, v2, v3
	global_store_b8 v[4:5], v2, off
.LBB11_3095:
	s_mov_b32 s3, 0
.LBB11_3096:
	s_delay_alu instid0(SALU_CYCLE_1)
	s_and_not1_b32 vcc_lo, exec_lo, s3
	s_mov_b32 s3, 0
	s_cbranch_vccnz .LBB11_3103
; %bb.3097:
	s_cmp_gt_i32 s2, 14
	s_mov_b32 s3, -1
	s_cbranch_scc0 .LBB11_3101
; %bb.3098:
	s_cmp_eq_u32 s2, 15
	s_mov_b32 s0, -1
	s_cbranch_scc0 .LBB11_3100
; %bb.3099:
	s_wait_xcnt 0x0
	v_cvt_f32_f64_e32 v2, v[0:1]
	s_mov_b32 s0, 0
	s_delay_alu instid0(VALU_DEP_1) | instskip(SKIP_1) | instid1(VALU_DEP_2)
	v_bfe_u32 v3, v2, 16, 1
	v_cmp_o_f32_e32 vcc_lo, v2, v2
	v_add3_u32 v3, v2, v3, 0x7fff
	s_delay_alu instid0(VALU_DEP_1) | instskip(NEXT) | instid1(VALU_DEP_1)
	v_lshrrev_b32_e32 v3, 16, v3
	v_cndmask_b32_e32 v2, 0x7fc0, v3, vcc_lo
	global_store_b16 v[4:5], v2, off
.LBB11_3100:
	s_mov_b32 s3, 0
.LBB11_3101:
	s_delay_alu instid0(SALU_CYCLE_1)
	s_and_b32 vcc_lo, exec_lo, s3
	s_mov_b32 s3, 0
	s_cbranch_vccz .LBB11_3103
; %bb.3102:
	s_cmp_lg_u32 s2, 11
	s_mov_b32 s3, -1
	s_cselect_b32 s0, -1, 0
.LBB11_3103:
	s_delay_alu instid0(SALU_CYCLE_1)
	s_and_b32 vcc_lo, exec_lo, s0
	s_cbranch_vccnz .LBB11_3125
.LBB11_3104:
	s_mov_b32 s0, 0
	s_branch .LBB11_2625
.LBB11_3105:
	s_mov_b32 s0, 0
	s_mov_b32 s3, 0
                                        ; implicit-def: $sgpr1
                                        ; implicit-def: $vgpr4_vgpr5
	s_branch .LBB11_2625
.LBB11_3106:
	s_mov_b32 s3, 0
	s_mov_b32 s0, -1
	s_branch .LBB11_2625
.LBB11_3107:
	s_or_b32 s50, s50, exec_lo
	s_trap 2
	s_cbranch_execz .LBB11_2570
	s_branch .LBB11_2571
.LBB11_3108:
	s_and_not1_saveexec_b32 s6, s6
	s_cbranch_execz .LBB11_2700
.LBB11_3109:
	v_add_f32_e64 v6, 0x46000000, |v3|
	s_and_not1_b32 s5, s5, exec_lo
	s_delay_alu instid0(VALU_DEP_1) | instskip(NEXT) | instid1(VALU_DEP_1)
	v_and_b32_e32 v6, 0xff, v6
	v_cmp_ne_u32_e32 vcc_lo, 0, v6
	s_and_b32 s7, vcc_lo, exec_lo
	s_delay_alu instid0(SALU_CYCLE_1)
	s_or_b32 s5, s5, s7
	s_or_b32 exec_lo, exec_lo, s6
	v_mov_b32_e32 v7, 0
	s_and_saveexec_b32 s6, s5
	s_cbranch_execnz .LBB11_2701
	s_branch .LBB11_2702
.LBB11_3110:
	s_or_b32 s50, s50, exec_lo
	s_trap 2
	s_cbranch_execz .LBB11_2748
	s_branch .LBB11_2749
.LBB11_3111:
	s_and_not1_saveexec_b32 s5, s5
	s_cbranch_execz .LBB11_2713
.LBB11_3112:
	v_add_f32_e64 v6, 0x42800000, |v3|
	s_and_not1_b32 s4, s4, exec_lo
	s_delay_alu instid0(VALU_DEP_1) | instskip(NEXT) | instid1(VALU_DEP_1)
	v_and_b32_e32 v6, 0xff, v6
	v_cmp_ne_u32_e32 vcc_lo, 0, v6
	s_and_b32 s6, vcc_lo, exec_lo
	s_delay_alu instid0(SALU_CYCLE_1)
	s_or_b32 s4, s4, s6
	s_or_b32 exec_lo, exec_lo, s5
	v_mov_b32_e32 v7, 0
	s_and_saveexec_b32 s5, s4
	s_cbranch_execnz .LBB11_2714
	s_branch .LBB11_2715
.LBB11_3113:
	s_and_not1_saveexec_b32 s7, s7
	s_cbranch_execz .LBB11_2819
.LBB11_3114:
	v_add_f32_e64 v6, 0x46000000, |v3|
	s_and_not1_b32 s6, s6, exec_lo
	s_delay_alu instid0(VALU_DEP_1) | instskip(NEXT) | instid1(VALU_DEP_1)
	v_and_b32_e32 v6, 0xff, v6
	v_cmp_ne_u32_e32 vcc_lo, 0, v6
	s_and_b32 s8, vcc_lo, exec_lo
	s_delay_alu instid0(SALU_CYCLE_1)
	s_or_b32 s6, s6, s8
	s_or_b32 exec_lo, exec_lo, s7
	v_mov_b32_e32 v7, 0
	s_and_saveexec_b32 s7, s6
	s_cbranch_execnz .LBB11_2820
	s_branch .LBB11_2821
.LBB11_3115:
	s_or_b32 s50, s50, exec_lo
	s_trap 2
	s_cbranch_execz .LBB11_2867
	s_branch .LBB11_2868
.LBB11_3116:
	s_and_not1_saveexec_b32 s6, s6
	s_cbranch_execz .LBB11_2832
.LBB11_3117:
	v_add_f32_e64 v6, 0x42800000, |v3|
	s_and_not1_b32 s5, s5, exec_lo
	s_delay_alu instid0(VALU_DEP_1) | instskip(NEXT) | instid1(VALU_DEP_1)
	v_and_b32_e32 v6, 0xff, v6
	v_cmp_ne_u32_e32 vcc_lo, 0, v6
	s_and_b32 s7, vcc_lo, exec_lo
	s_delay_alu instid0(SALU_CYCLE_1)
	s_or_b32 s5, s5, s7
	s_or_b32 exec_lo, exec_lo, s6
	v_mov_b32_e32 v7, 0
	s_and_saveexec_b32 s6, s5
	s_cbranch_execnz .LBB11_2833
	s_branch .LBB11_2834
.LBB11_3118:
	s_and_not1_saveexec_b32 s7, s7
	s_cbranch_execz .LBB11_2938
.LBB11_3119:
	v_add_f32_e64 v6, 0x46000000, |v3|
	s_and_not1_b32 s6, s6, exec_lo
	s_delay_alu instid0(VALU_DEP_1) | instskip(NEXT) | instid1(VALU_DEP_1)
	v_and_b32_e32 v6, 0xff, v6
	v_cmp_ne_u32_e32 vcc_lo, 0, v6
	s_and_b32 s8, vcc_lo, exec_lo
	s_delay_alu instid0(SALU_CYCLE_1)
	s_or_b32 s6, s6, s8
	s_or_b32 exec_lo, exec_lo, s7
	v_mov_b32_e32 v7, 0
	s_and_saveexec_b32 s7, s6
	s_cbranch_execnz .LBB11_2939
	s_branch .LBB11_2940
.LBB11_3120:
	s_or_b32 s50, s50, exec_lo
	s_trap 2
	s_cbranch_execz .LBB11_2986
	s_branch .LBB11_2987
.LBB11_3121:
	s_and_not1_saveexec_b32 s6, s6
	s_cbranch_execz .LBB11_2951
.LBB11_3122:
	v_add_f32_e64 v6, 0x42800000, |v3|
	s_and_not1_b32 s5, s5, exec_lo
	s_delay_alu instid0(VALU_DEP_1) | instskip(NEXT) | instid1(VALU_DEP_1)
	v_and_b32_e32 v6, 0xff, v6
	v_cmp_ne_u32_e32 vcc_lo, 0, v6
	s_and_b32 s7, vcc_lo, exec_lo
	s_delay_alu instid0(SALU_CYCLE_1)
	s_or_b32 s5, s5, s7
	s_or_b32 exec_lo, exec_lo, s6
	v_mov_b32_e32 v7, 0
	s_and_saveexec_b32 s6, s5
	s_cbranch_execnz .LBB11_2952
	s_branch .LBB11_2953
.LBB11_3123:
	s_and_not1_saveexec_b32 s6, s6
	s_cbranch_execz .LBB11_3058
.LBB11_3124:
	v_add_f32_e64 v3, 0x46000000, |v2|
	s_and_not1_b32 s5, s5, exec_lo
	s_delay_alu instid0(VALU_DEP_1) | instskip(NEXT) | instid1(VALU_DEP_1)
	v_and_b32_e32 v3, 0xff, v3
	v_cmp_ne_u32_e32 vcc_lo, 0, v3
	s_and_b32 s7, vcc_lo, exec_lo
	s_delay_alu instid0(SALU_CYCLE_1)
	s_or_b32 s5, s5, s7
	s_or_b32 exec_lo, exec_lo, s6
	v_mov_b32_e32 v6, 0
	s_and_saveexec_b32 s6, s5
	s_cbranch_execnz .LBB11_3059
	s_branch .LBB11_3060
.LBB11_3125:
	s_mov_b32 s3, 0
	s_or_b32 s50, s50, exec_lo
	s_trap 2
	s_branch .LBB11_3104
.LBB11_3126:
	s_and_not1_saveexec_b32 s5, s5
	s_cbranch_execz .LBB11_3070
.LBB11_3127:
	v_add_f32_e64 v3, 0x42800000, |v2|
	s_and_not1_b32 s4, s4, exec_lo
	s_delay_alu instid0(VALU_DEP_1) | instskip(NEXT) | instid1(VALU_DEP_1)
	v_and_b32_e32 v3, 0xff, v3
	v_cmp_ne_u32_e32 vcc_lo, 0, v3
	s_and_b32 s6, vcc_lo, exec_lo
	s_delay_alu instid0(SALU_CYCLE_1)
	s_or_b32 s4, s4, s6
	s_or_b32 exec_lo, exec_lo, s5
	v_mov_b32_e32 v6, 0
	s_and_saveexec_b32 s5, s4
	s_cbranch_execnz .LBB11_3071
	s_branch .LBB11_3072
	.section	.rodata,"a",@progbits
	.p2align	6, 0x0
	.amdhsa_kernel _ZN2at6native32elementwise_kernel_manual_unrollILi128ELi4EZNS0_15gpu_kernel_implIN12_GLOBAL__N_110CalcIgammaIdEEEEvRNS_18TensorIteratorBaseERKT_EUlibE_EEviT1_
		.amdhsa_group_segment_fixed_size 0
		.amdhsa_private_segment_fixed_size 240
		.amdhsa_kernarg_size 48
		.amdhsa_user_sgpr_count 2
		.amdhsa_user_sgpr_dispatch_ptr 0
		.amdhsa_user_sgpr_queue_ptr 0
		.amdhsa_user_sgpr_kernarg_segment_ptr 1
		.amdhsa_user_sgpr_dispatch_id 0
		.amdhsa_user_sgpr_kernarg_preload_length 0
		.amdhsa_user_sgpr_kernarg_preload_offset 0
		.amdhsa_user_sgpr_private_segment_size 0
		.amdhsa_wavefront_size32 1
		.amdhsa_uses_dynamic_stack 0
		.amdhsa_enable_private_segment 1
		.amdhsa_system_sgpr_workgroup_id_x 1
		.amdhsa_system_sgpr_workgroup_id_y 0
		.amdhsa_system_sgpr_workgroup_id_z 0
		.amdhsa_system_sgpr_workgroup_info 0
		.amdhsa_system_vgpr_workitem_id 0
		.amdhsa_next_free_vgpr 120
		.amdhsa_next_free_sgpr 66
		.amdhsa_named_barrier_count 0
		.amdhsa_reserve_vcc 1
		.amdhsa_float_round_mode_32 0
		.amdhsa_float_round_mode_16_64 0
		.amdhsa_float_denorm_mode_32 3
		.amdhsa_float_denorm_mode_16_64 3
		.amdhsa_fp16_overflow 0
		.amdhsa_memory_ordered 1
		.amdhsa_forward_progress 1
		.amdhsa_inst_pref_size 255
		.amdhsa_round_robin_scheduling 0
		.amdhsa_exception_fp_ieee_invalid_op 0
		.amdhsa_exception_fp_denorm_src 0
		.amdhsa_exception_fp_ieee_div_zero 0
		.amdhsa_exception_fp_ieee_overflow 0
		.amdhsa_exception_fp_ieee_underflow 0
		.amdhsa_exception_fp_ieee_inexact 0
		.amdhsa_exception_int_div_zero 0
	.end_amdhsa_kernel
	.section	.text._ZN2at6native32elementwise_kernel_manual_unrollILi128ELi4EZNS0_15gpu_kernel_implIN12_GLOBAL__N_110CalcIgammaIdEEEEvRNS_18TensorIteratorBaseERKT_EUlibE_EEviT1_,"axG",@progbits,_ZN2at6native32elementwise_kernel_manual_unrollILi128ELi4EZNS0_15gpu_kernel_implIN12_GLOBAL__N_110CalcIgammaIdEEEEvRNS_18TensorIteratorBaseERKT_EUlibE_EEviT1_,comdat
.Lfunc_end11:
	.size	_ZN2at6native32elementwise_kernel_manual_unrollILi128ELi4EZNS0_15gpu_kernel_implIN12_GLOBAL__N_110CalcIgammaIdEEEEvRNS_18TensorIteratorBaseERKT_EUlibE_EEviT1_, .Lfunc_end11-_ZN2at6native32elementwise_kernel_manual_unrollILi128ELi4EZNS0_15gpu_kernel_implIN12_GLOBAL__N_110CalcIgammaIdEEEEvRNS_18TensorIteratorBaseERKT_EUlibE_EEviT1_
                                        ; -- End function
	.set _ZN2at6native32elementwise_kernel_manual_unrollILi128ELi4EZNS0_15gpu_kernel_implIN12_GLOBAL__N_110CalcIgammaIdEEEEvRNS_18TensorIteratorBaseERKT_EUlibE_EEviT1_.num_vgpr, max(73, .L_ZN12_GLOBAL__N_111calc_igammaIdEET_S1_S1_.num_vgpr, .L_ZN12_GLOBAL__N_112calc_igammacIdEET_S1_S1_.num_vgpr)
	.set _ZN2at6native32elementwise_kernel_manual_unrollILi128ELi4EZNS0_15gpu_kernel_implIN12_GLOBAL__N_110CalcIgammaIdEEEEvRNS_18TensorIteratorBaseERKT_EUlibE_EEviT1_.num_agpr, max(0, .L_ZN12_GLOBAL__N_111calc_igammaIdEET_S1_S1_.num_agpr, .L_ZN12_GLOBAL__N_112calc_igammacIdEET_S1_S1_.num_agpr)
	.set _ZN2at6native32elementwise_kernel_manual_unrollILi128ELi4EZNS0_15gpu_kernel_implIN12_GLOBAL__N_110CalcIgammaIdEEEEvRNS_18TensorIteratorBaseERKT_EUlibE_EEviT1_.numbered_sgpr, max(66, .L_ZN12_GLOBAL__N_111calc_igammaIdEET_S1_S1_.numbered_sgpr, .L_ZN12_GLOBAL__N_112calc_igammacIdEET_S1_S1_.numbered_sgpr)
	.set _ZN2at6native32elementwise_kernel_manual_unrollILi128ELi4EZNS0_15gpu_kernel_implIN12_GLOBAL__N_110CalcIgammaIdEEEEvRNS_18TensorIteratorBaseERKT_EUlibE_EEviT1_.num_named_barrier, max(0, .L_ZN12_GLOBAL__N_111calc_igammaIdEET_S1_S1_.num_named_barrier, .L_ZN12_GLOBAL__N_112calc_igammacIdEET_S1_S1_.num_named_barrier)
	.set _ZN2at6native32elementwise_kernel_manual_unrollILi128ELi4EZNS0_15gpu_kernel_implIN12_GLOBAL__N_110CalcIgammaIdEEEEvRNS_18TensorIteratorBaseERKT_EUlibE_EEviT1_.private_seg_size, 0+max(.L_ZN12_GLOBAL__N_111calc_igammaIdEET_S1_S1_.private_seg_size, .L_ZN12_GLOBAL__N_112calc_igammacIdEET_S1_S1_.private_seg_size)
	.set _ZN2at6native32elementwise_kernel_manual_unrollILi128ELi4EZNS0_15gpu_kernel_implIN12_GLOBAL__N_110CalcIgammaIdEEEEvRNS_18TensorIteratorBaseERKT_EUlibE_EEviT1_.uses_vcc, or(1, .L_ZN12_GLOBAL__N_111calc_igammaIdEET_S1_S1_.uses_vcc, .L_ZN12_GLOBAL__N_112calc_igammacIdEET_S1_S1_.uses_vcc)
	.set _ZN2at6native32elementwise_kernel_manual_unrollILi128ELi4EZNS0_15gpu_kernel_implIN12_GLOBAL__N_110CalcIgammaIdEEEEvRNS_18TensorIteratorBaseERKT_EUlibE_EEviT1_.uses_flat_scratch, or(0, .L_ZN12_GLOBAL__N_111calc_igammaIdEET_S1_S1_.uses_flat_scratch, .L_ZN12_GLOBAL__N_112calc_igammacIdEET_S1_S1_.uses_flat_scratch)
	.set _ZN2at6native32elementwise_kernel_manual_unrollILi128ELi4EZNS0_15gpu_kernel_implIN12_GLOBAL__N_110CalcIgammaIdEEEEvRNS_18TensorIteratorBaseERKT_EUlibE_EEviT1_.has_dyn_sized_stack, or(0, .L_ZN12_GLOBAL__N_111calc_igammaIdEET_S1_S1_.has_dyn_sized_stack, .L_ZN12_GLOBAL__N_112calc_igammacIdEET_S1_S1_.has_dyn_sized_stack)
	.set _ZN2at6native32elementwise_kernel_manual_unrollILi128ELi4EZNS0_15gpu_kernel_implIN12_GLOBAL__N_110CalcIgammaIdEEEEvRNS_18TensorIteratorBaseERKT_EUlibE_EEviT1_.has_recursion, or(0, .L_ZN12_GLOBAL__N_111calc_igammaIdEET_S1_S1_.has_recursion, .L_ZN12_GLOBAL__N_112calc_igammacIdEET_S1_S1_.has_recursion)
	.set _ZN2at6native32elementwise_kernel_manual_unrollILi128ELi4EZNS0_15gpu_kernel_implIN12_GLOBAL__N_110CalcIgammaIdEEEEvRNS_18TensorIteratorBaseERKT_EUlibE_EEviT1_.has_indirect_call, or(0, .L_ZN12_GLOBAL__N_111calc_igammaIdEET_S1_S1_.has_indirect_call, .L_ZN12_GLOBAL__N_112calc_igammacIdEET_S1_S1_.has_indirect_call)
	.section	.AMDGPU.csdata,"",@progbits
; Kernel info:
; codeLenInByte = 61056
; TotalNumSgprs: 68
; NumVgprs: 120
; ScratchSize: 240
; MemoryBound: 1
; FloatMode: 240
; IeeeMode: 1
; LDSByteSize: 0 bytes/workgroup (compile time only)
; SGPRBlocks: 0
; VGPRBlocks: 7
; NumSGPRsForWavesPerEU: 68
; NumVGPRsForWavesPerEU: 120
; NamedBarCnt: 0
; Occupancy: 8
; WaveLimiterHint : 0
; COMPUTE_PGM_RSRC2:SCRATCH_EN: 1
; COMPUTE_PGM_RSRC2:USER_SGPR: 2
; COMPUTE_PGM_RSRC2:TRAP_HANDLER: 0
; COMPUTE_PGM_RSRC2:TGID_X_EN: 1
; COMPUTE_PGM_RSRC2:TGID_Y_EN: 0
; COMPUTE_PGM_RSRC2:TGID_Z_EN: 0
; COMPUTE_PGM_RSRC2:TIDIG_COMP_CNT: 0
	.section	.text._ZN2at6native32elementwise_kernel_manual_unrollILi128ELi4EZNS0_15gpu_kernel_implIN12_GLOBAL__N_110CalcIgammaIdEEEEvRNS_18TensorIteratorBaseERKT_EUlibE0_EEviT1_,"axG",@progbits,_ZN2at6native32elementwise_kernel_manual_unrollILi128ELi4EZNS0_15gpu_kernel_implIN12_GLOBAL__N_110CalcIgammaIdEEEEvRNS_18TensorIteratorBaseERKT_EUlibE0_EEviT1_,comdat
	.globl	_ZN2at6native32elementwise_kernel_manual_unrollILi128ELi4EZNS0_15gpu_kernel_implIN12_GLOBAL__N_110CalcIgammaIdEEEEvRNS_18TensorIteratorBaseERKT_EUlibE0_EEviT1_ ; -- Begin function _ZN2at6native32elementwise_kernel_manual_unrollILi128ELi4EZNS0_15gpu_kernel_implIN12_GLOBAL__N_110CalcIgammaIdEEEEvRNS_18TensorIteratorBaseERKT_EUlibE0_EEviT1_
	.p2align	8
	.type	_ZN2at6native32elementwise_kernel_manual_unrollILi128ELi4EZNS0_15gpu_kernel_implIN12_GLOBAL__N_110CalcIgammaIdEEEEvRNS_18TensorIteratorBaseERKT_EUlibE0_EEviT1_,@function
_ZN2at6native32elementwise_kernel_manual_unrollILi128ELi4EZNS0_15gpu_kernel_implIN12_GLOBAL__N_110CalcIgammaIdEEEEvRNS_18TensorIteratorBaseERKT_EUlibE0_EEviT1_: ; @_ZN2at6native32elementwise_kernel_manual_unrollILi128ELi4EZNS0_15gpu_kernel_implIN12_GLOBAL__N_110CalcIgammaIdEEEEvRNS_18TensorIteratorBaseERKT_EUlibE0_EEviT1_
; %bb.0:
	s_clause 0x1
	s_load_b32 s62, s[0:1], 0x8
	s_load_b32 s72, s[0:1], 0x0
	s_bfe_u32 s2, ttmp6, 0x4000c
	s_and_b32 s3, ttmp6, 15
	s_add_co_i32 s2, s2, 1
	s_getreg_b32 s4, hwreg(HW_REG_IB_STS2, 6, 4)
	s_mul_i32 s2, ttmp9, s2
	s_mov_b32 s64, 0
	s_add_co_i32 s3, s3, s2
	s_cmp_eq_u32 s4, 0
	s_add_nc_u64 s[34:35], s[0:1], 8
	s_cselect_b32 s2, ttmp9, s3
	s_mov_b32 s46, 0
	v_lshl_or_b32 v46, s2, 9, v0
	s_mov_b32 s2, -1
	s_mov_b32 s32, 0
	s_wait_xcnt 0x0
	s_mov_b32 s0, exec_lo
	v_or_b32_e32 v3, 0x180, v46
	s_wait_kmcnt 0x0
	s_add_co_i32 s63, s62, -1
	s_delay_alu instid0(SALU_CYCLE_1)
	s_cmp_gt_u32 s63, 1
	s_cselect_b32 s65, -1, 0
	v_cmpx_le_i32_e64 s72, v3
	s_xor_b32 s66, exec_lo, s0
	s_cbranch_execz .LBB12_1612
; %bb.1:
	s_clause 0x5
	s_load_b96 s[52:54], s[34:35], 0x198
	s_load_b128 s[44:47], s[34:35], 0x4
	s_load_b64 s[58:59], s[34:35], 0x14
	s_load_b128 s[48:51], s[34:35], 0xc4
	s_load_b64 s[56:57], s[34:35], 0xd4
	s_load_b128 s[36:39], s[34:35], 0x188
	s_cmp_lg_u32 s62, 0
	s_mov_b32 s55, 0
	s_cselect_b32 s73, -1, 0
	s_min_u32 s71, s63, 15
	s_cmp_gt_u32 s62, 1
	s_mov_b32 s61, s55
	s_cselect_b32 s70, -1, 0
	s_mov_b32 s75, s55
	s_mov_b32 s74, s55
	s_mov_b32 s76, exec_lo
	s_wait_kmcnt 0x0
	s_lshr_b32 s69, s54, 16
	s_lshr_b32 s67, s54, 8
	;; [unrolled: 1-line block ×3, first 2 shown]
	s_bitcmp1_b32 s54, 0
	s_mov_b32 s54, s45
	s_cselect_b32 s0, -1, 0
	s_mov_b32 s60, s58
	s_xor_b32 s45, s0, -1
	s_mov_b32 s58, s55
	v_cmpx_gt_i32_e64 s72, v46
	s_cbranch_execz .LBB12_398
; %bb.2:
	s_and_not1_b32 vcc_lo, exec_lo, s65
	s_cbranch_vccnz .LBB12_8
; %bb.3:
	s_and_not1_b32 vcc_lo, exec_lo, s73
	s_cbranch_vccnz .LBB12_9
; %bb.4:
	v_dual_mov_b32 v56, 0 :: v_dual_mov_b32 v1, v46
	v_dual_mov_b32 v2, 0 :: v_dual_mov_b32 v0, 0
	s_add_co_i32 s2, s71, 1
	s_mov_b64 s[0:1], 0xffffffffffffffe8
	s_and_b32 s2, s2, 30
	s_add_nc_u64 s[0:1], s[34:35], s[0:1]
.LBB12_5:                               ; =>This Inner Loop Header: Depth=1
	s_clause 0x1
	s_load_b128 s[4:7], s[0:1], 0x1c
	s_load_b64 s[12:13], s[0:1], 0x2c
	s_add_co_i32 s2, s2, -2
	s_delay_alu instid0(SALU_CYCLE_1) | instskip(SKIP_2) | instid1(VALU_DEP_1)
	s_cmp_lg_u32 s2, 0
	s_wait_kmcnt 0x0
	v_mul_hi_u32 v3, s5, v1
	v_add_nc_u32_e32 v3, v1, v3
	s_delay_alu instid0(VALU_DEP_1) | instskip(NEXT) | instid1(VALU_DEP_1)
	v_lshrrev_b32_e32 v3, s6, v3
	v_mul_hi_u32 v4, s12, v3
	v_mul_lo_u32 v5, v3, s4
	s_clause 0x1
	s_load_b128 s[8:11], s[0:1], 0xdc
	s_load_b64 s[4:5], s[0:1], 0xec
	s_wait_xcnt 0x0
	s_add_nc_u64 s[0:1], s[0:1], 24
	s_delay_alu instid0(VALU_DEP_1) | instskip(NEXT) | instid1(VALU_DEP_1)
	v_dual_add_nc_u32 v4, v3, v4 :: v_dual_sub_nc_u32 v5, v1, v5
	v_lshrrev_b32_e32 v1, s13, v4
	s_wait_kmcnt 0x0
	s_delay_alu instid0(VALU_DEP_2) | instskip(NEXT) | instid1(VALU_DEP_2)
	v_mad_u32 v6, v5, s8, v56
	v_mul_lo_u32 v4, v1, s7
	v_mad_u32 v0, v5, s10, v0
	v_mad_u32 v2, v5, s9, v2
	s_delay_alu instid0(VALU_DEP_3) | instskip(NEXT) | instid1(VALU_DEP_1)
	v_sub_nc_u32_e32 v3, v3, v4
	v_mad_u32 v56, v3, s11, v6
	s_delay_alu instid0(VALU_DEP_4) | instskip(NEXT) | instid1(VALU_DEP_4)
	v_mad_u32 v0, v3, s5, v0
	v_mad_u32 v2, v3, s4, v2
	s_cbranch_scc1 .LBB12_5
; %bb.6:
	s_bitcmp1_b32 s71, 0
	s_cselect_b32 s2, -1, 0
	s_delay_alu instid0(SALU_CYCLE_1)
	s_and_b32 vcc_lo, exec_lo, s2
	s_cbranch_vccnz .LBB12_10
; %bb.7:
	s_clause 0x1
	s_load_b96 s[4:6], s[0:1], 0x1c
	s_load_b96 s[8:10], s[0:1], 0xdc
	s_wait_xcnt 0x0
	s_wait_kmcnt 0x0
	v_mul_hi_u32 v3, s5, v1
	s_delay_alu instid0(VALU_DEP_1) | instskip(NEXT) | instid1(VALU_DEP_1)
	v_add_nc_u32_e32 v3, v1, v3
	v_lshrrev_b32_e32 v3, s6, v3
	s_delay_alu instid0(VALU_DEP_1) | instskip(NEXT) | instid1(VALU_DEP_1)
	v_mul_lo_u32 v3, v3, s4
	v_sub_nc_u32_e32 v1, v1, v3
	s_delay_alu instid0(VALU_DEP_1)
	v_mad_u32 v56, v1, s8, v56
	v_mad_u32 v2, v1, s9, v2
	;; [unrolled: 1-line block ×3, first 2 shown]
	s_cbranch_execz .LBB12_11
	s_branch .LBB12_13
.LBB12_8:
                                        ; implicit-def: $vgpr0
                                        ; implicit-def: $vgpr2
                                        ; implicit-def: $vgpr56
	s_branch .LBB12_11
.LBB12_9:
	v_dual_mov_b32 v0, 0 :: v_dual_mov_b32 v2, 0
	v_mov_b32_e32 v56, 0
.LBB12_10:
	s_cbranch_execnz .LBB12_13
.LBB12_11:
	v_mov_b32_e32 v47, 0
	s_and_not1_b32 vcc_lo, exec_lo, s70
	s_delay_alu instid0(VALU_DEP_1) | instskip(NEXT) | instid1(VALU_DEP_1)
	v_mul_u64_e32 v[0:1], s[54:55], v[46:47]
	v_add_nc_u32_e32 v0, v46, v1
	s_delay_alu instid0(VALU_DEP_1) | instskip(NEXT) | instid1(VALU_DEP_1)
	v_lshrrev_b32_e32 v4, s46, v0
	v_mul_lo_u32 v0, v4, s44
	s_delay_alu instid0(VALU_DEP_1) | instskip(NEXT) | instid1(VALU_DEP_1)
	v_sub_nc_u32_e32 v1, v46, v0
	v_mul_lo_u32 v56, v1, s48
	v_mul_lo_u32 v0, v1, s50
	;; [unrolled: 1-line block ×3, first 2 shown]
	s_cbranch_vccnz .LBB12_13
; %bb.12:
	v_mov_b32_e32 v5, v47
	s_delay_alu instid0(VALU_DEP_1) | instskip(NEXT) | instid1(VALU_DEP_1)
	v_mul_u64_e32 v[6:7], s[60:61], v[4:5]
	v_add_nc_u32_e32 v1, v4, v7
	s_delay_alu instid0(VALU_DEP_1) | instskip(NEXT) | instid1(VALU_DEP_1)
	v_lshrrev_b32_e32 v1, s59, v1
	v_mul_lo_u32 v1, v1, s47
	s_delay_alu instid0(VALU_DEP_1) | instskip(NEXT) | instid1(VALU_DEP_1)
	v_sub_nc_u32_e32 v1, v4, v1
	v_mad_u32 v56, v1, s51, v56
	v_mad_u32 v2, v1, s56, v2
	;; [unrolled: 1-line block ×3, first 2 shown]
.LBB12_13:
	v_mov_b32_e32 v3, 0
	s_and_b32 s0, s69, 0xff
	s_delay_alu instid0(SALU_CYCLE_1) | instskip(NEXT) | instid1(VALU_DEP_1)
	s_cmp_lt_i32 s0, 11
	v_add_nc_u64_e32 v[2:3], s[38:39], v[2:3]
	s_cbranch_scc1 .LBB12_20
; %bb.14:
	s_and_b32 s1, 0xffff, s0
	s_delay_alu instid0(SALU_CYCLE_1)
	s_cmp_gt_i32 s1, 25
	s_cbranch_scc0 .LBB12_29
; %bb.15:
	s_cmp_gt_i32 s1, 28
	s_cbranch_scc0 .LBB12_34
; %bb.16:
	;; [unrolled: 3-line block ×4, first 2 shown]
	s_cmp_eq_u32 s1, 46
	s_mov_b32 s3, 0
	s_cbranch_scc0 .LBB12_53
; %bb.19:
	global_load_b32 v1, v[2:3], off
	s_mov_b32 s2, -1
	s_mov_b32 s75, 0
	s_wait_loadcnt 0x0
	v_lshlrev_b32_e32 v1, 16, v1
	s_delay_alu instid0(VALU_DEP_1)
	v_cvt_f64_f32_e32 v[42:43], v1
	s_branch .LBB12_55
.LBB12_20:
	s_mov_b32 s75, 0
	s_mov_b32 s2, 0
                                        ; implicit-def: $vgpr42_vgpr43
	s_cbranch_execnz .LBB12_121
.LBB12_21:
	s_and_not1_b32 vcc_lo, exec_lo, s2
	s_cbranch_vccnz .LBB12_168
.LBB12_22:
	v_mov_b32_e32 v1, 0
	s_and_b32 s0, 0xffff, s68
	s_delay_alu instid0(SALU_CYCLE_1) | instskip(NEXT) | instid1(VALU_DEP_1)
	s_cmp_lt_i32 s0, 11
	v_add_nc_u64_e32 v[0:1], s[52:53], v[0:1]
	s_cbranch_scc1 .LBB12_30
; %bb.23:
	s_cmp_gt_i32 s0, 25
	s_cbranch_scc0 .LBB12_35
; %bb.24:
	s_cmp_gt_i32 s0, 28
	s_cbranch_scc0 .LBB12_48
	;; [unrolled: 3-line block ×4, first 2 shown]
; %bb.27:
	s_cmp_eq_u32 s0, 46
	s_mov_b32 s2, 0
	s_cbranch_scc0 .LBB12_169
; %bb.28:
	global_load_b32 v2, v[0:1], off
	s_mov_b32 s1, -1
	s_mov_b32 s74, 0
	s_wait_loadcnt 0x0
	v_lshlrev_b32_e32 v2, 16, v2
	s_delay_alu instid0(VALU_DEP_1)
	v_cvt_f64_f32_e32 v[44:45], v2
	s_branch .LBB12_171
.LBB12_29:
	s_mov_b32 s75, 0
	s_mov_b32 s2, 0
                                        ; implicit-def: $vgpr42_vgpr43
	s_cbranch_execnz .LBB12_86
	s_branch .LBB12_120
.LBB12_30:
	s_mov_b32 s74, 0
	s_mov_b32 s1, 0
                                        ; implicit-def: $vgpr44_vgpr45
	s_cbranch_execnz .LBB12_347
.LBB12_31:
	s_and_not1_b32 vcc_lo, exec_lo, s1
	s_cbranch_vccnz .LBB12_395
.LBB12_32:
	s_and_b32 vcc_lo, exec_lo, s45
	s_cbranch_vccz .LBB12_36
; %bb.33:
	s_wait_loadcnt 0x0
	s_delay_alu instid0(VALU_DEP_3) | instskip(NEXT) | instid1(VALU_DEP_2)
	v_dual_mov_b32 v0, v42 :: v_dual_mov_b32 v1, v43
	v_dual_mov_b32 v2, v44 :: v_dual_mov_b32 v3, v45
	s_get_pc_i64 s[0:1]
	s_add_nc_u64 s[0:1], s[0:1], _ZN12_GLOBAL__N_111calc_igammaIdEET_S1_S1_@rel64+4
	s_delay_alu instid0(SALU_CYCLE_1)
	s_swap_pc_i64 s[30:31], s[0:1]
	s_mov_b32 s0, 0
	s_branch .LBB12_37
.LBB12_34:
	s_mov_b32 s3, -1
	s_mov_b32 s75, 0
	s_mov_b32 s2, 0
                                        ; implicit-def: $vgpr42_vgpr43
	s_branch .LBB12_67
.LBB12_35:
	s_mov_b32 s2, -1
	s_mov_b32 s74, 0
	s_mov_b32 s1, 0
                                        ; implicit-def: $vgpr44_vgpr45
	s_branch .LBB12_311
.LBB12_36:
	s_mov_b32 s0, -1
                                        ; implicit-def: $vgpr0_vgpr1
.LBB12_37:
	s_delay_alu instid0(SALU_CYCLE_1)
	s_and_not1_b32 vcc_lo, exec_lo, s0
	s_cbranch_vccnz .LBB12_39
; %bb.38:
	s_wait_loadcnt 0x0
	s_delay_alu instid0(VALU_DEP_3) | instskip(NEXT) | instid1(VALU_DEP_2)
	v_dual_mov_b32 v0, v42 :: v_dual_mov_b32 v1, v43
	v_dual_mov_b32 v2, v44 :: v_dual_mov_b32 v3, v45
	s_get_pc_i64 s[0:1]
	s_add_nc_u64 s[0:1], s[0:1], _ZN12_GLOBAL__N_112calc_igammacIdEET_S1_S1_@rel64+4
	s_delay_alu instid0(SALU_CYCLE_1)
	s_swap_pc_i64 s[30:31], s[0:1]
.LBB12_39:
	v_mov_b32_e32 v57, 0
	s_and_b32 s1, s67, 0xff
	s_delay_alu instid0(SALU_CYCLE_1) | instskip(NEXT) | instid1(VALU_DEP_1)
	s_cmp_lt_i32 s1, 11
	v_add_nc_u64_e32 v[4:5], s[36:37], v[56:57]
	s_cbranch_scc1 .LBB12_46
; %bb.40:
	s_and_b32 s2, 0xffff, s1
	s_delay_alu instid0(SALU_CYCLE_1)
	s_cmp_gt_i32 s2, 25
	s_cbranch_scc0 .LBB12_49
; %bb.41:
	s_cmp_gt_i32 s2, 28
	s_cbranch_scc0 .LBB12_52
; %bb.42:
	;; [unrolled: 3-line block ×4, first 2 shown]
	s_mov_b32 s4, 0
	s_mov_b32 s0, -1
	s_cmp_eq_u32 s2, 46
	s_mov_b32 s3, 0
	s_cbranch_scc0 .LBB12_175
; %bb.45:
	s_wait_xcnt 0x0
	v_cvt_f32_f64_e32 v2, v[0:1]
	s_mov_b32 s3, -1
	s_mov_b32 s0, 0
	s_delay_alu instid0(VALU_DEP_1) | instskip(SKIP_1) | instid1(VALU_DEP_2)
	v_bfe_u32 v3, v2, 16, 1
	v_cmp_o_f32_e32 vcc_lo, v2, v2
	v_add3_u32 v3, v2, v3, 0x7fff
	s_delay_alu instid0(VALU_DEP_1) | instskip(NEXT) | instid1(VALU_DEP_1)
	v_lshrrev_b32_e32 v3, 16, v3
	v_cndmask_b32_e32 v2, 0x7fc0, v3, vcc_lo
	global_store_b32 v[4:5], v2, off
	s_branch .LBB12_175
.LBB12_46:
	s_mov_b32 s2, -1
	s_mov_b32 s0, 0
	s_mov_b32 s3, 0
	s_branch .LBB12_244
.LBB12_47:
	s_mov_b32 s3, -1
	s_mov_b32 s75, 0
	s_mov_b32 s2, 0
                                        ; implicit-def: $vgpr42_vgpr43
	s_branch .LBB12_62
.LBB12_48:
	s_mov_b32 s2, -1
	s_mov_b32 s74, 0
	s_mov_b32 s1, 0
                                        ; implicit-def: $vgpr44_vgpr45
	s_branch .LBB12_292
.LBB12_49:
	s_mov_b32 s4, -1
	s_mov_b32 s0, 0
	s_mov_b32 s3, 0
	s_branch .LBB12_202
.LBB12_50:
	s_mov_b32 s3, -1
	s_mov_b32 s75, 0
	s_branch .LBB12_54
.LBB12_51:
	s_mov_b32 s2, -1
	s_mov_b32 s74, 0
	s_mov_b32 s1, 0
                                        ; implicit-def: $vgpr44_vgpr45
	s_branch .LBB12_287
.LBB12_52:
	s_mov_b32 s4, -1
	s_mov_b32 s0, 0
	s_mov_b32 s3, 0
	s_branch .LBB12_185
.LBB12_53:
	s_mov_b32 s75, -1
.LBB12_54:
	s_mov_b32 s2, 0
                                        ; implicit-def: $vgpr42_vgpr43
.LBB12_55:
	s_and_b32 vcc_lo, exec_lo, s3
	s_cbranch_vccz .LBB12_61
; %bb.56:
	s_cmp_eq_u32 s1, 44
	s_cbranch_scc0 .LBB12_60
; %bb.57:
	global_load_u8 v1, v[2:3], off
	s_mov_b32 s75, 0
	s_mov_b32 s2, -1
	s_wait_loadcnt 0x0
	v_lshlrev_b32_e32 v4, 23, v1
	v_cmp_ne_u32_e32 vcc_lo, 0xff, v1
	s_delay_alu instid0(VALU_DEP_2) | instskip(NEXT) | instid1(VALU_DEP_1)
	v_cvt_f64_f32_e32 v[4:5], v4
	v_cndmask_b32_e32 v4, 0x20000000, v4, vcc_lo
	s_delay_alu instid0(VALU_DEP_2) | instskip(SKIP_1) | instid1(VALU_DEP_2)
	v_cndmask_b32_e32 v5, 0x7ff80000, v5, vcc_lo
	v_cmp_ne_u32_e32 vcc_lo, 0, v1
	v_cndmask_b32_e32 v43, 0x38000000, v5, vcc_lo
	s_delay_alu instid0(VALU_DEP_4)
	v_cndmask_b32_e32 v42, 0, v4, vcc_lo
	s_branch .LBB12_61
.LBB12_58:
	s_mov_b32 s2, -1
	s_mov_b32 s74, 0
	s_branch .LBB12_170
.LBB12_59:
	s_mov_b32 s4, -1
	s_mov_b32 s0, 0
	s_mov_b32 s3, 0
	s_branch .LBB12_181
.LBB12_60:
	s_mov_b32 s75, -1
                                        ; implicit-def: $vgpr42_vgpr43
.LBB12_61:
	s_mov_b32 s3, 0
.LBB12_62:
	s_delay_alu instid0(SALU_CYCLE_1)
	s_and_b32 vcc_lo, exec_lo, s3
	s_cbranch_vccz .LBB12_66
; %bb.63:
	s_cmp_eq_u32 s1, 29
	s_cbranch_scc0 .LBB12_65
; %bb.64:
	global_load_b64 v[4:5], v[2:3], off
	s_mov_b32 s2, -1
	s_mov_b32 s75, 0
	s_mov_b32 s3, 0
	s_wait_loadcnt 0x0
	v_cvt_f64_u32_e32 v[6:7], v5
	v_cvt_f64_u32_e32 v[4:5], v4
	s_delay_alu instid0(VALU_DEP_2) | instskip(NEXT) | instid1(VALU_DEP_1)
	v_ldexp_f64 v[6:7], v[6:7], 32
	v_add_f64_e32 v[42:43], v[6:7], v[4:5]
	s_branch .LBB12_67
.LBB12_65:
	s_mov_b32 s75, -1
                                        ; implicit-def: $vgpr42_vgpr43
.LBB12_66:
	s_mov_b32 s3, 0
.LBB12_67:
	s_delay_alu instid0(SALU_CYCLE_1)
	s_and_b32 vcc_lo, exec_lo, s3
	s_cbranch_vccz .LBB12_85
; %bb.68:
	s_cmp_lt_i32 s1, 27
	s_cbranch_scc1 .LBB12_71
; %bb.69:
	s_cmp_gt_i32 s1, 27
	s_cbranch_scc0 .LBB12_72
; %bb.70:
	global_load_b32 v1, v[2:3], off
	s_mov_b32 s2, 0
	s_wait_loadcnt 0x0
	v_cvt_f64_u32_e32 v[42:43], v1
	s_branch .LBB12_73
.LBB12_71:
	s_mov_b32 s2, -1
                                        ; implicit-def: $vgpr42_vgpr43
	s_branch .LBB12_76
.LBB12_72:
	s_mov_b32 s2, -1
                                        ; implicit-def: $vgpr42_vgpr43
.LBB12_73:
	s_delay_alu instid0(SALU_CYCLE_1)
	s_and_not1_b32 vcc_lo, exec_lo, s2
	s_cbranch_vccnz .LBB12_75
; %bb.74:
	global_load_u16 v1, v[2:3], off
	s_wait_loadcnt 0x0
	v_cvt_f64_u32_e32 v[42:43], v1
.LBB12_75:
	s_mov_b32 s2, 0
.LBB12_76:
	s_delay_alu instid0(SALU_CYCLE_1)
	s_and_not1_b32 vcc_lo, exec_lo, s2
	s_cbranch_vccnz .LBB12_84
; %bb.77:
	global_load_u8 v1, v[2:3], off
	s_mov_b32 s2, 0
	s_mov_b32 s3, exec_lo
	s_wait_loadcnt 0x0
	v_cmpx_lt_i16_e32 0x7f, v1
	s_xor_b32 s3, exec_lo, s3
	s_cbranch_execz .LBB12_97
; %bb.78:
	s_mov_b32 s2, -1
	s_mov_b32 s4, exec_lo
	v_cmpx_eq_u16_e32 0x80, v1
; %bb.79:
	s_xor_b32 s2, exec_lo, -1
; %bb.80:
	s_or_b32 exec_lo, exec_lo, s4
	s_delay_alu instid0(SALU_CYCLE_1)
	s_and_b32 s2, s2, exec_lo
	s_or_saveexec_b32 s3, s3
	v_mov_b64_e32 v[42:43], 0x7ff8000020000000
	s_xor_b32 exec_lo, exec_lo, s3
	s_cbranch_execnz .LBB12_98
.LBB12_81:
	s_or_b32 exec_lo, exec_lo, s3
	s_and_saveexec_b32 s3, s2
	s_cbranch_execz .LBB12_83
.LBB12_82:
	v_and_b32_e32 v4, 0xffff, v1
	s_delay_alu instid0(VALU_DEP_1) | instskip(SKIP_1) | instid1(VALU_DEP_2)
	v_and_b32_e32 v5, 7, v4
	v_bfe_u32 v8, v4, 3, 4
	v_clz_i32_u32_e32 v6, v5
	s_delay_alu instid0(VALU_DEP_2) | instskip(NEXT) | instid1(VALU_DEP_2)
	v_cmp_eq_u32_e32 vcc_lo, 0, v8
	v_min_u32_e32 v6, 32, v6
	s_delay_alu instid0(VALU_DEP_1) | instskip(NEXT) | instid1(VALU_DEP_1)
	v_subrev_nc_u32_e32 v7, 28, v6
	v_dual_lshlrev_b32 v4, v7, v4 :: v_dual_sub_nc_u32 v6, 29, v6
	s_delay_alu instid0(VALU_DEP_1) | instskip(NEXT) | instid1(VALU_DEP_1)
	v_dual_lshlrev_b32 v1, 24, v1 :: v_dual_bitop2_b32 v4, 7, v4 bitop3:0x40
	v_dual_cndmask_b32 v6, v8, v6, vcc_lo :: v_dual_cndmask_b32 v4, v5, v4, vcc_lo
	s_delay_alu instid0(VALU_DEP_2) | instskip(NEXT) | instid1(VALU_DEP_2)
	v_and_b32_e32 v1, 0x80000000, v1
	v_lshl_add_u32 v5, v6, 23, 0x3b800000
	s_delay_alu instid0(VALU_DEP_3) | instskip(NEXT) | instid1(VALU_DEP_1)
	v_lshlrev_b32_e32 v4, 20, v4
	v_or3_b32 v1, v1, v5, v4
	s_delay_alu instid0(VALU_DEP_1)
	v_cvt_f64_f32_e32 v[42:43], v1
.LBB12_83:
	s_or_b32 exec_lo, exec_lo, s3
.LBB12_84:
	s_mov_b32 s2, -1
.LBB12_85:
	s_branch .LBB12_120
.LBB12_86:
	s_cmp_gt_i32 s1, 22
	s_cbranch_scc0 .LBB12_96
; %bb.87:
	s_cmp_lt_i32 s1, 24
	s_cbranch_scc1 .LBB12_99
; %bb.88:
	s_cmp_gt_i32 s1, 24
	s_cbranch_scc0 .LBB12_100
; %bb.89:
	global_load_u8 v1, v[2:3], off
	s_mov_b32 s2, 0
	s_mov_b32 s3, exec_lo
	s_wait_loadcnt 0x0
	v_cmpx_lt_i16_e32 0x7f, v1
	s_xor_b32 s3, exec_lo, s3
	s_cbranch_execz .LBB12_112
; %bb.90:
	s_mov_b32 s2, -1
	s_mov_b32 s4, exec_lo
	v_cmpx_eq_u16_e32 0x80, v1
; %bb.91:
	s_xor_b32 s2, exec_lo, -1
; %bb.92:
	s_or_b32 exec_lo, exec_lo, s4
	s_delay_alu instid0(SALU_CYCLE_1)
	s_and_b32 s2, s2, exec_lo
	s_or_saveexec_b32 s3, s3
	v_mov_b64_e32 v[42:43], 0x7ff8000020000000
	s_xor_b32 exec_lo, exec_lo, s3
	s_cbranch_execnz .LBB12_113
.LBB12_93:
	s_or_b32 exec_lo, exec_lo, s3
	s_and_saveexec_b32 s3, s2
	s_cbranch_execz .LBB12_95
.LBB12_94:
	v_and_b32_e32 v4, 0xffff, v1
	s_delay_alu instid0(VALU_DEP_1) | instskip(SKIP_1) | instid1(VALU_DEP_2)
	v_and_b32_e32 v5, 3, v4
	v_bfe_u32 v8, v4, 2, 5
	v_clz_i32_u32_e32 v6, v5
	s_delay_alu instid0(VALU_DEP_2) | instskip(NEXT) | instid1(VALU_DEP_2)
	v_cmp_eq_u32_e32 vcc_lo, 0, v8
	v_min_u32_e32 v6, 32, v6
	s_delay_alu instid0(VALU_DEP_1) | instskip(NEXT) | instid1(VALU_DEP_1)
	v_subrev_nc_u32_e32 v7, 29, v6
	v_dual_lshlrev_b32 v4, v7, v4 :: v_dual_sub_nc_u32 v6, 30, v6
	s_delay_alu instid0(VALU_DEP_1) | instskip(NEXT) | instid1(VALU_DEP_1)
	v_dual_lshlrev_b32 v1, 24, v1 :: v_dual_bitop2_b32 v4, 3, v4 bitop3:0x40
	v_dual_cndmask_b32 v6, v8, v6, vcc_lo :: v_dual_cndmask_b32 v4, v5, v4, vcc_lo
	s_delay_alu instid0(VALU_DEP_2) | instskip(NEXT) | instid1(VALU_DEP_2)
	v_and_b32_e32 v1, 0x80000000, v1
	v_lshl_add_u32 v5, v6, 23, 0x37800000
	s_delay_alu instid0(VALU_DEP_3) | instskip(NEXT) | instid1(VALU_DEP_1)
	v_lshlrev_b32_e32 v4, 21, v4
	v_or3_b32 v1, v1, v5, v4
	s_delay_alu instid0(VALU_DEP_1)
	v_cvt_f64_f32_e32 v[42:43], v1
.LBB12_95:
	s_or_b32 exec_lo, exec_lo, s3
	s_mov_b32 s2, 0
	s_branch .LBB12_101
.LBB12_96:
	s_mov_b32 s3, -1
                                        ; implicit-def: $vgpr42_vgpr43
	s_branch .LBB12_107
.LBB12_97:
	s_or_saveexec_b32 s3, s3
	v_mov_b64_e32 v[42:43], 0x7ff8000020000000
	s_xor_b32 exec_lo, exec_lo, s3
	s_cbranch_execz .LBB12_81
.LBB12_98:
	v_cmp_ne_u16_e32 vcc_lo, 0, v1
	v_mov_b64_e32 v[42:43], 0
	s_and_not1_b32 s2, s2, exec_lo
	s_and_b32 s4, vcc_lo, exec_lo
	s_delay_alu instid0(SALU_CYCLE_1)
	s_or_b32 s2, s2, s4
	s_or_b32 exec_lo, exec_lo, s3
	s_and_saveexec_b32 s3, s2
	s_cbranch_execnz .LBB12_82
	s_branch .LBB12_83
.LBB12_99:
	s_mov_b32 s2, -1
                                        ; implicit-def: $vgpr42_vgpr43
	s_branch .LBB12_104
.LBB12_100:
	s_mov_b32 s2, -1
                                        ; implicit-def: $vgpr42_vgpr43
.LBB12_101:
	s_delay_alu instid0(SALU_CYCLE_1)
	s_and_b32 vcc_lo, exec_lo, s2
	s_cbranch_vccz .LBB12_103
; %bb.102:
	global_load_u8 v1, v[2:3], off
	s_wait_loadcnt 0x0
	v_lshlrev_b32_e32 v1, 24, v1
	s_delay_alu instid0(VALU_DEP_1) | instskip(NEXT) | instid1(VALU_DEP_1)
	v_and_b32_e32 v4, 0x7f000000, v1
	v_clz_i32_u32_e32 v5, v4
	v_cmp_ne_u32_e32 vcc_lo, 0, v4
	v_add_nc_u32_e32 v7, 0x1000000, v4
	s_delay_alu instid0(VALU_DEP_3) | instskip(NEXT) | instid1(VALU_DEP_1)
	v_min_u32_e32 v5, 32, v5
	v_sub_nc_u32_e64 v5, v5, 4 clamp
	s_delay_alu instid0(VALU_DEP_1) | instskip(NEXT) | instid1(VALU_DEP_1)
	v_dual_lshlrev_b32 v6, v5, v4 :: v_dual_lshlrev_b32 v5, 23, v5
	v_lshrrev_b32_e32 v6, 4, v6
	s_delay_alu instid0(VALU_DEP_1) | instskip(NEXT) | instid1(VALU_DEP_1)
	v_dual_sub_nc_u32 v5, v6, v5 :: v_dual_ashrrev_i32 v6, 8, v7
	v_add_nc_u32_e32 v5, 0x3c000000, v5
	s_delay_alu instid0(VALU_DEP_1) | instskip(NEXT) | instid1(VALU_DEP_1)
	v_and_or_b32 v5, 0x7f800000, v6, v5
	v_cndmask_b32_e32 v4, 0, v5, vcc_lo
	s_delay_alu instid0(VALU_DEP_1) | instskip(NEXT) | instid1(VALU_DEP_1)
	v_and_or_b32 v1, 0x80000000, v1, v4
	v_cvt_f64_f32_e32 v[42:43], v1
.LBB12_103:
	s_mov_b32 s2, 0
.LBB12_104:
	s_delay_alu instid0(SALU_CYCLE_1)
	s_and_not1_b32 vcc_lo, exec_lo, s2
	s_cbranch_vccnz .LBB12_106
; %bb.105:
	global_load_u8 v1, v[2:3], off
	s_wait_loadcnt 0x0
	v_lshlrev_b32_e32 v4, 25, v1
	v_lshlrev_b16 v1, 8, v1
	s_delay_alu instid0(VALU_DEP_1) | instskip(SKIP_1) | instid1(VALU_DEP_2)
	v_and_or_b32 v6, 0x7f00, v1, 0.5
	v_bfe_i32 v1, v1, 0, 16
	v_dual_add_f32 v6, -0.5, v6 :: v_dual_lshrrev_b32 v5, 4, v4
	v_cmp_gt_u32_e32 vcc_lo, 0x8000000, v4
	s_delay_alu instid0(VALU_DEP_2) | instskip(NEXT) | instid1(VALU_DEP_1)
	v_or_b32_e32 v5, 0x70000000, v5
	v_mul_f32_e32 v5, 0x7800000, v5
	s_delay_alu instid0(VALU_DEP_1) | instskip(NEXT) | instid1(VALU_DEP_1)
	v_cndmask_b32_e32 v4, v5, v6, vcc_lo
	v_and_or_b32 v1, 0x80000000, v1, v4
	s_delay_alu instid0(VALU_DEP_1)
	v_cvt_f64_f32_e32 v[42:43], v1
.LBB12_106:
	s_mov_b32 s3, 0
	s_mov_b32 s2, -1
.LBB12_107:
	s_and_not1_b32 vcc_lo, exec_lo, s3
	s_cbranch_vccnz .LBB12_120
; %bb.108:
	s_cmp_gt_i32 s1, 14
	s_cbranch_scc0 .LBB12_111
; %bb.109:
	s_cmp_eq_u32 s1, 15
	s_cbranch_scc0 .LBB12_114
; %bb.110:
	global_load_u16 v1, v[2:3], off
	s_mov_b32 s2, -1
	s_mov_b32 s75, 0
	s_wait_loadcnt 0x0
	v_lshlrev_b32_e32 v1, 16, v1
	s_delay_alu instid0(VALU_DEP_1)
	v_cvt_f64_f32_e32 v[42:43], v1
	s_branch .LBB12_115
.LBB12_111:
	s_mov_b32 s3, -1
                                        ; implicit-def: $vgpr42_vgpr43
	s_branch .LBB12_116
.LBB12_112:
	s_or_saveexec_b32 s3, s3
	v_mov_b64_e32 v[42:43], 0x7ff8000020000000
	s_xor_b32 exec_lo, exec_lo, s3
	s_cbranch_execz .LBB12_93
.LBB12_113:
	v_cmp_ne_u16_e32 vcc_lo, 0, v1
	v_mov_b64_e32 v[42:43], 0
	s_and_not1_b32 s2, s2, exec_lo
	s_and_b32 s4, vcc_lo, exec_lo
	s_delay_alu instid0(SALU_CYCLE_1)
	s_or_b32 s2, s2, s4
	s_or_b32 exec_lo, exec_lo, s3
	s_and_saveexec_b32 s3, s2
	s_cbranch_execnz .LBB12_94
	s_branch .LBB12_95
.LBB12_114:
	s_mov_b32 s75, -1
                                        ; implicit-def: $vgpr42_vgpr43
.LBB12_115:
	s_mov_b32 s3, 0
.LBB12_116:
	s_delay_alu instid0(SALU_CYCLE_1)
	s_and_b32 vcc_lo, exec_lo, s3
	s_cbranch_vccz .LBB12_120
; %bb.117:
	s_cmp_eq_u32 s1, 11
	s_cbranch_scc0 .LBB12_119
; %bb.118:
	global_load_u8 v1, v[2:3], off
	v_mov_b32_e32 v42, 0
	s_mov_b32 s75, 0
	s_mov_b32 s2, -1
	s_wait_loadcnt 0x0
	v_cmp_ne_u16_e32 vcc_lo, 0, v1
	v_cndmask_b32_e64 v43, 0, 0x3ff00000, vcc_lo
	s_branch .LBB12_120
.LBB12_119:
	s_mov_b32 s75, -1
                                        ; implicit-def: $vgpr42_vgpr43
.LBB12_120:
	s_branch .LBB12_21
.LBB12_121:
	s_and_b32 s0, 0xffff, s0
	s_delay_alu instid0(SALU_CYCLE_1)
	s_cmp_lt_i32 s0, 5
	s_cbranch_scc1 .LBB12_126
; %bb.122:
	s_cmp_lt_i32 s0, 8
	s_cbranch_scc1 .LBB12_127
; %bb.123:
	;; [unrolled: 3-line block ×3, first 2 shown]
	s_cmp_gt_i32 s0, 9
	s_cbranch_scc0 .LBB12_129
; %bb.125:
	global_load_b64 v[42:43], v[2:3], off
	s_mov_b32 s1, 0
	s_branch .LBB12_130
.LBB12_126:
                                        ; implicit-def: $vgpr42_vgpr43
	s_branch .LBB12_148
.LBB12_127:
	s_mov_b32 s1, -1
                                        ; implicit-def: $vgpr42_vgpr43
	s_branch .LBB12_136
.LBB12_128:
	s_mov_b32 s1, -1
                                        ; implicit-def: $vgpr42_vgpr43
	s_branch .LBB12_133
.LBB12_129:
	s_mov_b32 s1, -1
                                        ; implicit-def: $vgpr42_vgpr43
.LBB12_130:
	s_delay_alu instid0(SALU_CYCLE_1)
	s_and_not1_b32 vcc_lo, exec_lo, s1
	s_cbranch_vccnz .LBB12_132
; %bb.131:
	global_load_b32 v1, v[2:3], off
	s_wait_loadcnt 0x0
	v_cvt_f64_f32_e32 v[42:43], v1
.LBB12_132:
	s_mov_b32 s1, 0
.LBB12_133:
	s_delay_alu instid0(SALU_CYCLE_1)
	s_and_not1_b32 vcc_lo, exec_lo, s1
	s_cbranch_vccnz .LBB12_135
; %bb.134:
	global_load_b32 v1, v[2:3], off
	s_wait_loadcnt 0x0
	v_cvt_f32_f16_e32 v1, v1
	s_delay_alu instid0(VALU_DEP_1)
	v_cvt_f64_f32_e32 v[42:43], v1
.LBB12_135:
	s_mov_b32 s1, 0
.LBB12_136:
	s_delay_alu instid0(SALU_CYCLE_1)
	s_and_not1_b32 vcc_lo, exec_lo, s1
	s_cbranch_vccnz .LBB12_147
; %bb.137:
	s_cmp_lt_i32 s0, 6
	s_cbranch_scc1 .LBB12_140
; %bb.138:
	s_cmp_gt_i32 s0, 6
	s_cbranch_scc0 .LBB12_141
; %bb.139:
	s_wait_loadcnt 0x0
	global_load_b64 v[42:43], v[2:3], off
	s_mov_b32 s1, 0
	s_branch .LBB12_142
.LBB12_140:
	s_mov_b32 s1, -1
                                        ; implicit-def: $vgpr42_vgpr43
	s_branch .LBB12_145
.LBB12_141:
	s_mov_b32 s1, -1
                                        ; implicit-def: $vgpr42_vgpr43
.LBB12_142:
	s_delay_alu instid0(SALU_CYCLE_1)
	s_and_not1_b32 vcc_lo, exec_lo, s1
	s_cbranch_vccnz .LBB12_144
; %bb.143:
	global_load_b32 v1, v[2:3], off
	s_wait_loadcnt 0x0
	v_cvt_f64_f32_e32 v[42:43], v1
.LBB12_144:
	s_mov_b32 s1, 0
.LBB12_145:
	s_delay_alu instid0(SALU_CYCLE_1)
	s_and_not1_b32 vcc_lo, exec_lo, s1
	s_cbranch_vccnz .LBB12_147
; %bb.146:
	global_load_u16 v1, v[2:3], off
	s_wait_loadcnt 0x0
	v_cvt_f32_f16_e32 v1, v1
	s_delay_alu instid0(VALU_DEP_1)
	v_cvt_f64_f32_e32 v[42:43], v1
.LBB12_147:
	s_cbranch_execnz .LBB12_167
.LBB12_148:
	s_cmp_lt_i32 s0, 2
	s_cbranch_scc1 .LBB12_152
; %bb.149:
	s_cmp_lt_i32 s0, 3
	s_cbranch_scc1 .LBB12_153
; %bb.150:
	s_cmp_gt_i32 s0, 3
	s_cbranch_scc0 .LBB12_154
; %bb.151:
	global_load_b64 v[4:5], v[2:3], off
	s_mov_b32 s1, 0
	s_wait_loadcnt 0x0
	v_cvt_f64_i32_e32 v[6:7], v5
	v_cvt_f64_u32_e32 v[4:5], v4
	s_delay_alu instid0(VALU_DEP_2) | instskip(NEXT) | instid1(VALU_DEP_1)
	v_ldexp_f64 v[6:7], v[6:7], 32
	v_add_f64_e32 v[42:43], v[6:7], v[4:5]
	s_branch .LBB12_155
.LBB12_152:
	s_mov_b32 s1, -1
                                        ; implicit-def: $vgpr42_vgpr43
	s_branch .LBB12_161
.LBB12_153:
	s_mov_b32 s1, -1
                                        ; implicit-def: $vgpr42_vgpr43
	s_branch .LBB12_158
.LBB12_154:
	s_mov_b32 s1, -1
                                        ; implicit-def: $vgpr42_vgpr43
.LBB12_155:
	s_delay_alu instid0(SALU_CYCLE_1)
	s_and_not1_b32 vcc_lo, exec_lo, s1
	s_cbranch_vccnz .LBB12_157
; %bb.156:
	global_load_b32 v1, v[2:3], off
	s_wait_loadcnt 0x0
	v_cvt_f64_i32_e32 v[42:43], v1
.LBB12_157:
	s_mov_b32 s1, 0
.LBB12_158:
	s_delay_alu instid0(SALU_CYCLE_1)
	s_and_not1_b32 vcc_lo, exec_lo, s1
	s_cbranch_vccnz .LBB12_160
; %bb.159:
	global_load_i16 v1, v[2:3], off
	s_wait_loadcnt 0x0
	v_cvt_f64_i32_e32 v[42:43], v1
.LBB12_160:
	s_mov_b32 s1, 0
.LBB12_161:
	s_delay_alu instid0(SALU_CYCLE_1)
	s_and_not1_b32 vcc_lo, exec_lo, s1
	s_cbranch_vccnz .LBB12_167
; %bb.162:
	s_cmp_gt_i32 s0, 0
	s_mov_b32 s0, 0
	s_cbranch_scc0 .LBB12_164
; %bb.163:
	global_load_i8 v1, v[2:3], off
	s_wait_loadcnt 0x0
	v_cvt_f64_i32_e32 v[42:43], v1
	s_branch .LBB12_165
.LBB12_164:
	s_mov_b32 s0, -1
                                        ; implicit-def: $vgpr42_vgpr43
.LBB12_165:
	s_delay_alu instid0(SALU_CYCLE_1)
	s_and_not1_b32 vcc_lo, exec_lo, s0
	s_cbranch_vccnz .LBB12_167
; %bb.166:
	global_load_u8 v1, v[2:3], off
	s_wait_loadcnt 0x0
	v_cvt_f64_u32_e32 v[42:43], v1
.LBB12_167:
	s_branch .LBB12_22
.LBB12_168:
	s_mov_b32 s0, 0
	s_mov_b32 s74, 0
	s_branch .LBB12_396
.LBB12_169:
	s_mov_b32 s74, -1
.LBB12_170:
	s_mov_b32 s1, 0
                                        ; implicit-def: $vgpr44_vgpr45
.LBB12_171:
	s_and_b32 vcc_lo, exec_lo, s2
	s_cbranch_vccz .LBB12_286
; %bb.172:
	s_cmp_eq_u32 s0, 44
	s_cbranch_scc0 .LBB12_285
; %bb.173:
	global_load_u8 v4, v[0:1], off
	s_mov_b32 s74, 0
	s_mov_b32 s1, -1
	s_wait_loadcnt 0x0
	v_cmp_ne_u32_e32 vcc_lo, 0xff, v4
	v_lshlrev_b32_e32 v2, 23, v4
	s_delay_alu instid0(VALU_DEP_1) | instskip(NEXT) | instid1(VALU_DEP_1)
	v_cvt_f64_f32_e32 v[2:3], v2
	v_cndmask_b32_e32 v2, 0x20000000, v2, vcc_lo
	s_delay_alu instid0(VALU_DEP_2) | instskip(SKIP_1) | instid1(VALU_DEP_2)
	v_cndmask_b32_e32 v3, 0x7ff80000, v3, vcc_lo
	v_cmp_ne_u32_e32 vcc_lo, 0, v4
	v_cndmask_b32_e32 v45, 0x38000000, v3, vcc_lo
	s_delay_alu instid0(VALU_DEP_4)
	v_cndmask_b32_e32 v44, 0, v2, vcc_lo
	s_branch .LBB12_286
.LBB12_174:
	s_mov_b32 s4, -1
	s_mov_b32 s0, 0
	s_mov_b32 s3, 0
.LBB12_175:
	s_and_b32 vcc_lo, exec_lo, s4
	s_cbranch_vccz .LBB12_180
; %bb.176:
	s_cmp_eq_u32 s2, 44
	s_mov_b32 s0, -1
	s_cbranch_scc0 .LBB12_180
; %bb.177:
	s_wait_xcnt 0x0
	v_cvt_f32_f64_e32 v2, v[0:1]
	v_mov_b32_e32 v3, 0xff
	s_mov_b32 s3, exec_lo
	s_delay_alu instid0(VALU_DEP_2) | instskip(NEXT) | instid1(VALU_DEP_1)
	v_bfe_u32 v6, v2, 23, 8
	v_cmpx_ne_u32_e32 0xff, v6
	s_cbranch_execz .LBB12_179
; %bb.178:
	v_and_b32_e32 v3, 0x400000, v2
	v_and_or_b32 v6, 0x3fffff, v2, v6
	v_lshrrev_b32_e32 v2, 23, v2
	s_delay_alu instid0(VALU_DEP_3) | instskip(NEXT) | instid1(VALU_DEP_3)
	v_cmp_ne_u32_e32 vcc_lo, 0, v3
	v_cmp_ne_u32_e64 s0, 0, v6
	s_and_b32 s0, vcc_lo, s0
	s_delay_alu instid0(SALU_CYCLE_1) | instskip(NEXT) | instid1(VALU_DEP_1)
	v_cndmask_b32_e64 v3, 0, 1, s0
	v_add_nc_u32_e32 v3, v2, v3
.LBB12_179:
	s_or_b32 exec_lo, exec_lo, s3
	s_mov_b32 s3, -1
	s_mov_b32 s0, 0
	global_store_b8 v[4:5], v3, off
.LBB12_180:
	s_mov_b32 s4, 0
.LBB12_181:
	s_delay_alu instid0(SALU_CYCLE_1)
	s_and_b32 vcc_lo, exec_lo, s4
	s_cbranch_vccz .LBB12_184
; %bb.182:
	s_cmp_eq_u32 s2, 29
	s_mov_b32 s0, -1
	s_cbranch_scc0 .LBB12_184
; %bb.183:
	s_wait_xcnt 0x0
	v_trunc_f64_e32 v[2:3], v[0:1]
	s_mov_b32 s3, -1
	s_mov_b32 s0, 0
	s_mov_b32 s4, 0
	s_delay_alu instid0(VALU_DEP_1) | instskip(NEXT) | instid1(VALU_DEP_1)
	v_ldexp_f64 v[6:7], v[2:3], 0xffffffe0
	v_floor_f64_e32 v[6:7], v[6:7]
	s_delay_alu instid0(VALU_DEP_1) | instskip(SKIP_1) | instid1(VALU_DEP_2)
	v_fmamk_f64 v[2:3], v[6:7], 0xc1f00000, v[2:3]
	v_cvt_u32_f64_e32 v7, v[6:7]
	v_cvt_u32_f64_e32 v6, v[2:3]
	global_store_b64 v[4:5], v[6:7], off
	s_branch .LBB12_185
.LBB12_184:
	s_mov_b32 s4, 0
.LBB12_185:
	s_delay_alu instid0(SALU_CYCLE_1)
	s_and_b32 vcc_lo, exec_lo, s4
	s_cbranch_vccz .LBB12_201
; %bb.186:
	s_cmp_lt_i32 s2, 27
	s_mov_b32 s3, -1
	s_cbranch_scc1 .LBB12_192
; %bb.187:
	s_wait_xcnt 0x0
	v_cvt_u32_f64_e32 v2, v[0:1]
	s_cmp_gt_i32 s2, 27
	s_cbranch_scc0 .LBB12_189
; %bb.188:
	s_mov_b32 s3, 0
	global_store_b32 v[4:5], v2, off
.LBB12_189:
	s_and_not1_b32 vcc_lo, exec_lo, s3
	s_cbranch_vccnz .LBB12_191
; %bb.190:
	global_store_b16 v[4:5], v2, off
.LBB12_191:
	s_mov_b32 s3, 0
.LBB12_192:
	s_delay_alu instid0(SALU_CYCLE_1)
	s_and_not1_b32 vcc_lo, exec_lo, s3
	s_cbranch_vccnz .LBB12_200
; %bb.193:
	s_wait_xcnt 0x0
	v_cvt_f32_f64_e32 v2, v[0:1]
	v_mov_b32_e32 v6, 0x80
	s_mov_b32 s3, exec_lo
	s_delay_alu instid0(VALU_DEP_2) | instskip(NEXT) | instid1(VALU_DEP_1)
	v_and_b32_e32 v3, 0x7fffffff, v2
	v_cmpx_gt_u32_e32 0x43800000, v3
	s_cbranch_execz .LBB12_199
; %bb.194:
	v_cmp_lt_u32_e32 vcc_lo, 0x3bffffff, v3
	s_mov_b32 s4, 0
                                        ; implicit-def: $vgpr3
	s_and_saveexec_b32 s5, vcc_lo
	s_delay_alu instid0(SALU_CYCLE_1)
	s_xor_b32 s5, exec_lo, s5
	s_cbranch_execz .LBB12_438
; %bb.195:
	v_bfe_u32 v3, v2, 20, 1
	s_mov_b32 s4, exec_lo
	s_delay_alu instid0(VALU_DEP_1) | instskip(NEXT) | instid1(VALU_DEP_1)
	v_add3_u32 v3, v2, v3, 0x487ffff
	v_lshrrev_b32_e32 v3, 20, v3
	s_and_not1_saveexec_b32 s5, s5
	s_cbranch_execnz .LBB12_439
.LBB12_196:
	s_or_b32 exec_lo, exec_lo, s5
	v_mov_b32_e32 v6, 0
	s_and_saveexec_b32 s5, s4
.LBB12_197:
	v_lshrrev_b32_e32 v2, 24, v2
	s_delay_alu instid0(VALU_DEP_1)
	v_and_or_b32 v6, 0x80, v2, v3
.LBB12_198:
	s_or_b32 exec_lo, exec_lo, s5
.LBB12_199:
	s_delay_alu instid0(SALU_CYCLE_1)
	s_or_b32 exec_lo, exec_lo, s3
	global_store_b8 v[4:5], v6, off
.LBB12_200:
	s_mov_b32 s3, -1
.LBB12_201:
	s_mov_b32 s4, 0
.LBB12_202:
	s_delay_alu instid0(SALU_CYCLE_1)
	s_and_b32 vcc_lo, exec_lo, s4
	s_cbranch_vccz .LBB12_243
; %bb.203:
	s_cmp_gt_i32 s2, 22
	s_mov_b32 s4, -1
	s_cbranch_scc0 .LBB12_235
; %bb.204:
	s_cmp_lt_i32 s2, 24
	s_mov_b32 s3, -1
	s_cbranch_scc1 .LBB12_224
; %bb.205:
	s_cmp_gt_i32 s2, 24
	s_cbranch_scc0 .LBB12_213
; %bb.206:
	s_wait_xcnt 0x0
	v_cvt_f32_f64_e32 v2, v[0:1]
	v_mov_b32_e32 v6, 0x80
	s_mov_b32 s3, exec_lo
	s_delay_alu instid0(VALU_DEP_2) | instskip(NEXT) | instid1(VALU_DEP_1)
	v_and_b32_e32 v3, 0x7fffffff, v2
	v_cmpx_gt_u32_e32 0x47800000, v3
	s_cbranch_execz .LBB12_212
; %bb.207:
	v_cmp_lt_u32_e32 vcc_lo, 0x37ffffff, v3
	s_mov_b32 s4, 0
                                        ; implicit-def: $vgpr3
	s_and_saveexec_b32 s5, vcc_lo
	s_delay_alu instid0(SALU_CYCLE_1)
	s_xor_b32 s5, exec_lo, s5
	s_cbranch_execz .LBB12_557
; %bb.208:
	v_bfe_u32 v3, v2, 21, 1
	s_mov_b32 s4, exec_lo
	s_delay_alu instid0(VALU_DEP_1) | instskip(NEXT) | instid1(VALU_DEP_1)
	v_add3_u32 v3, v2, v3, 0x88fffff
	v_lshrrev_b32_e32 v3, 21, v3
	s_and_not1_saveexec_b32 s5, s5
	s_cbranch_execnz .LBB12_558
.LBB12_209:
	s_or_b32 exec_lo, exec_lo, s5
	v_mov_b32_e32 v6, 0
	s_and_saveexec_b32 s5, s4
.LBB12_210:
	v_lshrrev_b32_e32 v2, 24, v2
	s_delay_alu instid0(VALU_DEP_1)
	v_and_or_b32 v6, 0x80, v2, v3
.LBB12_211:
	s_or_b32 exec_lo, exec_lo, s5
.LBB12_212:
	s_delay_alu instid0(SALU_CYCLE_1)
	s_or_b32 exec_lo, exec_lo, s3
	s_mov_b32 s3, 0
	global_store_b8 v[4:5], v6, off
.LBB12_213:
	s_and_b32 vcc_lo, exec_lo, s3
	s_cbranch_vccz .LBB12_223
; %bb.214:
	s_wait_xcnt 0x0
	v_cvt_f32_f64_e32 v2, v[0:1]
	s_mov_b32 s3, exec_lo
                                        ; implicit-def: $vgpr3
	s_delay_alu instid0(VALU_DEP_1) | instskip(NEXT) | instid1(VALU_DEP_1)
	v_and_b32_e32 v6, 0x7fffffff, v2
	v_cmpx_gt_u32_e32 0x43f00000, v6
	s_xor_b32 s3, exec_lo, s3
	s_cbranch_execz .LBB12_220
; %bb.215:
	s_mov_b32 s4, exec_lo
                                        ; implicit-def: $vgpr3
	v_cmpx_lt_u32_e32 0x3c7fffff, v6
	s_xor_b32 s4, exec_lo, s4
; %bb.216:
	v_bfe_u32 v3, v2, 20, 1
	s_delay_alu instid0(VALU_DEP_1) | instskip(NEXT) | instid1(VALU_DEP_1)
	v_add3_u32 v3, v2, v3, 0x407ffff
	v_and_b32_e32 v6, 0xff00000, v3
	v_lshrrev_b32_e32 v3, 20, v3
	s_delay_alu instid0(VALU_DEP_2) | instskip(NEXT) | instid1(VALU_DEP_2)
	v_cmp_ne_u32_e32 vcc_lo, 0x7f00000, v6
	v_cndmask_b32_e32 v3, 0x7e, v3, vcc_lo
; %bb.217:
	s_and_not1_saveexec_b32 s4, s4
; %bb.218:
	v_add_f32_e64 v3, 0x46800000, |v2|
; %bb.219:
	s_or_b32 exec_lo, exec_lo, s4
                                        ; implicit-def: $vgpr6
.LBB12_220:
	s_and_not1_saveexec_b32 s3, s3
; %bb.221:
	v_mov_b32_e32 v3, 0x7f
	v_cmp_lt_u32_e32 vcc_lo, 0x7f800000, v6
	s_delay_alu instid0(VALU_DEP_2)
	v_cndmask_b32_e32 v3, 0x7e, v3, vcc_lo
; %bb.222:
	s_or_b32 exec_lo, exec_lo, s3
	v_lshrrev_b32_e32 v2, 24, v2
	s_delay_alu instid0(VALU_DEP_1)
	v_and_or_b32 v2, 0x80, v2, v3
	global_store_b8 v[4:5], v2, off
.LBB12_223:
	s_mov_b32 s3, 0
.LBB12_224:
	s_delay_alu instid0(SALU_CYCLE_1)
	s_and_not1_b32 vcc_lo, exec_lo, s3
	s_cbranch_vccnz .LBB12_234
; %bb.225:
	s_wait_xcnt 0x0
	v_cvt_f32_f64_e32 v2, v[0:1]
	s_mov_b32 s3, exec_lo
                                        ; implicit-def: $vgpr3
	s_delay_alu instid0(VALU_DEP_1) | instskip(NEXT) | instid1(VALU_DEP_1)
	v_and_b32_e32 v6, 0x7fffffff, v2
	v_cmpx_gt_u32_e32 0x47800000, v6
	s_xor_b32 s3, exec_lo, s3
	s_cbranch_execz .LBB12_231
; %bb.226:
	s_mov_b32 s4, exec_lo
                                        ; implicit-def: $vgpr3
	v_cmpx_lt_u32_e32 0x387fffff, v6
	s_xor_b32 s4, exec_lo, s4
; %bb.227:
	v_bfe_u32 v3, v2, 21, 1
	s_delay_alu instid0(VALU_DEP_1) | instskip(NEXT) | instid1(VALU_DEP_1)
	v_add3_u32 v3, v2, v3, 0x80fffff
	v_lshrrev_b32_e32 v3, 21, v3
; %bb.228:
	s_and_not1_saveexec_b32 s4, s4
; %bb.229:
	v_add_f32_e64 v3, 0x43000000, |v2|
; %bb.230:
	s_or_b32 exec_lo, exec_lo, s4
                                        ; implicit-def: $vgpr6
.LBB12_231:
	s_and_not1_saveexec_b32 s3, s3
; %bb.232:
	v_mov_b32_e32 v3, 0x7f
	v_cmp_lt_u32_e32 vcc_lo, 0x7f800000, v6
	s_delay_alu instid0(VALU_DEP_2)
	v_cndmask_b32_e32 v3, 0x7c, v3, vcc_lo
; %bb.233:
	s_or_b32 exec_lo, exec_lo, s3
	v_lshrrev_b32_e32 v2, 24, v2
	s_delay_alu instid0(VALU_DEP_1)
	v_and_or_b32 v2, 0x80, v2, v3
	global_store_b8 v[4:5], v2, off
.LBB12_234:
	s_mov_b32 s4, 0
	s_mov_b32 s3, -1
.LBB12_235:
	s_and_not1_b32 vcc_lo, exec_lo, s4
	s_cbranch_vccnz .LBB12_243
; %bb.236:
	s_cmp_gt_i32 s2, 14
	s_mov_b32 s4, -1
	s_cbranch_scc0 .LBB12_240
; %bb.237:
	s_cmp_eq_u32 s2, 15
	s_mov_b32 s0, -1
	s_cbranch_scc0 .LBB12_239
; %bb.238:
	s_wait_xcnt 0x0
	v_cvt_f32_f64_e32 v2, v[0:1]
	s_mov_b32 s3, -1
	s_mov_b32 s0, 0
	s_delay_alu instid0(VALU_DEP_1) | instskip(SKIP_1) | instid1(VALU_DEP_2)
	v_bfe_u32 v3, v2, 16, 1
	v_cmp_o_f32_e32 vcc_lo, v2, v2
	v_add3_u32 v3, v2, v3, 0x7fff
	s_delay_alu instid0(VALU_DEP_1) | instskip(NEXT) | instid1(VALU_DEP_1)
	v_lshrrev_b32_e32 v3, 16, v3
	v_cndmask_b32_e32 v2, 0x7fc0, v3, vcc_lo
	global_store_b16 v[4:5], v2, off
.LBB12_239:
	s_mov_b32 s4, 0
.LBB12_240:
	s_delay_alu instid0(SALU_CYCLE_1)
	s_and_b32 vcc_lo, exec_lo, s4
	s_cbranch_vccz .LBB12_243
; %bb.241:
	s_cmp_eq_u32 s2, 11
	s_mov_b32 s0, -1
	s_cbranch_scc0 .LBB12_243
; %bb.242:
	v_cmp_neq_f64_e32 vcc_lo, 0, v[0:1]
	s_mov_b32 s3, -1
	s_mov_b32 s0, 0
	s_wait_xcnt 0x0
	v_cndmask_b32_e64 v2, 0, 1, vcc_lo
	global_store_b8 v[4:5], v2, off
.LBB12_243:
	s_mov_b32 s2, 0
.LBB12_244:
	s_delay_alu instid0(SALU_CYCLE_1)
	s_and_b32 vcc_lo, exec_lo, s2
	s_cbranch_vccz .LBB12_283
; %bb.245:
	s_and_b32 s1, 0xffff, s1
	s_mov_b32 s2, -1
	s_cmp_lt_i32 s1, 5
	s_cbranch_scc1 .LBB12_266
; %bb.246:
	s_cmp_lt_i32 s1, 8
	s_cbranch_scc1 .LBB12_256
; %bb.247:
	;; [unrolled: 3-line block ×3, first 2 shown]
	s_cmp_gt_i32 s1, 9
	s_cbranch_scc0 .LBB12_250
; %bb.249:
	s_wait_xcnt 0x0
	v_mov_b32_e32 v2, 0
	s_mov_b32 s2, 0
	s_delay_alu instid0(VALU_DEP_1)
	v_mov_b32_e32 v3, v2
	global_store_b128 v[4:5], v[0:3], off
.LBB12_250:
	s_and_not1_b32 vcc_lo, exec_lo, s2
	s_cbranch_vccnz .LBB12_252
; %bb.251:
	s_wait_xcnt 0x0
	v_cvt_f32_f64_e32 v2, v[0:1]
	v_mov_b32_e32 v3, 0
	global_store_b64 v[4:5], v[2:3], off
.LBB12_252:
	s_mov_b32 s2, 0
.LBB12_253:
	s_delay_alu instid0(SALU_CYCLE_1)
	s_and_not1_b32 vcc_lo, exec_lo, s2
	s_cbranch_vccnz .LBB12_255
; %bb.254:
	s_wait_xcnt 0x0
	v_and_or_b32 v2, 0x1ff, v1, v0
	v_lshrrev_b32_e32 v3, 8, v1
	v_bfe_u32 v6, v1, 20, 11
	s_delay_alu instid0(VALU_DEP_3) | instskip(NEXT) | instid1(VALU_DEP_2)
	v_cmp_ne_u32_e32 vcc_lo, 0, v2
	v_sub_nc_u32_e32 v7, 0x3f1, v6
	v_cndmask_b32_e64 v2, 0, 1, vcc_lo
	s_delay_alu instid0(VALU_DEP_1) | instskip(NEXT) | instid1(VALU_DEP_3)
	v_and_or_b32 v2, 0xffe, v3, v2
	v_med3_i32 v3, v7, 0, 13
	s_delay_alu instid0(VALU_DEP_2) | instskip(NEXT) | instid1(VALU_DEP_1)
	v_or_b32_e32 v7, 0x1000, v2
	v_lshrrev_b32_e32 v8, v3, v7
	s_delay_alu instid0(VALU_DEP_1) | instskip(NEXT) | instid1(VALU_DEP_1)
	v_lshlrev_b32_e32 v3, v3, v8
	v_cmp_ne_u32_e32 vcc_lo, v3, v7
	v_cndmask_b32_e64 v3, 0, 1, vcc_lo
	s_delay_alu instid0(VALU_DEP_1) | instskip(SKIP_1) | instid1(VALU_DEP_1)
	v_or_b32_e32 v3, v8, v3
	v_add_nc_u32_e32 v6, 0xfffffc10, v6
	v_lshl_or_b32 v7, v6, 12, v2
	v_cmp_gt_i32_e32 vcc_lo, 1, v6
	s_delay_alu instid0(VALU_DEP_2) | instskip(NEXT) | instid1(VALU_DEP_1)
	v_cndmask_b32_e32 v3, v7, v3, vcc_lo
	v_dual_lshrrev_b32 v3, 2, v3 :: v_dual_bitop2_b32 v7, 7, v3 bitop3:0x40
	s_delay_alu instid0(VALU_DEP_1) | instskip(SKIP_4) | instid1(VALU_DEP_2)
	v_cmp_lt_i32_e32 vcc_lo, 5, v7
	v_cndmask_b32_e64 v8, 0, 1, vcc_lo
	v_cmp_eq_u32_e32 vcc_lo, 3, v7
	v_cndmask_b32_e64 v7, 0, 1, vcc_lo
	v_cmp_ne_u32_e32 vcc_lo, 0, v2
	v_or_b32_e32 v7, v7, v8
	s_delay_alu instid0(VALU_DEP_1) | instskip(NEXT) | instid1(VALU_DEP_1)
	v_dual_mov_b32 v8, 0x7e00 :: v_dual_add_nc_u32 v3, v3, v7
	v_cndmask_b32_e32 v2, 0x7c00, v8, vcc_lo
	v_cmp_gt_i32_e32 vcc_lo, 31, v6
	v_lshrrev_b32_e32 v7, 16, v1
	s_delay_alu instid0(VALU_DEP_4) | instskip(SKIP_1) | instid1(VALU_DEP_2)
	v_cndmask_b32_e32 v3, 0x7c00, v3, vcc_lo
	v_cmp_eq_u32_e32 vcc_lo, 0x40f, v6
	v_cndmask_b32_e32 v2, v3, v2, vcc_lo
	s_delay_alu instid0(VALU_DEP_4) | instskip(NEXT) | instid1(VALU_DEP_1)
	v_and_b32_e32 v3, 0x8000, v7
	v_bitop3_b32 v2, v3, 0xffff, v2 bitop3:0xc8
	global_store_b32 v[4:5], v2, off
.LBB12_255:
	s_mov_b32 s2, 0
.LBB12_256:
	s_delay_alu instid0(SALU_CYCLE_1)
	s_and_not1_b32 vcc_lo, exec_lo, s2
	s_cbranch_vccnz .LBB12_265
; %bb.257:
	s_cmp_lt_i32 s1, 6
	s_mov_b32 s2, -1
	s_cbranch_scc1 .LBB12_263
; %bb.258:
	s_cmp_gt_i32 s1, 6
	s_cbranch_scc0 .LBB12_260
; %bb.259:
	s_mov_b32 s2, 0
	global_store_b64 v[4:5], v[0:1], off
.LBB12_260:
	s_and_not1_b32 vcc_lo, exec_lo, s2
	s_cbranch_vccnz .LBB12_262
; %bb.261:
	s_wait_xcnt 0x0
	v_cvt_f32_f64_e32 v2, v[0:1]
	global_store_b32 v[4:5], v2, off
.LBB12_262:
	s_mov_b32 s2, 0
.LBB12_263:
	s_delay_alu instid0(SALU_CYCLE_1)
	s_and_not1_b32 vcc_lo, exec_lo, s2
	s_cbranch_vccnz .LBB12_265
; %bb.264:
	s_wait_xcnt 0x0
	v_and_or_b32 v2, 0x1ff, v1, v0
	v_lshrrev_b32_e32 v3, 8, v1
	v_bfe_u32 v6, v1, 20, 11
	s_delay_alu instid0(VALU_DEP_3) | instskip(NEXT) | instid1(VALU_DEP_2)
	v_cmp_ne_u32_e32 vcc_lo, 0, v2
	v_sub_nc_u32_e32 v7, 0x3f1, v6
	v_cndmask_b32_e64 v2, 0, 1, vcc_lo
	s_delay_alu instid0(VALU_DEP_1) | instskip(NEXT) | instid1(VALU_DEP_3)
	v_and_or_b32 v2, 0xffe, v3, v2
	v_med3_i32 v3, v7, 0, 13
	s_delay_alu instid0(VALU_DEP_2) | instskip(NEXT) | instid1(VALU_DEP_1)
	v_or_b32_e32 v7, 0x1000, v2
	v_lshrrev_b32_e32 v8, v3, v7
	s_delay_alu instid0(VALU_DEP_1) | instskip(NEXT) | instid1(VALU_DEP_1)
	v_lshlrev_b32_e32 v3, v3, v8
	v_cmp_ne_u32_e32 vcc_lo, v3, v7
	v_cndmask_b32_e64 v3, 0, 1, vcc_lo
	s_delay_alu instid0(VALU_DEP_1) | instskip(SKIP_1) | instid1(VALU_DEP_1)
	v_or_b32_e32 v3, v8, v3
	v_add_nc_u32_e32 v6, 0xfffffc10, v6
	v_lshl_or_b32 v7, v6, 12, v2
	v_cmp_gt_i32_e32 vcc_lo, 1, v6
	s_delay_alu instid0(VALU_DEP_2) | instskip(NEXT) | instid1(VALU_DEP_1)
	v_cndmask_b32_e32 v3, v7, v3, vcc_lo
	v_dual_lshrrev_b32 v3, 2, v3 :: v_dual_bitop2_b32 v7, 7, v3 bitop3:0x40
	s_delay_alu instid0(VALU_DEP_1) | instskip(SKIP_4) | instid1(VALU_DEP_2)
	v_cmp_lt_i32_e32 vcc_lo, 5, v7
	v_cndmask_b32_e64 v8, 0, 1, vcc_lo
	v_cmp_eq_u32_e32 vcc_lo, 3, v7
	v_cndmask_b32_e64 v7, 0, 1, vcc_lo
	v_cmp_ne_u32_e32 vcc_lo, 0, v2
	v_or_b32_e32 v7, v7, v8
	s_delay_alu instid0(VALU_DEP_1) | instskip(NEXT) | instid1(VALU_DEP_1)
	v_dual_mov_b32 v8, 0x7e00 :: v_dual_add_nc_u32 v3, v3, v7
	v_cndmask_b32_e32 v2, 0x7c00, v8, vcc_lo
	v_cmp_gt_i32_e32 vcc_lo, 31, v6
	s_delay_alu instid0(VALU_DEP_3) | instskip(SKIP_1) | instid1(VALU_DEP_2)
	v_cndmask_b32_e32 v3, 0x7c00, v3, vcc_lo
	v_cmp_eq_u32_e32 vcc_lo, 0x40f, v6
	v_dual_cndmask_b32 v2, v3, v2 :: v_dual_lshrrev_b32 v3, 16, v1
	s_delay_alu instid0(VALU_DEP_1)
	v_and_or_b32 v2, 0x8000, v3, v2
	global_store_b16 v[4:5], v2, off
.LBB12_265:
	s_mov_b32 s2, 0
.LBB12_266:
	s_delay_alu instid0(SALU_CYCLE_1)
	s_and_not1_b32 vcc_lo, exec_lo, s2
	s_cbranch_vccnz .LBB12_282
; %bb.267:
	s_cmp_lt_i32 s1, 2
	s_mov_b32 s2, -1
	s_cbranch_scc1 .LBB12_277
; %bb.268:
	s_cmp_lt_i32 s1, 3
	s_cbranch_scc1 .LBB12_274
; %bb.269:
	s_cmp_gt_i32 s1, 3
	s_cbranch_scc0 .LBB12_271
; %bb.270:
	s_wait_xcnt 0x0
	v_trunc_f64_e32 v[2:3], v[0:1]
	s_mov_b32 s2, 0
	s_delay_alu instid0(VALU_DEP_1) | instskip(NEXT) | instid1(VALU_DEP_1)
	v_ldexp_f64 v[6:7], v[2:3], 0xffffffe0
	v_floor_f64_e32 v[6:7], v[6:7]
	s_delay_alu instid0(VALU_DEP_1) | instskip(SKIP_1) | instid1(VALU_DEP_2)
	v_fmamk_f64 v[2:3], v[6:7], 0xc1f00000, v[2:3]
	v_cvt_i32_f64_e32 v7, v[6:7]
	v_cvt_u32_f64_e32 v6, v[2:3]
	global_store_b64 v[4:5], v[6:7], off
.LBB12_271:
	s_and_not1_b32 vcc_lo, exec_lo, s2
	s_cbranch_vccnz .LBB12_273
; %bb.272:
	s_wait_xcnt 0x0
	v_cvt_i32_f64_e32 v2, v[0:1]
	global_store_b32 v[4:5], v2, off
.LBB12_273:
	s_mov_b32 s2, 0
.LBB12_274:
	s_delay_alu instid0(SALU_CYCLE_1)
	s_and_not1_b32 vcc_lo, exec_lo, s2
	s_cbranch_vccnz .LBB12_276
; %bb.275:
	s_wait_xcnt 0x0
	v_cvt_i32_f64_e32 v2, v[0:1]
	global_store_b16 v[4:5], v2, off
.LBB12_276:
	s_mov_b32 s2, 0
.LBB12_277:
	s_delay_alu instid0(SALU_CYCLE_1)
	s_and_not1_b32 vcc_lo, exec_lo, s2
	s_cbranch_vccnz .LBB12_282
; %bb.278:
	s_cmp_gt_i32 s1, 0
	s_mov_b32 s1, -1
	s_cbranch_scc0 .LBB12_280
; %bb.279:
	s_wait_xcnt 0x0
	v_cvt_i32_f64_e32 v2, v[0:1]
	s_mov_b32 s1, 0
	global_store_b8 v[4:5], v2, off
.LBB12_280:
	s_and_not1_b32 vcc_lo, exec_lo, s1
	s_cbranch_vccnz .LBB12_282
; %bb.281:
	s_wait_xcnt 0x0
	v_trunc_f64_e32 v[0:1], v[0:1]
	s_delay_alu instid0(VALU_DEP_1) | instskip(NEXT) | instid1(VALU_DEP_1)
	v_ldexp_f64 v[2:3], v[0:1], 0xffffffe0
	v_floor_f64_e32 v[2:3], v[2:3]
	s_delay_alu instid0(VALU_DEP_1) | instskip(NEXT) | instid1(VALU_DEP_1)
	v_fmamk_f64 v[0:1], v[2:3], 0xc1f00000, v[0:1]
	v_cvt_u32_f64_e32 v0, v[0:1]
	global_store_b8 v[4:5], v0, off
.LBB12_282:
	s_mov_b32 s3, -1
.LBB12_283:
	s_delay_alu instid0(SALU_CYCLE_1)
	s_and_not1_b32 vcc_lo, exec_lo, s3
	s_cbranch_vccnz .LBB12_396
; %bb.284:
	v_add_nc_u32_e32 v46, 0x80, v46
	s_mov_b32 s1, -1
	s_branch .LBB12_397
.LBB12_285:
	s_mov_b32 s74, -1
                                        ; implicit-def: $vgpr44_vgpr45
.LBB12_286:
	s_mov_b32 s2, 0
.LBB12_287:
	s_delay_alu instid0(SALU_CYCLE_1)
	s_and_b32 vcc_lo, exec_lo, s2
	s_cbranch_vccz .LBB12_291
; %bb.288:
	s_cmp_eq_u32 s0, 29
	s_cbranch_scc0 .LBB12_290
; %bb.289:
	global_load_b64 v[2:3], v[0:1], off
	s_mov_b32 s1, -1
	s_mov_b32 s74, 0
	s_mov_b32 s2, 0
	s_wait_loadcnt 0x0
	v_cvt_f64_u32_e32 v[4:5], v3
	v_cvt_f64_u32_e32 v[2:3], v2
	s_delay_alu instid0(VALU_DEP_2) | instskip(NEXT) | instid1(VALU_DEP_1)
	v_ldexp_f64 v[4:5], v[4:5], 32
	v_add_f64_e32 v[44:45], v[4:5], v[2:3]
	s_branch .LBB12_292
.LBB12_290:
	s_mov_b32 s74, -1
                                        ; implicit-def: $vgpr44_vgpr45
.LBB12_291:
	s_mov_b32 s2, 0
.LBB12_292:
	s_delay_alu instid0(SALU_CYCLE_1)
	s_and_b32 vcc_lo, exec_lo, s2
	s_cbranch_vccz .LBB12_310
; %bb.293:
	s_cmp_lt_i32 s0, 27
	s_cbranch_scc1 .LBB12_296
; %bb.294:
	s_cmp_gt_i32 s0, 27
	s_cbranch_scc0 .LBB12_297
; %bb.295:
	global_load_b32 v2, v[0:1], off
	s_mov_b32 s1, 0
	s_wait_loadcnt 0x0
	v_cvt_f64_u32_e32 v[44:45], v2
	s_branch .LBB12_298
.LBB12_296:
	s_mov_b32 s1, -1
                                        ; implicit-def: $vgpr44_vgpr45
	s_branch .LBB12_301
.LBB12_297:
	s_mov_b32 s1, -1
                                        ; implicit-def: $vgpr44_vgpr45
.LBB12_298:
	s_delay_alu instid0(SALU_CYCLE_1)
	s_and_not1_b32 vcc_lo, exec_lo, s1
	s_cbranch_vccnz .LBB12_300
; %bb.299:
	global_load_u16 v2, v[0:1], off
	s_wait_loadcnt 0x0
	v_cvt_f64_u32_e32 v[44:45], v2
.LBB12_300:
	s_mov_b32 s1, 0
.LBB12_301:
	s_delay_alu instid0(SALU_CYCLE_1)
	s_and_not1_b32 vcc_lo, exec_lo, s1
	s_cbranch_vccnz .LBB12_309
; %bb.302:
	global_load_u8 v2, v[0:1], off
	s_mov_b32 s1, 0
	s_mov_b32 s2, exec_lo
	s_wait_loadcnt 0x0
	v_cmpx_lt_i16_e32 0x7f, v2
	s_xor_b32 s2, exec_lo, s2
	s_cbranch_execz .LBB12_323
; %bb.303:
	s_mov_b32 s1, -1
	s_mov_b32 s3, exec_lo
	v_cmpx_eq_u16_e32 0x80, v2
; %bb.304:
	s_xor_b32 s1, exec_lo, -1
; %bb.305:
	s_or_b32 exec_lo, exec_lo, s3
	s_delay_alu instid0(SALU_CYCLE_1)
	s_and_b32 s1, s1, exec_lo
	s_or_saveexec_b32 s2, s2
	v_mov_b64_e32 v[44:45], 0x7ff8000020000000
	s_xor_b32 exec_lo, exec_lo, s2
	s_cbranch_execnz .LBB12_324
.LBB12_306:
	s_or_b32 exec_lo, exec_lo, s2
	s_and_saveexec_b32 s2, s1
	s_cbranch_execz .LBB12_308
.LBB12_307:
	v_and_b32_e32 v3, 0xffff, v2
	s_delay_alu instid0(VALU_DEP_1) | instskip(SKIP_1) | instid1(VALU_DEP_2)
	v_and_b32_e32 v4, 7, v3
	v_bfe_u32 v7, v3, 3, 4
	v_clz_i32_u32_e32 v5, v4
	s_delay_alu instid0(VALU_DEP_2) | instskip(NEXT) | instid1(VALU_DEP_2)
	v_cmp_eq_u32_e32 vcc_lo, 0, v7
	v_min_u32_e32 v5, 32, v5
	s_delay_alu instid0(VALU_DEP_1) | instskip(NEXT) | instid1(VALU_DEP_1)
	v_subrev_nc_u32_e32 v6, 28, v5
	v_dual_lshlrev_b32 v3, v6, v3 :: v_dual_sub_nc_u32 v5, 29, v5
	s_delay_alu instid0(VALU_DEP_1) | instskip(NEXT) | instid1(VALU_DEP_1)
	v_dual_lshlrev_b32 v2, 24, v2 :: v_dual_bitop2_b32 v3, 7, v3 bitop3:0x40
	v_dual_cndmask_b32 v5, v7, v5, vcc_lo :: v_dual_cndmask_b32 v3, v4, v3, vcc_lo
	s_delay_alu instid0(VALU_DEP_2) | instskip(NEXT) | instid1(VALU_DEP_2)
	v_and_b32_e32 v2, 0x80000000, v2
	v_lshl_add_u32 v4, v5, 23, 0x3b800000
	s_delay_alu instid0(VALU_DEP_3) | instskip(NEXT) | instid1(VALU_DEP_1)
	v_lshlrev_b32_e32 v3, 20, v3
	v_or3_b32 v2, v2, v4, v3
	s_delay_alu instid0(VALU_DEP_1)
	v_cvt_f64_f32_e32 v[44:45], v2
.LBB12_308:
	s_or_b32 exec_lo, exec_lo, s2
.LBB12_309:
	s_mov_b32 s1, -1
.LBB12_310:
	s_mov_b32 s2, 0
.LBB12_311:
	s_delay_alu instid0(SALU_CYCLE_1)
	s_and_b32 vcc_lo, exec_lo, s2
	s_cbranch_vccz .LBB12_346
; %bb.312:
	s_cmp_gt_i32 s0, 22
	s_cbranch_scc0 .LBB12_322
; %bb.313:
	s_cmp_lt_i32 s0, 24
	s_cbranch_scc1 .LBB12_325
; %bb.314:
	s_cmp_gt_i32 s0, 24
	s_cbranch_scc0 .LBB12_326
; %bb.315:
	global_load_u8 v2, v[0:1], off
	s_mov_b32 s1, 0
	s_mov_b32 s2, exec_lo
	s_wait_loadcnt 0x0
	v_cmpx_lt_i16_e32 0x7f, v2
	s_xor_b32 s2, exec_lo, s2
	s_cbranch_execz .LBB12_338
; %bb.316:
	s_mov_b32 s1, -1
	s_mov_b32 s3, exec_lo
	v_cmpx_eq_u16_e32 0x80, v2
; %bb.317:
	s_xor_b32 s1, exec_lo, -1
; %bb.318:
	s_or_b32 exec_lo, exec_lo, s3
	s_delay_alu instid0(SALU_CYCLE_1)
	s_and_b32 s1, s1, exec_lo
	s_or_saveexec_b32 s2, s2
	v_mov_b64_e32 v[44:45], 0x7ff8000020000000
	s_xor_b32 exec_lo, exec_lo, s2
	s_cbranch_execnz .LBB12_339
.LBB12_319:
	s_or_b32 exec_lo, exec_lo, s2
	s_and_saveexec_b32 s2, s1
	s_cbranch_execz .LBB12_321
.LBB12_320:
	v_and_b32_e32 v3, 0xffff, v2
	s_delay_alu instid0(VALU_DEP_1) | instskip(SKIP_1) | instid1(VALU_DEP_2)
	v_and_b32_e32 v4, 3, v3
	v_bfe_u32 v7, v3, 2, 5
	v_clz_i32_u32_e32 v5, v4
	s_delay_alu instid0(VALU_DEP_2) | instskip(NEXT) | instid1(VALU_DEP_2)
	v_cmp_eq_u32_e32 vcc_lo, 0, v7
	v_min_u32_e32 v5, 32, v5
	s_delay_alu instid0(VALU_DEP_1) | instskip(NEXT) | instid1(VALU_DEP_1)
	v_subrev_nc_u32_e32 v6, 29, v5
	v_dual_lshlrev_b32 v3, v6, v3 :: v_dual_sub_nc_u32 v5, 30, v5
	s_delay_alu instid0(VALU_DEP_1) | instskip(NEXT) | instid1(VALU_DEP_1)
	v_dual_lshlrev_b32 v2, 24, v2 :: v_dual_bitop2_b32 v3, 3, v3 bitop3:0x40
	v_dual_cndmask_b32 v5, v7, v5, vcc_lo :: v_dual_cndmask_b32 v3, v4, v3, vcc_lo
	s_delay_alu instid0(VALU_DEP_2) | instskip(NEXT) | instid1(VALU_DEP_2)
	v_and_b32_e32 v2, 0x80000000, v2
	v_lshl_add_u32 v4, v5, 23, 0x37800000
	s_delay_alu instid0(VALU_DEP_3) | instskip(NEXT) | instid1(VALU_DEP_1)
	v_lshlrev_b32_e32 v3, 21, v3
	v_or3_b32 v2, v2, v4, v3
	s_delay_alu instid0(VALU_DEP_1)
	v_cvt_f64_f32_e32 v[44:45], v2
.LBB12_321:
	s_or_b32 exec_lo, exec_lo, s2
	s_mov_b32 s1, 0
	s_branch .LBB12_327
.LBB12_322:
	s_mov_b32 s2, -1
                                        ; implicit-def: $vgpr44_vgpr45
	s_branch .LBB12_333
.LBB12_323:
	s_or_saveexec_b32 s2, s2
	v_mov_b64_e32 v[44:45], 0x7ff8000020000000
	s_xor_b32 exec_lo, exec_lo, s2
	s_cbranch_execz .LBB12_306
.LBB12_324:
	v_cmp_ne_u16_e32 vcc_lo, 0, v2
	v_mov_b64_e32 v[44:45], 0
	s_and_not1_b32 s1, s1, exec_lo
	s_and_b32 s3, vcc_lo, exec_lo
	s_delay_alu instid0(SALU_CYCLE_1)
	s_or_b32 s1, s1, s3
	s_or_b32 exec_lo, exec_lo, s2
	s_and_saveexec_b32 s2, s1
	s_cbranch_execnz .LBB12_307
	s_branch .LBB12_308
.LBB12_325:
	s_mov_b32 s1, -1
                                        ; implicit-def: $vgpr44_vgpr45
	s_branch .LBB12_330
.LBB12_326:
	s_mov_b32 s1, -1
                                        ; implicit-def: $vgpr44_vgpr45
.LBB12_327:
	s_delay_alu instid0(SALU_CYCLE_1)
	s_and_b32 vcc_lo, exec_lo, s1
	s_cbranch_vccz .LBB12_329
; %bb.328:
	global_load_u8 v2, v[0:1], off
	s_wait_loadcnt 0x0
	v_lshlrev_b32_e32 v2, 24, v2
	s_delay_alu instid0(VALU_DEP_1) | instskip(NEXT) | instid1(VALU_DEP_1)
	v_and_b32_e32 v3, 0x7f000000, v2
	v_clz_i32_u32_e32 v4, v3
	v_cmp_ne_u32_e32 vcc_lo, 0, v3
	v_add_nc_u32_e32 v6, 0x1000000, v3
	s_delay_alu instid0(VALU_DEP_3) | instskip(NEXT) | instid1(VALU_DEP_1)
	v_min_u32_e32 v4, 32, v4
	v_sub_nc_u32_e64 v4, v4, 4 clamp
	s_delay_alu instid0(VALU_DEP_1) | instskip(NEXT) | instid1(VALU_DEP_1)
	v_dual_lshlrev_b32 v5, v4, v3 :: v_dual_lshlrev_b32 v4, 23, v4
	v_lshrrev_b32_e32 v5, 4, v5
	s_delay_alu instid0(VALU_DEP_1) | instskip(NEXT) | instid1(VALU_DEP_1)
	v_dual_sub_nc_u32 v4, v5, v4 :: v_dual_ashrrev_i32 v5, 8, v6
	v_add_nc_u32_e32 v4, 0x3c000000, v4
	s_delay_alu instid0(VALU_DEP_1) | instskip(NEXT) | instid1(VALU_DEP_1)
	v_and_or_b32 v4, 0x7f800000, v5, v4
	v_cndmask_b32_e32 v3, 0, v4, vcc_lo
	s_delay_alu instid0(VALU_DEP_1) | instskip(NEXT) | instid1(VALU_DEP_1)
	v_and_or_b32 v2, 0x80000000, v2, v3
	v_cvt_f64_f32_e32 v[44:45], v2
.LBB12_329:
	s_mov_b32 s1, 0
.LBB12_330:
	s_delay_alu instid0(SALU_CYCLE_1)
	s_and_not1_b32 vcc_lo, exec_lo, s1
	s_cbranch_vccnz .LBB12_332
; %bb.331:
	global_load_u8 v2, v[0:1], off
	s_wait_loadcnt 0x0
	v_lshlrev_b32_e32 v3, 25, v2
	v_lshlrev_b16 v2, 8, v2
	s_delay_alu instid0(VALU_DEP_1) | instskip(SKIP_1) | instid1(VALU_DEP_2)
	v_and_or_b32 v5, 0x7f00, v2, 0.5
	v_bfe_i32 v2, v2, 0, 16
	v_dual_add_f32 v5, -0.5, v5 :: v_dual_lshrrev_b32 v4, 4, v3
	v_cmp_gt_u32_e32 vcc_lo, 0x8000000, v3
	s_delay_alu instid0(VALU_DEP_2) | instskip(NEXT) | instid1(VALU_DEP_1)
	v_or_b32_e32 v4, 0x70000000, v4
	v_mul_f32_e32 v4, 0x7800000, v4
	s_delay_alu instid0(VALU_DEP_1) | instskip(NEXT) | instid1(VALU_DEP_1)
	v_cndmask_b32_e32 v3, v4, v5, vcc_lo
	v_and_or_b32 v2, 0x80000000, v2, v3
	s_delay_alu instid0(VALU_DEP_1)
	v_cvt_f64_f32_e32 v[44:45], v2
.LBB12_332:
	s_mov_b32 s2, 0
	s_mov_b32 s1, -1
.LBB12_333:
	s_and_not1_b32 vcc_lo, exec_lo, s2
	s_cbranch_vccnz .LBB12_346
; %bb.334:
	s_cmp_gt_i32 s0, 14
	s_cbranch_scc0 .LBB12_337
; %bb.335:
	s_cmp_eq_u32 s0, 15
	s_cbranch_scc0 .LBB12_340
; %bb.336:
	global_load_u16 v2, v[0:1], off
	s_mov_b32 s1, -1
	s_mov_b32 s74, 0
	s_wait_loadcnt 0x0
	v_lshlrev_b32_e32 v2, 16, v2
	s_delay_alu instid0(VALU_DEP_1)
	v_cvt_f64_f32_e32 v[44:45], v2
	s_branch .LBB12_341
.LBB12_337:
	s_mov_b32 s2, -1
                                        ; implicit-def: $vgpr44_vgpr45
	s_branch .LBB12_342
.LBB12_338:
	s_or_saveexec_b32 s2, s2
	v_mov_b64_e32 v[44:45], 0x7ff8000020000000
	s_xor_b32 exec_lo, exec_lo, s2
	s_cbranch_execz .LBB12_319
.LBB12_339:
	v_cmp_ne_u16_e32 vcc_lo, 0, v2
	v_mov_b64_e32 v[44:45], 0
	s_and_not1_b32 s1, s1, exec_lo
	s_and_b32 s3, vcc_lo, exec_lo
	s_delay_alu instid0(SALU_CYCLE_1)
	s_or_b32 s1, s1, s3
	s_or_b32 exec_lo, exec_lo, s2
	s_and_saveexec_b32 s2, s1
	s_cbranch_execnz .LBB12_320
	s_branch .LBB12_321
.LBB12_340:
	s_mov_b32 s74, -1
                                        ; implicit-def: $vgpr44_vgpr45
.LBB12_341:
	s_mov_b32 s2, 0
.LBB12_342:
	s_delay_alu instid0(SALU_CYCLE_1)
	s_and_b32 vcc_lo, exec_lo, s2
	s_cbranch_vccz .LBB12_346
; %bb.343:
	s_cmp_eq_u32 s0, 11
	s_cbranch_scc0 .LBB12_345
; %bb.344:
	global_load_u8 v2, v[0:1], off
	v_mov_b32_e32 v44, 0
	s_mov_b32 s74, 0
	s_mov_b32 s1, -1
	s_wait_loadcnt 0x0
	v_cmp_ne_u16_e32 vcc_lo, 0, v2
	v_cndmask_b32_e64 v45, 0, 0x3ff00000, vcc_lo
	s_branch .LBB12_346
.LBB12_345:
	s_mov_b32 s74, -1
                                        ; implicit-def: $vgpr44_vgpr45
.LBB12_346:
	s_branch .LBB12_31
.LBB12_347:
	s_cmp_lt_i32 s0, 5
	s_cbranch_scc1 .LBB12_352
; %bb.348:
	s_cmp_lt_i32 s0, 8
	s_cbranch_scc1 .LBB12_353
; %bb.349:
	;; [unrolled: 3-line block ×3, first 2 shown]
	s_cmp_gt_i32 s0, 9
	s_cbranch_scc0 .LBB12_355
; %bb.351:
	global_load_b64 v[44:45], v[0:1], off
	s_mov_b32 s1, 0
	s_branch .LBB12_356
.LBB12_352:
	s_mov_b32 s1, -1
                                        ; implicit-def: $vgpr44_vgpr45
	s_branch .LBB12_374
.LBB12_353:
	s_mov_b32 s1, -1
                                        ; implicit-def: $vgpr44_vgpr45
	s_branch .LBB12_362
.LBB12_354:
	s_mov_b32 s1, -1
                                        ; implicit-def: $vgpr44_vgpr45
	s_branch .LBB12_359
.LBB12_355:
	s_mov_b32 s1, -1
                                        ; implicit-def: $vgpr44_vgpr45
.LBB12_356:
	s_delay_alu instid0(SALU_CYCLE_1)
	s_and_not1_b32 vcc_lo, exec_lo, s1
	s_cbranch_vccnz .LBB12_358
; %bb.357:
	global_load_b32 v2, v[0:1], off
	s_wait_loadcnt 0x0
	v_cvt_f64_f32_e32 v[44:45], v2
.LBB12_358:
	s_mov_b32 s1, 0
.LBB12_359:
	s_delay_alu instid0(SALU_CYCLE_1)
	s_and_not1_b32 vcc_lo, exec_lo, s1
	s_cbranch_vccnz .LBB12_361
; %bb.360:
	global_load_b32 v2, v[0:1], off
	s_wait_loadcnt 0x0
	v_cvt_f32_f16_e32 v2, v2
	s_delay_alu instid0(VALU_DEP_1)
	v_cvt_f64_f32_e32 v[44:45], v2
.LBB12_361:
	s_mov_b32 s1, 0
.LBB12_362:
	s_delay_alu instid0(SALU_CYCLE_1)
	s_and_not1_b32 vcc_lo, exec_lo, s1
	s_cbranch_vccnz .LBB12_373
; %bb.363:
	s_cmp_lt_i32 s0, 6
	s_cbranch_scc1 .LBB12_366
; %bb.364:
	s_cmp_gt_i32 s0, 6
	s_cbranch_scc0 .LBB12_367
; %bb.365:
	s_wait_loadcnt 0x0
	global_load_b64 v[44:45], v[0:1], off
	s_mov_b32 s1, 0
	s_branch .LBB12_368
.LBB12_366:
	s_mov_b32 s1, -1
                                        ; implicit-def: $vgpr44_vgpr45
	s_branch .LBB12_371
.LBB12_367:
	s_mov_b32 s1, -1
                                        ; implicit-def: $vgpr44_vgpr45
.LBB12_368:
	s_delay_alu instid0(SALU_CYCLE_1)
	s_and_not1_b32 vcc_lo, exec_lo, s1
	s_cbranch_vccnz .LBB12_370
; %bb.369:
	global_load_b32 v2, v[0:1], off
	s_wait_loadcnt 0x0
	v_cvt_f64_f32_e32 v[44:45], v2
.LBB12_370:
	s_mov_b32 s1, 0
.LBB12_371:
	s_delay_alu instid0(SALU_CYCLE_1)
	s_and_not1_b32 vcc_lo, exec_lo, s1
	s_cbranch_vccnz .LBB12_373
; %bb.372:
	global_load_u16 v2, v[0:1], off
	s_wait_loadcnt 0x0
	v_cvt_f32_f16_e32 v2, v2
	s_delay_alu instid0(VALU_DEP_1)
	v_cvt_f64_f32_e32 v[44:45], v2
.LBB12_373:
	s_mov_b32 s1, 0
.LBB12_374:
	s_delay_alu instid0(SALU_CYCLE_1)
	s_and_not1_b32 vcc_lo, exec_lo, s1
	s_cbranch_vccnz .LBB12_394
; %bb.375:
	s_cmp_lt_i32 s0, 2
	s_cbranch_scc1 .LBB12_379
; %bb.376:
	s_cmp_lt_i32 s0, 3
	s_cbranch_scc1 .LBB12_380
; %bb.377:
	s_cmp_gt_i32 s0, 3
	s_cbranch_scc0 .LBB12_381
; %bb.378:
	global_load_b64 v[2:3], v[0:1], off
	s_mov_b32 s1, 0
	s_wait_loadcnt 0x0
	v_cvt_f64_i32_e32 v[4:5], v3
	v_cvt_f64_u32_e32 v[2:3], v2
	s_delay_alu instid0(VALU_DEP_2) | instskip(NEXT) | instid1(VALU_DEP_1)
	v_ldexp_f64 v[4:5], v[4:5], 32
	v_add_f64_e32 v[44:45], v[4:5], v[2:3]
	s_branch .LBB12_382
.LBB12_379:
	s_mov_b32 s1, -1
                                        ; implicit-def: $vgpr44_vgpr45
	s_branch .LBB12_388
.LBB12_380:
	s_mov_b32 s1, -1
                                        ; implicit-def: $vgpr44_vgpr45
	s_branch .LBB12_385
.LBB12_381:
	s_mov_b32 s1, -1
                                        ; implicit-def: $vgpr44_vgpr45
.LBB12_382:
	s_delay_alu instid0(SALU_CYCLE_1)
	s_and_not1_b32 vcc_lo, exec_lo, s1
	s_cbranch_vccnz .LBB12_384
; %bb.383:
	global_load_b32 v2, v[0:1], off
	s_wait_loadcnt 0x0
	v_cvt_f64_i32_e32 v[44:45], v2
.LBB12_384:
	s_mov_b32 s1, 0
.LBB12_385:
	s_delay_alu instid0(SALU_CYCLE_1)
	s_and_not1_b32 vcc_lo, exec_lo, s1
	s_cbranch_vccnz .LBB12_387
; %bb.386:
	global_load_i16 v2, v[0:1], off
	s_wait_loadcnt 0x0
	v_cvt_f64_i32_e32 v[44:45], v2
.LBB12_387:
	s_mov_b32 s1, 0
.LBB12_388:
	s_delay_alu instid0(SALU_CYCLE_1)
	s_and_not1_b32 vcc_lo, exec_lo, s1
	s_cbranch_vccnz .LBB12_394
; %bb.389:
	s_cmp_gt_i32 s0, 0
	s_mov_b32 s0, 0
	s_cbranch_scc0 .LBB12_391
; %bb.390:
	global_load_i8 v2, v[0:1], off
	s_wait_loadcnt 0x0
	v_cvt_f64_i32_e32 v[44:45], v2
	s_branch .LBB12_392
.LBB12_391:
	s_mov_b32 s0, -1
                                        ; implicit-def: $vgpr44_vgpr45
.LBB12_392:
	s_delay_alu instid0(SALU_CYCLE_1)
	s_and_not1_b32 vcc_lo, exec_lo, s0
	s_cbranch_vccnz .LBB12_394
; %bb.393:
	global_load_u8 v0, v[0:1], off
	s_wait_loadcnt 0x0
	v_cvt_f64_u32_e32 v[44:45], v0
.LBB12_394:
	s_branch .LBB12_32
.LBB12_395:
	s_mov_b32 s0, 0
.LBB12_396:
	s_mov_b32 s1, 0
                                        ; implicit-def: $vgpr46
.LBB12_397:
	s_and_b32 s58, s0, exec_lo
	s_and_b32 s74, s74, exec_lo
	s_and_b32 s75, s75, exec_lo
	s_or_not1_b32 s2, s1, exec_lo
.LBB12_398:
	s_wait_xcnt 0x0
	s_or_b32 exec_lo, exec_lo, s76
	s_mov_b32 s3, 0
	s_mov_b32 s1, 0
                                        ; implicit-def: $sgpr0
                                        ; implicit-def: $vgpr2_vgpr3
                                        ; implicit-def: $vgpr0
                                        ; implicit-def: $vgpr56
                                        ; implicit-def: $vgpr42_vgpr43
	s_and_saveexec_b32 s76, s2
	s_cbranch_execz .LBB12_406
; %bb.399:
	s_mov_b32 s4, -1
	s_mov_b32 s77, s75
	s_mov_b32 s79, s74
	;; [unrolled: 1-line block ×3, first 2 shown]
	s_mov_b32 s80, exec_lo
	v_cmpx_gt_i32_e64 s72, v46
	s_cbranch_execz .LBB12_807
; %bb.400:
	s_and_not1_b32 vcc_lo, exec_lo, s65
	s_cbranch_vccnz .LBB12_409
; %bb.401:
	s_and_not1_b32 vcc_lo, exec_lo, s73
	s_cbranch_vccnz .LBB12_410
; %bb.402:
	v_dual_mov_b32 v56, 0 :: v_dual_mov_b32 v1, v46
	v_dual_mov_b32 v2, 0 :: v_dual_mov_b32 v0, 0
	s_add_co_i32 s2, s71, 1
	s_mov_b64 s[0:1], 0xffffffffffffffe8
	s_and_b32 s2, s2, 30
	s_add_nc_u64 s[0:1], s[34:35], s[0:1]
.LBB12_403:                             ; =>This Inner Loop Header: Depth=1
	s_clause 0x1
	s_load_b128 s[4:7], s[0:1], 0x1c
	s_load_b64 s[12:13], s[0:1], 0x2c
	s_add_co_i32 s2, s2, -2
	s_delay_alu instid0(SALU_CYCLE_1) | instskip(SKIP_2) | instid1(VALU_DEP_1)
	s_cmp_eq_u32 s2, 0
	s_wait_kmcnt 0x0
	v_mul_hi_u32 v3, s5, v1
	v_add_nc_u32_e32 v3, v1, v3
	s_delay_alu instid0(VALU_DEP_1) | instskip(NEXT) | instid1(VALU_DEP_1)
	v_lshrrev_b32_e32 v3, s6, v3
	v_mul_hi_u32 v4, s12, v3
	v_mul_lo_u32 v5, v3, s4
	s_clause 0x1
	s_load_b128 s[8:11], s[0:1], 0xdc
	s_load_b64 s[4:5], s[0:1], 0xec
	s_wait_xcnt 0x0
	s_add_nc_u64 s[0:1], s[0:1], 24
	s_delay_alu instid0(VALU_DEP_1) | instskip(NEXT) | instid1(VALU_DEP_1)
	v_dual_add_nc_u32 v4, v3, v4 :: v_dual_sub_nc_u32 v5, v1, v5
	v_lshrrev_b32_e32 v1, s13, v4
	s_wait_kmcnt 0x0
	s_delay_alu instid0(VALU_DEP_2) | instskip(NEXT) | instid1(VALU_DEP_2)
	v_mad_u32 v6, v5, s8, v56
	v_mul_lo_u32 v4, v1, s7
	v_mad_u32 v0, v5, s10, v0
	v_mad_u32 v2, v5, s9, v2
	s_delay_alu instid0(VALU_DEP_3) | instskip(NEXT) | instid1(VALU_DEP_1)
	v_sub_nc_u32_e32 v3, v3, v4
	v_mad_u32 v56, v3, s11, v6
	s_delay_alu instid0(VALU_DEP_4) | instskip(NEXT) | instid1(VALU_DEP_4)
	v_mad_u32 v0, v3, s5, v0
	v_mad_u32 v2, v3, s4, v2
	s_cbranch_scc0 .LBB12_403
; %bb.404:
	s_bitcmp1_b32 s71, 0
	s_cselect_b32 s2, -1, 0
	s_delay_alu instid0(SALU_CYCLE_1)
	s_and_b32 vcc_lo, exec_lo, s2
	s_cbranch_vccnz .LBB12_411
; %bb.405:
	s_clause 0x1
	s_load_b96 s[4:6], s[0:1], 0x1c
	s_load_b96 s[8:10], s[0:1], 0xdc
	s_wait_kmcnt 0x0
	v_mul_hi_u32 v3, s5, v1
	s_delay_alu instid0(VALU_DEP_1) | instskip(NEXT) | instid1(VALU_DEP_1)
	v_add_nc_u32_e32 v3, v1, v3
	v_lshrrev_b32_e32 v3, s6, v3
	s_delay_alu instid0(VALU_DEP_1) | instskip(NEXT) | instid1(VALU_DEP_1)
	v_mul_lo_u32 v3, v3, s4
	v_sub_nc_u32_e32 v1, v1, v3
	s_delay_alu instid0(VALU_DEP_1)
	v_mad_u32 v56, v1, s8, v56
	v_mad_u32 v2, v1, s9, v2
	;; [unrolled: 1-line block ×3, first 2 shown]
	s_branch .LBB12_411
.LBB12_406:
	s_or_b32 exec_lo, exec_lo, s76
	s_mov_b32 s38, 0
	s_and_saveexec_b32 s2, s75
	s_cbranch_execnz .LBB12_1312
.LBB12_407:
	s_or_b32 exec_lo, exec_lo, s2
	s_and_saveexec_b32 s2, s55
	s_delay_alu instid0(SALU_CYCLE_1)
	s_xor_b32 s2, exec_lo, s2
	s_cbranch_execz .LBB12_1313
.LBB12_408:
	global_load_u8 v1, v[2:3], off
	s_wait_loadcnt 0x1
	v_mov_b32_e32 v42, 0
	s_or_b32 s1, s1, exec_lo
	s_wait_loadcnt 0x0
	v_cmp_ne_u16_e32 vcc_lo, 0, v1
	v_cndmask_b32_e64 v43, 0, 0x3ff00000, vcc_lo
	s_wait_xcnt 0x0
	s_or_b32 exec_lo, exec_lo, s2
	s_and_saveexec_b32 s2, s3
	s_cbranch_execz .LBB12_1359
	s_branch .LBB12_1314
.LBB12_409:
                                        ; implicit-def: $vgpr0
                                        ; implicit-def: $vgpr2
                                        ; implicit-def: $vgpr56
	s_branch .LBB12_412
.LBB12_410:
	v_dual_mov_b32 v0, 0 :: v_dual_mov_b32 v2, 0
	v_mov_b32_e32 v56, 0
.LBB12_411:
	s_cbranch_execnz .LBB12_414
.LBB12_412:
	v_mov_b32_e32 v47, 0
	s_and_not1_b32 vcc_lo, exec_lo, s70
	s_delay_alu instid0(VALU_DEP_1) | instskip(NEXT) | instid1(VALU_DEP_1)
	v_mul_u64_e32 v[0:1], s[54:55], v[46:47]
	v_add_nc_u32_e32 v0, v46, v1
	s_delay_alu instid0(VALU_DEP_1) | instskip(NEXT) | instid1(VALU_DEP_1)
	v_lshrrev_b32_e32 v4, s46, v0
	v_mul_lo_u32 v0, v4, s44
	s_delay_alu instid0(VALU_DEP_1) | instskip(NEXT) | instid1(VALU_DEP_1)
	v_sub_nc_u32_e32 v1, v46, v0
	v_mul_lo_u32 v56, v1, s48
	v_mul_lo_u32 v0, v1, s50
	;; [unrolled: 1-line block ×3, first 2 shown]
	s_cbranch_vccnz .LBB12_414
; %bb.413:
	v_mov_b32_e32 v5, v47
	s_delay_alu instid0(VALU_DEP_1) | instskip(NEXT) | instid1(VALU_DEP_1)
	v_mul_u64_e32 v[6:7], s[60:61], v[4:5]
	v_add_nc_u32_e32 v1, v4, v7
	s_delay_alu instid0(VALU_DEP_1) | instskip(NEXT) | instid1(VALU_DEP_1)
	v_lshrrev_b32_e32 v1, s59, v1
	v_mul_lo_u32 v1, v1, s47
	s_delay_alu instid0(VALU_DEP_1) | instskip(NEXT) | instid1(VALU_DEP_1)
	v_sub_nc_u32_e32 v1, v4, v1
	v_mad_u32 v56, v1, s51, v56
	v_mad_u32 v2, v1, s56, v2
	;; [unrolled: 1-line block ×3, first 2 shown]
.LBB12_414:
	v_mov_b32_e32 v3, 0
	s_and_b32 s0, s69, 0xff
	s_delay_alu instid0(SALU_CYCLE_1) | instskip(NEXT) | instid1(VALU_DEP_1)
	s_cmp_lt_i32 s0, 11
	v_add_nc_u64_e32 v[2:3], s[38:39], v[2:3]
	s_cbranch_scc1 .LBB12_421
; %bb.415:
	s_and_b32 s1, 0xffff, s0
	s_delay_alu instid0(SALU_CYCLE_1)
	s_cmp_gt_i32 s1, 25
	s_cbranch_scc0 .LBB12_430
; %bb.416:
	s_cmp_gt_i32 s1, 28
	s_cbranch_scc0 .LBB12_432
; %bb.417:
	;; [unrolled: 3-line block ×4, first 2 shown]
	s_cmp_eq_u32 s1, 46
	s_mov_b32 s3, 0
	s_cbranch_scc0 .LBB12_440
; %bb.420:
	global_load_b32 v1, v[2:3], off
	s_mov_b32 s2, -1
	s_mov_b32 s77, 0
	s_wait_loadcnt 0x0
	v_lshlrev_b32_e32 v1, 16, v1
	s_delay_alu instid0(VALU_DEP_1)
	v_cvt_f64_f32_e32 v[42:43], v1
	s_branch .LBB12_442
.LBB12_421:
	s_mov_b32 s2, 0
	s_mov_b32 s77, s75
                                        ; implicit-def: $vgpr42_vgpr43
	s_cbranch_execnz .LBB12_508
.LBB12_422:
	s_and_not1_b32 vcc_lo, exec_lo, s2
	s_cbranch_vccnz .LBB12_556
.LBB12_423:
	v_mov_b32_e32 v1, 0
	s_and_b32 s0, 0xffff, s68
	s_delay_alu instid0(SALU_CYCLE_1) | instskip(NEXT) | instid1(VALU_DEP_1)
	s_cmp_lt_i32 s0, 11
	v_add_nc_u64_e32 v[0:1], s[52:53], v[0:1]
	s_cbranch_scc1 .LBB12_431
; %bb.424:
	s_cmp_gt_i32 s0, 25
	s_cbranch_scc0 .LBB12_433
; %bb.425:
	s_cmp_gt_i32 s0, 28
	s_cbranch_scc0 .LBB12_435
	;; [unrolled: 3-line block ×4, first 2 shown]
; %bb.428:
	s_cmp_eq_u32 s0, 46
	s_mov_b32 s2, 0
	s_cbranch_scc0 .LBB12_559
; %bb.429:
	global_load_b32 v2, v[0:1], off
	s_mov_b32 s1, -1
	s_mov_b32 s79, 0
	s_wait_loadcnt 0x0
	v_lshlrev_b32_e32 v2, 16, v2
	s_delay_alu instid0(VALU_DEP_1)
	v_cvt_f64_f32_e32 v[44:45], v2
	s_branch .LBB12_561
.LBB12_430:
	s_mov_b32 s3, -1
	s_mov_b32 s2, 0
	s_mov_b32 s77, s75
                                        ; implicit-def: $vgpr42_vgpr43
	s_branch .LBB12_472
.LBB12_431:
	s_mov_b32 s2, -1
	s_mov_b32 s1, 0
	s_mov_b32 s79, s74
                                        ; implicit-def: $vgpr44_vgpr45
	s_branch .LBB12_626
.LBB12_432:
	s_mov_b32 s3, -1
	s_mov_b32 s2, 0
	s_mov_b32 s77, s75
                                        ; implicit-def: $vgpr42_vgpr43
	s_branch .LBB12_453
.LBB12_433:
	s_mov_b32 s2, -1
	s_mov_b32 s1, 0
	s_mov_b32 s79, s74
                                        ; implicit-def: $vgpr44_vgpr45
	s_branch .LBB12_590
.LBB12_434:
	s_mov_b32 s3, -1
	s_mov_b32 s2, 0
	s_mov_b32 s77, s75
                                        ; implicit-def: $vgpr42_vgpr43
	s_branch .LBB12_448
.LBB12_435:
	s_mov_b32 s2, -1
	s_mov_b32 s1, 0
	s_mov_b32 s79, s74
                                        ; implicit-def: $vgpr44_vgpr45
	s_branch .LBB12_571
.LBB12_436:
	s_mov_b32 s3, -1
	s_mov_b32 s2, 0
	s_mov_b32 s77, s75
	s_branch .LBB12_441
.LBB12_437:
	s_mov_b32 s2, -1
	s_mov_b32 s1, 0
	s_mov_b32 s79, s74
                                        ; implicit-def: $vgpr44_vgpr45
	s_branch .LBB12_566
.LBB12_438:
	s_and_not1_saveexec_b32 s5, s5
	s_cbranch_execz .LBB12_196
.LBB12_439:
	v_add_f32_e64 v3, 0x46000000, |v2|
	s_and_not1_b32 s4, s4, exec_lo
	s_delay_alu instid0(VALU_DEP_1) | instskip(NEXT) | instid1(VALU_DEP_1)
	v_and_b32_e32 v3, 0xff, v3
	v_cmp_ne_u32_e32 vcc_lo, 0, v3
	s_and_b32 s6, vcc_lo, exec_lo
	s_delay_alu instid0(SALU_CYCLE_1)
	s_or_b32 s4, s4, s6
	s_or_b32 exec_lo, exec_lo, s5
	v_mov_b32_e32 v6, 0
	s_and_saveexec_b32 s5, s4
	s_cbranch_execnz .LBB12_197
	s_branch .LBB12_198
.LBB12_440:
	s_mov_b32 s77, -1
	s_mov_b32 s2, 0
.LBB12_441:
                                        ; implicit-def: $vgpr42_vgpr43
.LBB12_442:
	s_and_b32 vcc_lo, exec_lo, s3
	s_cbranch_vccz .LBB12_447
; %bb.443:
	s_cmp_eq_u32 s1, 44
	s_cbranch_scc0 .LBB12_446
; %bb.444:
	global_load_u8 v1, v[2:3], off
	s_mov_b32 s77, 0
	s_mov_b32 s2, -1
	s_wait_loadcnt 0x0
	v_lshlrev_b32_e32 v4, 23, v1
	v_cmp_ne_u32_e32 vcc_lo, 0xff, v1
	s_delay_alu instid0(VALU_DEP_2) | instskip(NEXT) | instid1(VALU_DEP_1)
	v_cvt_f64_f32_e32 v[4:5], v4
	v_cndmask_b32_e32 v4, 0x20000000, v4, vcc_lo
	s_delay_alu instid0(VALU_DEP_2) | instskip(SKIP_1) | instid1(VALU_DEP_2)
	v_cndmask_b32_e32 v5, 0x7ff80000, v5, vcc_lo
	v_cmp_ne_u32_e32 vcc_lo, 0, v1
	v_cndmask_b32_e32 v43, 0x38000000, v5, vcc_lo
	s_delay_alu instid0(VALU_DEP_4)
	v_cndmask_b32_e32 v42, 0, v4, vcc_lo
	s_branch .LBB12_447
.LBB12_445:
	s_mov_b32 s2, -1
	s_mov_b32 s1, 0
	s_mov_b32 s79, s74
	s_branch .LBB12_560
.LBB12_446:
	s_mov_b32 s77, -1
                                        ; implicit-def: $vgpr42_vgpr43
.LBB12_447:
	s_mov_b32 s3, 0
.LBB12_448:
	s_delay_alu instid0(SALU_CYCLE_1)
	s_and_b32 vcc_lo, exec_lo, s3
	s_cbranch_vccz .LBB12_452
; %bb.449:
	s_cmp_eq_u32 s1, 29
	s_cbranch_scc0 .LBB12_451
; %bb.450:
	global_load_b64 v[4:5], v[2:3], off
	s_mov_b32 s2, -1
	s_mov_b32 s77, 0
	s_mov_b32 s3, 0
	s_wait_loadcnt 0x0
	v_cvt_f64_u32_e32 v[6:7], v5
	v_cvt_f64_u32_e32 v[4:5], v4
	s_delay_alu instid0(VALU_DEP_2) | instskip(NEXT) | instid1(VALU_DEP_1)
	v_ldexp_f64 v[6:7], v[6:7], 32
	v_add_f64_e32 v[42:43], v[6:7], v[4:5]
	s_branch .LBB12_453
.LBB12_451:
	s_mov_b32 s77, -1
                                        ; implicit-def: $vgpr42_vgpr43
.LBB12_452:
	s_mov_b32 s3, 0
.LBB12_453:
	s_delay_alu instid0(SALU_CYCLE_1)
	s_and_b32 vcc_lo, exec_lo, s3
	s_cbranch_vccz .LBB12_471
; %bb.454:
	s_cmp_lt_i32 s1, 27
	s_cbranch_scc1 .LBB12_457
; %bb.455:
	s_cmp_gt_i32 s1, 27
	s_cbranch_scc0 .LBB12_458
; %bb.456:
	global_load_b32 v1, v[2:3], off
	s_mov_b32 s2, 0
	s_wait_loadcnt 0x0
	v_cvt_f64_u32_e32 v[42:43], v1
	s_branch .LBB12_459
.LBB12_457:
	s_mov_b32 s2, -1
                                        ; implicit-def: $vgpr42_vgpr43
	s_branch .LBB12_462
.LBB12_458:
	s_mov_b32 s2, -1
                                        ; implicit-def: $vgpr42_vgpr43
.LBB12_459:
	s_delay_alu instid0(SALU_CYCLE_1)
	s_and_not1_b32 vcc_lo, exec_lo, s2
	s_cbranch_vccnz .LBB12_461
; %bb.460:
	global_load_u16 v1, v[2:3], off
	s_wait_loadcnt 0x0
	v_cvt_f64_u32_e32 v[42:43], v1
.LBB12_461:
	s_mov_b32 s2, 0
.LBB12_462:
	s_delay_alu instid0(SALU_CYCLE_1)
	s_and_not1_b32 vcc_lo, exec_lo, s2
	s_cbranch_vccnz .LBB12_470
; %bb.463:
	global_load_u8 v1, v[2:3], off
	s_mov_b32 s2, 0
	s_mov_b32 s3, exec_lo
	s_wait_loadcnt 0x0
	v_cmpx_lt_i16_e32 0x7f, v1
	s_xor_b32 s3, exec_lo, s3
	s_cbranch_execz .LBB12_484
; %bb.464:
	s_mov_b32 s2, -1
	s_mov_b32 s4, exec_lo
	v_cmpx_eq_u16_e32 0x80, v1
; %bb.465:
	s_xor_b32 s2, exec_lo, -1
; %bb.466:
	s_or_b32 exec_lo, exec_lo, s4
	s_delay_alu instid0(SALU_CYCLE_1)
	s_and_b32 s2, s2, exec_lo
	s_or_saveexec_b32 s3, s3
	v_mov_b64_e32 v[42:43], 0x7ff8000020000000
	s_xor_b32 exec_lo, exec_lo, s3
	s_cbranch_execnz .LBB12_485
.LBB12_467:
	s_or_b32 exec_lo, exec_lo, s3
	s_and_saveexec_b32 s3, s2
	s_cbranch_execz .LBB12_469
.LBB12_468:
	v_and_b32_e32 v4, 0xffff, v1
	s_delay_alu instid0(VALU_DEP_1) | instskip(SKIP_1) | instid1(VALU_DEP_2)
	v_and_b32_e32 v5, 7, v4
	v_bfe_u32 v8, v4, 3, 4
	v_clz_i32_u32_e32 v6, v5
	s_delay_alu instid0(VALU_DEP_2) | instskip(NEXT) | instid1(VALU_DEP_2)
	v_cmp_eq_u32_e32 vcc_lo, 0, v8
	v_min_u32_e32 v6, 32, v6
	s_delay_alu instid0(VALU_DEP_1) | instskip(NEXT) | instid1(VALU_DEP_1)
	v_subrev_nc_u32_e32 v7, 28, v6
	v_dual_lshlrev_b32 v4, v7, v4 :: v_dual_sub_nc_u32 v6, 29, v6
	s_delay_alu instid0(VALU_DEP_1) | instskip(NEXT) | instid1(VALU_DEP_1)
	v_dual_lshlrev_b32 v1, 24, v1 :: v_dual_bitop2_b32 v4, 7, v4 bitop3:0x40
	v_dual_cndmask_b32 v6, v8, v6, vcc_lo :: v_dual_cndmask_b32 v4, v5, v4, vcc_lo
	s_delay_alu instid0(VALU_DEP_2) | instskip(NEXT) | instid1(VALU_DEP_2)
	v_and_b32_e32 v1, 0x80000000, v1
	v_lshl_add_u32 v5, v6, 23, 0x3b800000
	s_delay_alu instid0(VALU_DEP_3) | instskip(NEXT) | instid1(VALU_DEP_1)
	v_lshlrev_b32_e32 v4, 20, v4
	v_or3_b32 v1, v1, v5, v4
	s_delay_alu instid0(VALU_DEP_1)
	v_cvt_f64_f32_e32 v[42:43], v1
.LBB12_469:
	s_or_b32 exec_lo, exec_lo, s3
.LBB12_470:
	s_mov_b32 s2, -1
.LBB12_471:
	s_mov_b32 s3, 0
.LBB12_472:
	s_delay_alu instid0(SALU_CYCLE_1)
	s_and_b32 vcc_lo, exec_lo, s3
	s_cbranch_vccz .LBB12_507
; %bb.473:
	s_cmp_gt_i32 s1, 22
	s_cbranch_scc0 .LBB12_483
; %bb.474:
	s_cmp_lt_i32 s1, 24
	s_cbranch_scc1 .LBB12_486
; %bb.475:
	s_cmp_gt_i32 s1, 24
	s_cbranch_scc0 .LBB12_487
; %bb.476:
	global_load_u8 v1, v[2:3], off
	s_mov_b32 s2, 0
	s_mov_b32 s3, exec_lo
	s_wait_loadcnt 0x0
	v_cmpx_lt_i16_e32 0x7f, v1
	s_xor_b32 s3, exec_lo, s3
	s_cbranch_execz .LBB12_499
; %bb.477:
	s_mov_b32 s2, -1
	s_mov_b32 s4, exec_lo
	v_cmpx_eq_u16_e32 0x80, v1
; %bb.478:
	s_xor_b32 s2, exec_lo, -1
; %bb.479:
	s_or_b32 exec_lo, exec_lo, s4
	s_delay_alu instid0(SALU_CYCLE_1)
	s_and_b32 s2, s2, exec_lo
	s_or_saveexec_b32 s3, s3
	v_mov_b64_e32 v[42:43], 0x7ff8000020000000
	s_xor_b32 exec_lo, exec_lo, s3
	s_cbranch_execnz .LBB12_500
.LBB12_480:
	s_or_b32 exec_lo, exec_lo, s3
	s_and_saveexec_b32 s3, s2
	s_cbranch_execz .LBB12_482
.LBB12_481:
	v_and_b32_e32 v4, 0xffff, v1
	s_delay_alu instid0(VALU_DEP_1) | instskip(SKIP_1) | instid1(VALU_DEP_2)
	v_and_b32_e32 v5, 3, v4
	v_bfe_u32 v8, v4, 2, 5
	v_clz_i32_u32_e32 v6, v5
	s_delay_alu instid0(VALU_DEP_2) | instskip(NEXT) | instid1(VALU_DEP_2)
	v_cmp_eq_u32_e32 vcc_lo, 0, v8
	v_min_u32_e32 v6, 32, v6
	s_delay_alu instid0(VALU_DEP_1) | instskip(NEXT) | instid1(VALU_DEP_1)
	v_subrev_nc_u32_e32 v7, 29, v6
	v_dual_lshlrev_b32 v4, v7, v4 :: v_dual_sub_nc_u32 v6, 30, v6
	s_delay_alu instid0(VALU_DEP_1) | instskip(NEXT) | instid1(VALU_DEP_1)
	v_dual_lshlrev_b32 v1, 24, v1 :: v_dual_bitop2_b32 v4, 3, v4 bitop3:0x40
	v_dual_cndmask_b32 v6, v8, v6, vcc_lo :: v_dual_cndmask_b32 v4, v5, v4, vcc_lo
	s_delay_alu instid0(VALU_DEP_2) | instskip(NEXT) | instid1(VALU_DEP_2)
	v_and_b32_e32 v1, 0x80000000, v1
	v_lshl_add_u32 v5, v6, 23, 0x37800000
	s_delay_alu instid0(VALU_DEP_3) | instskip(NEXT) | instid1(VALU_DEP_1)
	v_lshlrev_b32_e32 v4, 21, v4
	v_or3_b32 v1, v1, v5, v4
	s_delay_alu instid0(VALU_DEP_1)
	v_cvt_f64_f32_e32 v[42:43], v1
.LBB12_482:
	s_or_b32 exec_lo, exec_lo, s3
	s_mov_b32 s2, 0
	s_branch .LBB12_488
.LBB12_483:
	s_mov_b32 s3, -1
                                        ; implicit-def: $vgpr42_vgpr43
	s_branch .LBB12_494
.LBB12_484:
	s_or_saveexec_b32 s3, s3
	v_mov_b64_e32 v[42:43], 0x7ff8000020000000
	s_xor_b32 exec_lo, exec_lo, s3
	s_cbranch_execz .LBB12_467
.LBB12_485:
	v_cmp_ne_u16_e32 vcc_lo, 0, v1
	v_mov_b64_e32 v[42:43], 0
	s_and_not1_b32 s2, s2, exec_lo
	s_and_b32 s4, vcc_lo, exec_lo
	s_delay_alu instid0(SALU_CYCLE_1)
	s_or_b32 s2, s2, s4
	s_or_b32 exec_lo, exec_lo, s3
	s_and_saveexec_b32 s3, s2
	s_cbranch_execnz .LBB12_468
	s_branch .LBB12_469
.LBB12_486:
	s_mov_b32 s2, -1
                                        ; implicit-def: $vgpr42_vgpr43
	s_branch .LBB12_491
.LBB12_487:
	s_mov_b32 s2, -1
                                        ; implicit-def: $vgpr42_vgpr43
.LBB12_488:
	s_delay_alu instid0(SALU_CYCLE_1)
	s_and_b32 vcc_lo, exec_lo, s2
	s_cbranch_vccz .LBB12_490
; %bb.489:
	global_load_u8 v1, v[2:3], off
	s_wait_loadcnt 0x0
	v_lshlrev_b32_e32 v1, 24, v1
	s_delay_alu instid0(VALU_DEP_1) | instskip(NEXT) | instid1(VALU_DEP_1)
	v_and_b32_e32 v4, 0x7f000000, v1
	v_clz_i32_u32_e32 v5, v4
	v_cmp_ne_u32_e32 vcc_lo, 0, v4
	v_add_nc_u32_e32 v7, 0x1000000, v4
	s_delay_alu instid0(VALU_DEP_3) | instskip(NEXT) | instid1(VALU_DEP_1)
	v_min_u32_e32 v5, 32, v5
	v_sub_nc_u32_e64 v5, v5, 4 clamp
	s_delay_alu instid0(VALU_DEP_1) | instskip(NEXT) | instid1(VALU_DEP_1)
	v_dual_lshlrev_b32 v6, v5, v4 :: v_dual_lshlrev_b32 v5, 23, v5
	v_lshrrev_b32_e32 v6, 4, v6
	s_delay_alu instid0(VALU_DEP_1) | instskip(NEXT) | instid1(VALU_DEP_1)
	v_dual_sub_nc_u32 v5, v6, v5 :: v_dual_ashrrev_i32 v6, 8, v7
	v_add_nc_u32_e32 v5, 0x3c000000, v5
	s_delay_alu instid0(VALU_DEP_1) | instskip(NEXT) | instid1(VALU_DEP_1)
	v_and_or_b32 v5, 0x7f800000, v6, v5
	v_cndmask_b32_e32 v4, 0, v5, vcc_lo
	s_delay_alu instid0(VALU_DEP_1) | instskip(NEXT) | instid1(VALU_DEP_1)
	v_and_or_b32 v1, 0x80000000, v1, v4
	v_cvt_f64_f32_e32 v[42:43], v1
.LBB12_490:
	s_mov_b32 s2, 0
.LBB12_491:
	s_delay_alu instid0(SALU_CYCLE_1)
	s_and_not1_b32 vcc_lo, exec_lo, s2
	s_cbranch_vccnz .LBB12_493
; %bb.492:
	global_load_u8 v1, v[2:3], off
	s_wait_loadcnt 0x0
	v_lshlrev_b32_e32 v4, 25, v1
	v_lshlrev_b16 v1, 8, v1
	s_delay_alu instid0(VALU_DEP_1) | instskip(SKIP_1) | instid1(VALU_DEP_2)
	v_and_or_b32 v6, 0x7f00, v1, 0.5
	v_bfe_i32 v1, v1, 0, 16
	v_dual_add_f32 v6, -0.5, v6 :: v_dual_lshrrev_b32 v5, 4, v4
	v_cmp_gt_u32_e32 vcc_lo, 0x8000000, v4
	s_delay_alu instid0(VALU_DEP_2) | instskip(NEXT) | instid1(VALU_DEP_1)
	v_or_b32_e32 v5, 0x70000000, v5
	v_mul_f32_e32 v5, 0x7800000, v5
	s_delay_alu instid0(VALU_DEP_1) | instskip(NEXT) | instid1(VALU_DEP_1)
	v_cndmask_b32_e32 v4, v5, v6, vcc_lo
	v_and_or_b32 v1, 0x80000000, v1, v4
	s_delay_alu instid0(VALU_DEP_1)
	v_cvt_f64_f32_e32 v[42:43], v1
.LBB12_493:
	s_mov_b32 s3, 0
	s_mov_b32 s2, -1
.LBB12_494:
	s_and_not1_b32 vcc_lo, exec_lo, s3
	s_cbranch_vccnz .LBB12_507
; %bb.495:
	s_cmp_gt_i32 s1, 14
	s_cbranch_scc0 .LBB12_498
; %bb.496:
	s_cmp_eq_u32 s1, 15
	s_cbranch_scc0 .LBB12_501
; %bb.497:
	global_load_u16 v1, v[2:3], off
	s_mov_b32 s2, -1
	s_mov_b32 s77, 0
	s_wait_loadcnt 0x0
	v_lshlrev_b32_e32 v1, 16, v1
	s_delay_alu instid0(VALU_DEP_1)
	v_cvt_f64_f32_e32 v[42:43], v1
	s_branch .LBB12_502
.LBB12_498:
	s_mov_b32 s3, -1
                                        ; implicit-def: $vgpr42_vgpr43
	s_branch .LBB12_503
.LBB12_499:
	s_or_saveexec_b32 s3, s3
	v_mov_b64_e32 v[42:43], 0x7ff8000020000000
	s_xor_b32 exec_lo, exec_lo, s3
	s_cbranch_execz .LBB12_480
.LBB12_500:
	v_cmp_ne_u16_e32 vcc_lo, 0, v1
	v_mov_b64_e32 v[42:43], 0
	s_and_not1_b32 s2, s2, exec_lo
	s_and_b32 s4, vcc_lo, exec_lo
	s_delay_alu instid0(SALU_CYCLE_1)
	s_or_b32 s2, s2, s4
	s_or_b32 exec_lo, exec_lo, s3
	s_and_saveexec_b32 s3, s2
	s_cbranch_execnz .LBB12_481
	s_branch .LBB12_482
.LBB12_501:
	s_mov_b32 s77, -1
                                        ; implicit-def: $vgpr42_vgpr43
.LBB12_502:
	s_mov_b32 s3, 0
.LBB12_503:
	s_delay_alu instid0(SALU_CYCLE_1)
	s_and_b32 vcc_lo, exec_lo, s3
	s_cbranch_vccz .LBB12_507
; %bb.504:
	s_cmp_eq_u32 s1, 11
	s_cbranch_scc0 .LBB12_506
; %bb.505:
	global_load_u8 v1, v[2:3], off
	s_wait_loadcnt 0x1
	v_mov_b32_e32 v42, 0
	s_mov_b32 s77, 0
	s_mov_b32 s2, -1
	s_wait_loadcnt 0x0
	v_cmp_ne_u16_e32 vcc_lo, 0, v1
	v_cndmask_b32_e64 v43, 0, 0x3ff00000, vcc_lo
	s_branch .LBB12_507
.LBB12_506:
	s_mov_b32 s77, -1
                                        ; implicit-def: $vgpr42_vgpr43
.LBB12_507:
	s_branch .LBB12_422
.LBB12_508:
	s_and_b32 s0, 0xffff, s0
	s_delay_alu instid0(SALU_CYCLE_1)
	s_cmp_lt_i32 s0, 5
	s_cbranch_scc1 .LBB12_513
; %bb.509:
	s_cmp_lt_i32 s0, 8
	s_cbranch_scc1 .LBB12_514
; %bb.510:
	;; [unrolled: 3-line block ×3, first 2 shown]
	s_cmp_gt_i32 s0, 9
	s_cbranch_scc0 .LBB12_516
; %bb.512:
	s_wait_loadcnt 0x0
	global_load_b64 v[42:43], v[2:3], off
	s_mov_b32 s1, 0
	s_branch .LBB12_517
.LBB12_513:
	s_mov_b32 s1, -1
                                        ; implicit-def: $vgpr42_vgpr43
	s_branch .LBB12_535
.LBB12_514:
	s_mov_b32 s1, -1
                                        ; implicit-def: $vgpr42_vgpr43
	s_branch .LBB12_523
.LBB12_515:
	s_mov_b32 s1, -1
                                        ; implicit-def: $vgpr42_vgpr43
	s_branch .LBB12_520
.LBB12_516:
	s_mov_b32 s1, -1
                                        ; implicit-def: $vgpr42_vgpr43
.LBB12_517:
	s_delay_alu instid0(SALU_CYCLE_1)
	s_and_not1_b32 vcc_lo, exec_lo, s1
	s_cbranch_vccnz .LBB12_519
; %bb.518:
	global_load_b32 v1, v[2:3], off
	s_wait_loadcnt 0x0
	v_cvt_f64_f32_e32 v[42:43], v1
.LBB12_519:
	s_mov_b32 s1, 0
.LBB12_520:
	s_delay_alu instid0(SALU_CYCLE_1)
	s_and_not1_b32 vcc_lo, exec_lo, s1
	s_cbranch_vccnz .LBB12_522
; %bb.521:
	global_load_b32 v1, v[2:3], off
	s_wait_loadcnt 0x0
	v_cvt_f32_f16_e32 v1, v1
	s_delay_alu instid0(VALU_DEP_1)
	v_cvt_f64_f32_e32 v[42:43], v1
.LBB12_522:
	s_mov_b32 s1, 0
.LBB12_523:
	s_delay_alu instid0(SALU_CYCLE_1)
	s_and_not1_b32 vcc_lo, exec_lo, s1
	s_cbranch_vccnz .LBB12_534
; %bb.524:
	s_cmp_lt_i32 s0, 6
	s_cbranch_scc1 .LBB12_527
; %bb.525:
	s_cmp_gt_i32 s0, 6
	s_cbranch_scc0 .LBB12_528
; %bb.526:
	s_wait_loadcnt 0x0
	global_load_b64 v[42:43], v[2:3], off
	s_mov_b32 s1, 0
	s_branch .LBB12_529
.LBB12_527:
	s_mov_b32 s1, -1
                                        ; implicit-def: $vgpr42_vgpr43
	s_branch .LBB12_532
.LBB12_528:
	s_mov_b32 s1, -1
                                        ; implicit-def: $vgpr42_vgpr43
.LBB12_529:
	s_delay_alu instid0(SALU_CYCLE_1)
	s_and_not1_b32 vcc_lo, exec_lo, s1
	s_cbranch_vccnz .LBB12_531
; %bb.530:
	global_load_b32 v1, v[2:3], off
	s_wait_loadcnt 0x0
	v_cvt_f64_f32_e32 v[42:43], v1
.LBB12_531:
	s_mov_b32 s1, 0
.LBB12_532:
	s_delay_alu instid0(SALU_CYCLE_1)
	s_and_not1_b32 vcc_lo, exec_lo, s1
	s_cbranch_vccnz .LBB12_534
; %bb.533:
	global_load_u16 v1, v[2:3], off
	s_wait_loadcnt 0x0
	v_cvt_f32_f16_e32 v1, v1
	s_delay_alu instid0(VALU_DEP_1)
	v_cvt_f64_f32_e32 v[42:43], v1
.LBB12_534:
	s_mov_b32 s1, 0
.LBB12_535:
	s_delay_alu instid0(SALU_CYCLE_1)
	s_and_not1_b32 vcc_lo, exec_lo, s1
	s_cbranch_vccnz .LBB12_555
; %bb.536:
	s_cmp_lt_i32 s0, 2
	s_cbranch_scc1 .LBB12_540
; %bb.537:
	s_cmp_lt_i32 s0, 3
	s_cbranch_scc1 .LBB12_541
; %bb.538:
	s_cmp_gt_i32 s0, 3
	s_cbranch_scc0 .LBB12_542
; %bb.539:
	global_load_b64 v[4:5], v[2:3], off
	s_mov_b32 s1, 0
	s_wait_loadcnt 0x0
	v_cvt_f64_i32_e32 v[6:7], v5
	v_cvt_f64_u32_e32 v[4:5], v4
	s_delay_alu instid0(VALU_DEP_2) | instskip(NEXT) | instid1(VALU_DEP_1)
	v_ldexp_f64 v[6:7], v[6:7], 32
	v_add_f64_e32 v[42:43], v[6:7], v[4:5]
	s_branch .LBB12_543
.LBB12_540:
	s_mov_b32 s1, -1
                                        ; implicit-def: $vgpr42_vgpr43
	s_branch .LBB12_549
.LBB12_541:
	s_mov_b32 s1, -1
                                        ; implicit-def: $vgpr42_vgpr43
	s_branch .LBB12_546
.LBB12_542:
	s_mov_b32 s1, -1
                                        ; implicit-def: $vgpr42_vgpr43
.LBB12_543:
	s_delay_alu instid0(SALU_CYCLE_1)
	s_and_not1_b32 vcc_lo, exec_lo, s1
	s_cbranch_vccnz .LBB12_545
; %bb.544:
	global_load_b32 v1, v[2:3], off
	s_wait_loadcnt 0x0
	v_cvt_f64_i32_e32 v[42:43], v1
.LBB12_545:
	s_mov_b32 s1, 0
.LBB12_546:
	s_delay_alu instid0(SALU_CYCLE_1)
	s_and_not1_b32 vcc_lo, exec_lo, s1
	s_cbranch_vccnz .LBB12_548
; %bb.547:
	global_load_i16 v1, v[2:3], off
	s_wait_loadcnt 0x0
	v_cvt_f64_i32_e32 v[42:43], v1
.LBB12_548:
	s_mov_b32 s1, 0
.LBB12_549:
	s_delay_alu instid0(SALU_CYCLE_1)
	s_and_not1_b32 vcc_lo, exec_lo, s1
	s_cbranch_vccnz .LBB12_555
; %bb.550:
	s_cmp_gt_i32 s0, 0
	s_mov_b32 s0, 0
	s_cbranch_scc0 .LBB12_552
; %bb.551:
	global_load_i8 v1, v[2:3], off
	s_wait_loadcnt 0x0
	v_cvt_f64_i32_e32 v[42:43], v1
	s_branch .LBB12_553
.LBB12_552:
	s_mov_b32 s0, -1
                                        ; implicit-def: $vgpr42_vgpr43
.LBB12_553:
	s_delay_alu instid0(SALU_CYCLE_1)
	s_and_not1_b32 vcc_lo, exec_lo, s0
	s_cbranch_vccnz .LBB12_555
; %bb.554:
	global_load_u8 v1, v[2:3], off
	s_wait_loadcnt 0x0
	v_cvt_f64_u32_e32 v[42:43], v1
.LBB12_555:
	s_branch .LBB12_423
.LBB12_556:
	s_mov_b32 s1, 0
	s_mov_b32 s0, s58
	;; [unrolled: 1-line block ×3, first 2 shown]
	s_branch .LBB12_805
.LBB12_557:
	s_and_not1_saveexec_b32 s5, s5
	s_cbranch_execz .LBB12_209
.LBB12_558:
	v_add_f32_e64 v3, 0x42800000, |v2|
	s_and_not1_b32 s4, s4, exec_lo
	s_delay_alu instid0(VALU_DEP_1) | instskip(NEXT) | instid1(VALU_DEP_1)
	v_and_b32_e32 v3, 0xff, v3
	v_cmp_ne_u32_e32 vcc_lo, 0, v3
	s_and_b32 s6, vcc_lo, exec_lo
	s_delay_alu instid0(SALU_CYCLE_1)
	s_or_b32 s4, s4, s6
	s_or_b32 exec_lo, exec_lo, s5
	v_mov_b32_e32 v6, 0
	s_and_saveexec_b32 s5, s4
	s_cbranch_execnz .LBB12_210
	s_branch .LBB12_211
.LBB12_559:
	s_mov_b32 s79, -1
	s_mov_b32 s1, 0
.LBB12_560:
                                        ; implicit-def: $vgpr44_vgpr45
.LBB12_561:
	s_and_b32 vcc_lo, exec_lo, s2
	s_cbranch_vccz .LBB12_565
; %bb.562:
	s_cmp_eq_u32 s0, 44
	s_cbranch_scc0 .LBB12_564
; %bb.563:
	global_load_u8 v4, v[0:1], off
	s_mov_b32 s79, 0
	s_mov_b32 s1, -1
	s_wait_loadcnt 0x0
	v_cmp_ne_u32_e32 vcc_lo, 0xff, v4
	s_wait_xcnt 0x1
	v_lshlrev_b32_e32 v2, 23, v4
	s_delay_alu instid0(VALU_DEP_1) | instskip(NEXT) | instid1(VALU_DEP_1)
	v_cvt_f64_f32_e32 v[2:3], v2
	v_cndmask_b32_e32 v2, 0x20000000, v2, vcc_lo
	s_delay_alu instid0(VALU_DEP_2) | instskip(SKIP_1) | instid1(VALU_DEP_2)
	v_cndmask_b32_e32 v3, 0x7ff80000, v3, vcc_lo
	v_cmp_ne_u32_e32 vcc_lo, 0, v4
	v_cndmask_b32_e32 v45, 0x38000000, v3, vcc_lo
	s_delay_alu instid0(VALU_DEP_4)
	v_cndmask_b32_e32 v44, 0, v2, vcc_lo
	s_branch .LBB12_565
.LBB12_564:
	s_mov_b32 s79, -1
                                        ; implicit-def: $vgpr44_vgpr45
.LBB12_565:
	s_mov_b32 s2, 0
.LBB12_566:
	s_delay_alu instid0(SALU_CYCLE_1)
	s_and_b32 vcc_lo, exec_lo, s2
	s_cbranch_vccz .LBB12_570
; %bb.567:
	s_cmp_eq_u32 s0, 29
	s_cbranch_scc0 .LBB12_569
; %bb.568:
	global_load_b64 v[2:3], v[0:1], off
	s_mov_b32 s1, -1
	s_mov_b32 s79, 0
	s_mov_b32 s2, 0
	s_wait_loadcnt 0x0
	v_cvt_f64_u32_e32 v[4:5], v3
	v_cvt_f64_u32_e32 v[2:3], v2
	s_delay_alu instid0(VALU_DEP_2) | instskip(NEXT) | instid1(VALU_DEP_1)
	v_ldexp_f64 v[4:5], v[4:5], 32
	v_add_f64_e32 v[44:45], v[4:5], v[2:3]
	s_branch .LBB12_571
.LBB12_569:
	s_mov_b32 s79, -1
                                        ; implicit-def: $vgpr44_vgpr45
.LBB12_570:
	s_mov_b32 s2, 0
.LBB12_571:
	s_delay_alu instid0(SALU_CYCLE_1)
	s_and_b32 vcc_lo, exec_lo, s2
	s_cbranch_vccz .LBB12_589
; %bb.572:
	s_cmp_lt_i32 s0, 27
	s_cbranch_scc1 .LBB12_575
; %bb.573:
	s_cmp_gt_i32 s0, 27
	s_cbranch_scc0 .LBB12_576
; %bb.574:
	global_load_b32 v2, v[0:1], off
	s_mov_b32 s1, 0
	s_wait_loadcnt 0x0
	v_cvt_f64_u32_e32 v[44:45], v2
	s_branch .LBB12_577
.LBB12_575:
	s_mov_b32 s1, -1
                                        ; implicit-def: $vgpr44_vgpr45
	s_branch .LBB12_580
.LBB12_576:
	s_mov_b32 s1, -1
                                        ; implicit-def: $vgpr44_vgpr45
.LBB12_577:
	s_delay_alu instid0(SALU_CYCLE_1)
	s_and_not1_b32 vcc_lo, exec_lo, s1
	s_cbranch_vccnz .LBB12_579
; %bb.578:
	global_load_u16 v2, v[0:1], off
	s_wait_loadcnt 0x0
	v_cvt_f64_u32_e32 v[44:45], v2
.LBB12_579:
	s_mov_b32 s1, 0
.LBB12_580:
	s_delay_alu instid0(SALU_CYCLE_1)
	s_and_not1_b32 vcc_lo, exec_lo, s1
	s_cbranch_vccnz .LBB12_588
; %bb.581:
	global_load_u8 v2, v[0:1], off
	s_mov_b32 s1, 0
	s_mov_b32 s2, exec_lo
	s_wait_loadcnt 0x0
	v_cmpx_lt_i16_e32 0x7f, v2
	s_xor_b32 s2, exec_lo, s2
	s_cbranch_execz .LBB12_602
; %bb.582:
	s_mov_b32 s1, -1
	s_mov_b32 s3, exec_lo
	v_cmpx_eq_u16_e32 0x80, v2
; %bb.583:
	s_xor_b32 s1, exec_lo, -1
; %bb.584:
	s_or_b32 exec_lo, exec_lo, s3
	s_delay_alu instid0(SALU_CYCLE_1)
	s_and_b32 s1, s1, exec_lo
	s_or_saveexec_b32 s2, s2
	v_mov_b64_e32 v[44:45], 0x7ff8000020000000
	s_xor_b32 exec_lo, exec_lo, s2
	s_cbranch_execnz .LBB12_603
.LBB12_585:
	s_or_b32 exec_lo, exec_lo, s2
	s_and_saveexec_b32 s2, s1
	s_cbranch_execz .LBB12_587
.LBB12_586:
	v_and_b32_e32 v3, 0xffff, v2
	s_delay_alu instid0(VALU_DEP_1) | instskip(SKIP_1) | instid1(VALU_DEP_2)
	v_and_b32_e32 v4, 7, v3
	v_bfe_u32 v7, v3, 3, 4
	v_clz_i32_u32_e32 v5, v4
	s_delay_alu instid0(VALU_DEP_2) | instskip(NEXT) | instid1(VALU_DEP_2)
	v_cmp_eq_u32_e32 vcc_lo, 0, v7
	v_min_u32_e32 v5, 32, v5
	s_delay_alu instid0(VALU_DEP_1) | instskip(NEXT) | instid1(VALU_DEP_1)
	v_subrev_nc_u32_e32 v6, 28, v5
	v_dual_lshlrev_b32 v3, v6, v3 :: v_dual_sub_nc_u32 v5, 29, v5
	s_delay_alu instid0(VALU_DEP_1) | instskip(NEXT) | instid1(VALU_DEP_1)
	v_dual_lshlrev_b32 v2, 24, v2 :: v_dual_bitop2_b32 v3, 7, v3 bitop3:0x40
	v_dual_cndmask_b32 v5, v7, v5, vcc_lo :: v_dual_cndmask_b32 v3, v4, v3, vcc_lo
	s_delay_alu instid0(VALU_DEP_2) | instskip(NEXT) | instid1(VALU_DEP_2)
	v_and_b32_e32 v2, 0x80000000, v2
	v_lshl_add_u32 v4, v5, 23, 0x3b800000
	s_delay_alu instid0(VALU_DEP_3) | instskip(NEXT) | instid1(VALU_DEP_1)
	v_lshlrev_b32_e32 v3, 20, v3
	v_or3_b32 v2, v2, v4, v3
	s_delay_alu instid0(VALU_DEP_1)
	v_cvt_f64_f32_e32 v[44:45], v2
.LBB12_587:
	s_or_b32 exec_lo, exec_lo, s2
.LBB12_588:
	s_mov_b32 s1, -1
.LBB12_589:
	s_mov_b32 s2, 0
.LBB12_590:
	s_delay_alu instid0(SALU_CYCLE_1)
	s_and_b32 vcc_lo, exec_lo, s2
	s_cbranch_vccz .LBB12_625
; %bb.591:
	s_cmp_gt_i32 s0, 22
	s_cbranch_scc0 .LBB12_601
; %bb.592:
	s_cmp_lt_i32 s0, 24
	s_cbranch_scc1 .LBB12_604
; %bb.593:
	s_cmp_gt_i32 s0, 24
	s_cbranch_scc0 .LBB12_605
; %bb.594:
	global_load_u8 v2, v[0:1], off
	s_mov_b32 s1, 0
	s_mov_b32 s2, exec_lo
	s_wait_loadcnt 0x0
	v_cmpx_lt_i16_e32 0x7f, v2
	s_xor_b32 s2, exec_lo, s2
	s_cbranch_execz .LBB12_617
; %bb.595:
	s_mov_b32 s1, -1
	s_mov_b32 s3, exec_lo
	v_cmpx_eq_u16_e32 0x80, v2
; %bb.596:
	s_xor_b32 s1, exec_lo, -1
; %bb.597:
	s_or_b32 exec_lo, exec_lo, s3
	s_delay_alu instid0(SALU_CYCLE_1)
	s_and_b32 s1, s1, exec_lo
	s_or_saveexec_b32 s2, s2
	v_mov_b64_e32 v[44:45], 0x7ff8000020000000
	s_xor_b32 exec_lo, exec_lo, s2
	s_cbranch_execnz .LBB12_618
.LBB12_598:
	s_or_b32 exec_lo, exec_lo, s2
	s_and_saveexec_b32 s2, s1
	s_cbranch_execz .LBB12_600
.LBB12_599:
	v_and_b32_e32 v3, 0xffff, v2
	s_delay_alu instid0(VALU_DEP_1) | instskip(SKIP_1) | instid1(VALU_DEP_2)
	v_and_b32_e32 v4, 3, v3
	v_bfe_u32 v7, v3, 2, 5
	v_clz_i32_u32_e32 v5, v4
	s_delay_alu instid0(VALU_DEP_2) | instskip(NEXT) | instid1(VALU_DEP_2)
	v_cmp_eq_u32_e32 vcc_lo, 0, v7
	v_min_u32_e32 v5, 32, v5
	s_delay_alu instid0(VALU_DEP_1) | instskip(NEXT) | instid1(VALU_DEP_1)
	v_subrev_nc_u32_e32 v6, 29, v5
	v_dual_lshlrev_b32 v3, v6, v3 :: v_dual_sub_nc_u32 v5, 30, v5
	s_delay_alu instid0(VALU_DEP_1) | instskip(NEXT) | instid1(VALU_DEP_1)
	v_dual_lshlrev_b32 v2, 24, v2 :: v_dual_bitop2_b32 v3, 3, v3 bitop3:0x40
	v_dual_cndmask_b32 v5, v7, v5, vcc_lo :: v_dual_cndmask_b32 v3, v4, v3, vcc_lo
	s_delay_alu instid0(VALU_DEP_2) | instskip(NEXT) | instid1(VALU_DEP_2)
	v_and_b32_e32 v2, 0x80000000, v2
	v_lshl_add_u32 v4, v5, 23, 0x37800000
	s_delay_alu instid0(VALU_DEP_3) | instskip(NEXT) | instid1(VALU_DEP_1)
	v_lshlrev_b32_e32 v3, 21, v3
	v_or3_b32 v2, v2, v4, v3
	s_delay_alu instid0(VALU_DEP_1)
	v_cvt_f64_f32_e32 v[44:45], v2
.LBB12_600:
	s_or_b32 exec_lo, exec_lo, s2
	s_mov_b32 s1, 0
	s_branch .LBB12_606
.LBB12_601:
	s_mov_b32 s2, -1
                                        ; implicit-def: $vgpr44_vgpr45
	s_branch .LBB12_612
.LBB12_602:
	s_or_saveexec_b32 s2, s2
	v_mov_b64_e32 v[44:45], 0x7ff8000020000000
	s_xor_b32 exec_lo, exec_lo, s2
	s_cbranch_execz .LBB12_585
.LBB12_603:
	v_cmp_ne_u16_e32 vcc_lo, 0, v2
	v_mov_b64_e32 v[44:45], 0
	s_and_not1_b32 s1, s1, exec_lo
	s_and_b32 s3, vcc_lo, exec_lo
	s_delay_alu instid0(SALU_CYCLE_1)
	s_or_b32 s1, s1, s3
	s_or_b32 exec_lo, exec_lo, s2
	s_and_saveexec_b32 s2, s1
	s_cbranch_execnz .LBB12_586
	s_branch .LBB12_587
.LBB12_604:
	s_mov_b32 s1, -1
                                        ; implicit-def: $vgpr44_vgpr45
	s_branch .LBB12_609
.LBB12_605:
	s_mov_b32 s1, -1
                                        ; implicit-def: $vgpr44_vgpr45
.LBB12_606:
	s_delay_alu instid0(SALU_CYCLE_1)
	s_and_b32 vcc_lo, exec_lo, s1
	s_cbranch_vccz .LBB12_608
; %bb.607:
	global_load_u8 v2, v[0:1], off
	s_wait_loadcnt 0x0
	v_lshlrev_b32_e32 v2, 24, v2
	s_delay_alu instid0(VALU_DEP_1) | instskip(NEXT) | instid1(VALU_DEP_1)
	v_and_b32_e32 v3, 0x7f000000, v2
	v_clz_i32_u32_e32 v4, v3
	v_cmp_ne_u32_e32 vcc_lo, 0, v3
	v_add_nc_u32_e32 v6, 0x1000000, v3
	s_delay_alu instid0(VALU_DEP_3) | instskip(NEXT) | instid1(VALU_DEP_1)
	v_min_u32_e32 v4, 32, v4
	v_sub_nc_u32_e64 v4, v4, 4 clamp
	s_delay_alu instid0(VALU_DEP_1) | instskip(NEXT) | instid1(VALU_DEP_1)
	v_dual_lshlrev_b32 v5, v4, v3 :: v_dual_lshlrev_b32 v4, 23, v4
	v_lshrrev_b32_e32 v5, 4, v5
	s_delay_alu instid0(VALU_DEP_1) | instskip(NEXT) | instid1(VALU_DEP_1)
	v_dual_sub_nc_u32 v4, v5, v4 :: v_dual_ashrrev_i32 v5, 8, v6
	v_add_nc_u32_e32 v4, 0x3c000000, v4
	s_delay_alu instid0(VALU_DEP_1) | instskip(NEXT) | instid1(VALU_DEP_1)
	v_and_or_b32 v4, 0x7f800000, v5, v4
	v_cndmask_b32_e32 v3, 0, v4, vcc_lo
	s_delay_alu instid0(VALU_DEP_1) | instskip(NEXT) | instid1(VALU_DEP_1)
	v_and_or_b32 v2, 0x80000000, v2, v3
	v_cvt_f64_f32_e32 v[44:45], v2
.LBB12_608:
	s_mov_b32 s1, 0
.LBB12_609:
	s_delay_alu instid0(SALU_CYCLE_1)
	s_and_not1_b32 vcc_lo, exec_lo, s1
	s_cbranch_vccnz .LBB12_611
; %bb.610:
	global_load_u8 v2, v[0:1], off
	s_wait_loadcnt 0x0
	v_lshlrev_b32_e32 v3, 25, v2
	v_lshlrev_b16 v2, 8, v2
	s_delay_alu instid0(VALU_DEP_1) | instskip(SKIP_1) | instid1(VALU_DEP_2)
	v_and_or_b32 v5, 0x7f00, v2, 0.5
	v_bfe_i32 v2, v2, 0, 16
	v_dual_add_f32 v5, -0.5, v5 :: v_dual_lshrrev_b32 v4, 4, v3
	v_cmp_gt_u32_e32 vcc_lo, 0x8000000, v3
	s_delay_alu instid0(VALU_DEP_2) | instskip(NEXT) | instid1(VALU_DEP_1)
	v_or_b32_e32 v4, 0x70000000, v4
	v_mul_f32_e32 v4, 0x7800000, v4
	s_delay_alu instid0(VALU_DEP_1) | instskip(NEXT) | instid1(VALU_DEP_1)
	v_cndmask_b32_e32 v3, v4, v5, vcc_lo
	v_and_or_b32 v2, 0x80000000, v2, v3
	s_delay_alu instid0(VALU_DEP_1)
	v_cvt_f64_f32_e32 v[44:45], v2
.LBB12_611:
	s_mov_b32 s2, 0
	s_mov_b32 s1, -1
.LBB12_612:
	s_and_not1_b32 vcc_lo, exec_lo, s2
	s_cbranch_vccnz .LBB12_625
; %bb.613:
	s_cmp_gt_i32 s0, 14
	s_cbranch_scc0 .LBB12_616
; %bb.614:
	s_cmp_eq_u32 s0, 15
	s_cbranch_scc0 .LBB12_619
; %bb.615:
	global_load_u16 v2, v[0:1], off
	s_mov_b32 s1, -1
	s_mov_b32 s79, 0
	s_wait_loadcnt 0x0
	v_lshlrev_b32_e32 v2, 16, v2
	s_delay_alu instid0(VALU_DEP_1)
	v_cvt_f64_f32_e32 v[44:45], v2
	s_branch .LBB12_620
.LBB12_616:
	s_mov_b32 s2, -1
                                        ; implicit-def: $vgpr44_vgpr45
	s_branch .LBB12_621
.LBB12_617:
	s_or_saveexec_b32 s2, s2
	v_mov_b64_e32 v[44:45], 0x7ff8000020000000
	s_xor_b32 exec_lo, exec_lo, s2
	s_cbranch_execz .LBB12_598
.LBB12_618:
	v_cmp_ne_u16_e32 vcc_lo, 0, v2
	v_mov_b64_e32 v[44:45], 0
	s_and_not1_b32 s1, s1, exec_lo
	s_and_b32 s3, vcc_lo, exec_lo
	s_delay_alu instid0(SALU_CYCLE_1)
	s_or_b32 s1, s1, s3
	s_or_b32 exec_lo, exec_lo, s2
	s_and_saveexec_b32 s2, s1
	s_cbranch_execnz .LBB12_599
	s_branch .LBB12_600
.LBB12_619:
	s_mov_b32 s79, -1
                                        ; implicit-def: $vgpr44_vgpr45
.LBB12_620:
	s_mov_b32 s2, 0
.LBB12_621:
	s_delay_alu instid0(SALU_CYCLE_1)
	s_and_b32 vcc_lo, exec_lo, s2
	s_cbranch_vccz .LBB12_625
; %bb.622:
	s_cmp_eq_u32 s0, 11
	s_cbranch_scc0 .LBB12_624
; %bb.623:
	global_load_u8 v2, v[0:1], off
	s_wait_loadcnt 0x1
	v_mov_b32_e32 v44, 0
	s_mov_b32 s79, 0
	s_mov_b32 s1, -1
	s_wait_loadcnt 0x0
	v_cmp_ne_u16_e32 vcc_lo, 0, v2
	v_cndmask_b32_e64 v45, 0, 0x3ff00000, vcc_lo
	s_branch .LBB12_625
.LBB12_624:
	s_mov_b32 s79, -1
                                        ; implicit-def: $vgpr44_vgpr45
.LBB12_625:
	s_mov_b32 s2, 0
.LBB12_626:
	s_delay_alu instid0(SALU_CYCLE_1)
	s_and_b32 vcc_lo, exec_lo, s2
	s_cbranch_vccz .LBB12_675
; %bb.627:
	s_cmp_lt_i32 s0, 5
	s_cbranch_scc1 .LBB12_632
; %bb.628:
	s_cmp_lt_i32 s0, 8
	s_cbranch_scc1 .LBB12_633
; %bb.629:
	s_cmp_lt_i32 s0, 9
	s_cbranch_scc1 .LBB12_634
; %bb.630:
	s_cmp_gt_i32 s0, 9
	s_cbranch_scc0 .LBB12_635
; %bb.631:
	s_wait_loadcnt 0x0
	global_load_b64 v[44:45], v[0:1], off
	s_mov_b32 s1, 0
	s_branch .LBB12_636
.LBB12_632:
	s_mov_b32 s1, -1
                                        ; implicit-def: $vgpr44_vgpr45
	s_branch .LBB12_654
.LBB12_633:
	s_mov_b32 s1, -1
                                        ; implicit-def: $vgpr44_vgpr45
	s_branch .LBB12_642
.LBB12_634:
	s_mov_b32 s1, -1
                                        ; implicit-def: $vgpr44_vgpr45
	s_branch .LBB12_639
.LBB12_635:
	s_mov_b32 s1, -1
                                        ; implicit-def: $vgpr44_vgpr45
.LBB12_636:
	s_delay_alu instid0(SALU_CYCLE_1)
	s_and_not1_b32 vcc_lo, exec_lo, s1
	s_cbranch_vccnz .LBB12_638
; %bb.637:
	global_load_b32 v2, v[0:1], off
	s_wait_loadcnt 0x0
	v_cvt_f64_f32_e32 v[44:45], v2
.LBB12_638:
	s_mov_b32 s1, 0
.LBB12_639:
	s_delay_alu instid0(SALU_CYCLE_1)
	s_and_not1_b32 vcc_lo, exec_lo, s1
	s_cbranch_vccnz .LBB12_641
; %bb.640:
	global_load_b32 v2, v[0:1], off
	s_wait_loadcnt 0x0
	v_cvt_f32_f16_e32 v2, v2
	s_delay_alu instid0(VALU_DEP_1)
	v_cvt_f64_f32_e32 v[44:45], v2
.LBB12_641:
	s_mov_b32 s1, 0
.LBB12_642:
	s_delay_alu instid0(SALU_CYCLE_1)
	s_and_not1_b32 vcc_lo, exec_lo, s1
	s_cbranch_vccnz .LBB12_653
; %bb.643:
	s_cmp_lt_i32 s0, 6
	s_cbranch_scc1 .LBB12_646
; %bb.644:
	s_cmp_gt_i32 s0, 6
	s_cbranch_scc0 .LBB12_647
; %bb.645:
	s_wait_loadcnt 0x0
	global_load_b64 v[44:45], v[0:1], off
	s_mov_b32 s1, 0
	s_branch .LBB12_648
.LBB12_646:
	s_mov_b32 s1, -1
                                        ; implicit-def: $vgpr44_vgpr45
	s_branch .LBB12_651
.LBB12_647:
	s_mov_b32 s1, -1
                                        ; implicit-def: $vgpr44_vgpr45
.LBB12_648:
	s_delay_alu instid0(SALU_CYCLE_1)
	s_and_not1_b32 vcc_lo, exec_lo, s1
	s_cbranch_vccnz .LBB12_650
; %bb.649:
	global_load_b32 v2, v[0:1], off
	s_wait_loadcnt 0x0
	v_cvt_f64_f32_e32 v[44:45], v2
.LBB12_650:
	s_mov_b32 s1, 0
.LBB12_651:
	s_delay_alu instid0(SALU_CYCLE_1)
	s_and_not1_b32 vcc_lo, exec_lo, s1
	s_cbranch_vccnz .LBB12_653
; %bb.652:
	global_load_u16 v2, v[0:1], off
	s_wait_loadcnt 0x0
	v_cvt_f32_f16_e32 v2, v2
	s_delay_alu instid0(VALU_DEP_1)
	v_cvt_f64_f32_e32 v[44:45], v2
.LBB12_653:
	s_mov_b32 s1, 0
.LBB12_654:
	s_delay_alu instid0(SALU_CYCLE_1)
	s_and_not1_b32 vcc_lo, exec_lo, s1
	s_cbranch_vccnz .LBB12_674
; %bb.655:
	s_cmp_lt_i32 s0, 2
	s_cbranch_scc1 .LBB12_659
; %bb.656:
	s_cmp_lt_i32 s0, 3
	s_cbranch_scc1 .LBB12_660
; %bb.657:
	s_cmp_gt_i32 s0, 3
	s_cbranch_scc0 .LBB12_661
; %bb.658:
	global_load_b64 v[2:3], v[0:1], off
	s_mov_b32 s1, 0
	s_wait_loadcnt 0x0
	v_cvt_f64_i32_e32 v[4:5], v3
	v_cvt_f64_u32_e32 v[2:3], v2
	s_delay_alu instid0(VALU_DEP_2) | instskip(NEXT) | instid1(VALU_DEP_1)
	v_ldexp_f64 v[4:5], v[4:5], 32
	v_add_f64_e32 v[44:45], v[4:5], v[2:3]
	s_branch .LBB12_662
.LBB12_659:
	s_mov_b32 s1, -1
                                        ; implicit-def: $vgpr44_vgpr45
	s_branch .LBB12_668
.LBB12_660:
	s_mov_b32 s1, -1
                                        ; implicit-def: $vgpr44_vgpr45
	s_branch .LBB12_665
.LBB12_661:
	s_mov_b32 s1, -1
                                        ; implicit-def: $vgpr44_vgpr45
.LBB12_662:
	s_delay_alu instid0(SALU_CYCLE_1)
	s_and_not1_b32 vcc_lo, exec_lo, s1
	s_cbranch_vccnz .LBB12_664
; %bb.663:
	global_load_b32 v2, v[0:1], off
	s_wait_loadcnt 0x0
	v_cvt_f64_i32_e32 v[44:45], v2
.LBB12_664:
	s_mov_b32 s1, 0
.LBB12_665:
	s_delay_alu instid0(SALU_CYCLE_1)
	s_and_not1_b32 vcc_lo, exec_lo, s1
	s_cbranch_vccnz .LBB12_667
; %bb.666:
	global_load_i16 v2, v[0:1], off
	s_wait_loadcnt 0x0
	v_cvt_f64_i32_e32 v[44:45], v2
.LBB12_667:
	s_mov_b32 s1, 0
.LBB12_668:
	s_delay_alu instid0(SALU_CYCLE_1)
	s_and_not1_b32 vcc_lo, exec_lo, s1
	s_cbranch_vccnz .LBB12_674
; %bb.669:
	s_cmp_gt_i32 s0, 0
	s_mov_b32 s0, 0
	s_cbranch_scc0 .LBB12_671
; %bb.670:
	global_load_i8 v2, v[0:1], off
	s_wait_loadcnt 0x0
	v_cvt_f64_i32_e32 v[44:45], v2
	s_branch .LBB12_672
.LBB12_671:
	s_mov_b32 s0, -1
                                        ; implicit-def: $vgpr44_vgpr45
.LBB12_672:
	s_delay_alu instid0(SALU_CYCLE_1)
	s_and_not1_b32 vcc_lo, exec_lo, s0
	s_cbranch_vccnz .LBB12_674
; %bb.673:
	global_load_u8 v0, v[0:1], off
	s_wait_loadcnt 0x0
	v_cvt_f64_u32_e32 v[44:45], v0
.LBB12_674:
	s_mov_b32 s1, -1
.LBB12_675:
	s_delay_alu instid0(SALU_CYCLE_1)
	s_and_not1_b32 vcc_lo, exec_lo, s1
	s_cbranch_vccnz .LBB12_678
; %bb.676:
	s_and_not1_b32 vcc_lo, exec_lo, s45
	s_cbranch_vccnz .LBB12_679
; %bb.677:
	s_wait_loadcnt 0x0
	s_delay_alu instid0(VALU_DEP_3) | instskip(NEXT) | instid1(VALU_DEP_2)
	v_dual_mov_b32 v0, v42 :: v_dual_mov_b32 v1, v43
	v_dual_mov_b32 v2, v44 :: v_dual_mov_b32 v3, v45
	s_get_pc_i64 s[0:1]
	s_add_nc_u64 s[0:1], s[0:1], _ZN12_GLOBAL__N_111calc_igammaIdEET_S1_S1_@rel64+4
	s_delay_alu instid0(SALU_CYCLE_1)
	s_swap_pc_i64 s[30:31], s[0:1]
	s_mov_b32 s0, 0
	s_branch .LBB12_680
.LBB12_678:
	s_mov_b32 s1, 0
	s_mov_b32 s0, s58
	s_branch .LBB12_805
.LBB12_679:
	s_mov_b32 s0, -1
                                        ; implicit-def: $vgpr0_vgpr1
.LBB12_680:
	s_delay_alu instid0(SALU_CYCLE_1)
	s_and_not1_b32 vcc_lo, exec_lo, s0
	s_cbranch_vccnz .LBB12_682
; %bb.681:
	s_wait_loadcnt 0x0
	s_delay_alu instid0(VALU_DEP_3) | instskip(NEXT) | instid1(VALU_DEP_2)
	v_dual_mov_b32 v0, v42 :: v_dual_mov_b32 v1, v43
	v_dual_mov_b32 v2, v44 :: v_dual_mov_b32 v3, v45
	s_get_pc_i64 s[0:1]
	s_add_nc_u64 s[0:1], s[0:1], _ZN12_GLOBAL__N_112calc_igammacIdEET_S1_S1_@rel64+4
	s_delay_alu instid0(SALU_CYCLE_1)
	s_swap_pc_i64 s[30:31], s[0:1]
.LBB12_682:
	v_mov_b32_e32 v57, 0
	s_and_b32 s1, s67, 0xff
	s_delay_alu instid0(SALU_CYCLE_1) | instskip(NEXT) | instid1(VALU_DEP_1)
	s_cmp_lt_i32 s1, 11
	v_add_nc_u64_e32 v[4:5], s[36:37], v[56:57]
	s_cbranch_scc1 .LBB12_689
; %bb.683:
	s_and_b32 s2, 0xffff, s1
	s_delay_alu instid0(SALU_CYCLE_1)
	s_cmp_gt_i32 s2, 25
	s_cbranch_scc0 .LBB12_690
; %bb.684:
	s_cmp_gt_i32 s2, 28
	s_cbranch_scc0 .LBB12_691
; %bb.685:
	;; [unrolled: 3-line block ×4, first 2 shown]
	s_mov_b32 s4, 0
	s_mov_b32 s0, -1
	s_cmp_eq_u32 s2, 46
	s_mov_b32 s3, 0
	s_cbranch_scc0 .LBB12_694
; %bb.688:
	s_wait_xcnt 0x0
	v_cvt_f32_f64_e32 v2, v[0:1]
	s_mov_b32 s3, -1
	s_mov_b32 s0, 0
	s_delay_alu instid0(VALU_DEP_1) | instskip(SKIP_1) | instid1(VALU_DEP_2)
	v_bfe_u32 v3, v2, 16, 1
	v_cmp_o_f32_e32 vcc_lo, v2, v2
	v_add3_u32 v3, v2, v3, 0x7fff
	s_delay_alu instid0(VALU_DEP_1) | instskip(NEXT) | instid1(VALU_DEP_1)
	v_lshrrev_b32_e32 v3, 16, v3
	v_cndmask_b32_e32 v2, 0x7fc0, v3, vcc_lo
	global_store_b32 v[4:5], v2, off
	s_branch .LBB12_694
.LBB12_689:
	s_mov_b32 s2, -1
	s_mov_b32 s3, 0
	s_mov_b32 s0, s58
	s_branch .LBB12_763
.LBB12_690:
	s_mov_b32 s4, -1
	s_mov_b32 s3, 0
	s_mov_b32 s0, s58
	s_branch .LBB12_721
.LBB12_691:
	s_mov_b32 s4, -1
	s_mov_b32 s3, 0
	s_mov_b32 s0, s58
	s_branch .LBB12_704
.LBB12_692:
	s_mov_b32 s4, -1
	s_mov_b32 s3, 0
	s_mov_b32 s0, s58
	s_branch .LBB12_700
.LBB12_693:
	s_mov_b32 s4, -1
	s_mov_b32 s3, 0
	s_mov_b32 s0, s58
.LBB12_694:
	s_and_b32 vcc_lo, exec_lo, s4
	s_cbranch_vccz .LBB12_699
; %bb.695:
	s_cmp_eq_u32 s2, 44
	s_mov_b32 s0, -1
	s_cbranch_scc0 .LBB12_699
; %bb.696:
	s_wait_xcnt 0x0
	v_cvt_f32_f64_e32 v2, v[0:1]
	v_mov_b32_e32 v3, 0xff
	s_mov_b32 s3, exec_lo
	s_delay_alu instid0(VALU_DEP_2) | instskip(NEXT) | instid1(VALU_DEP_1)
	v_bfe_u32 v6, v2, 23, 8
	v_cmpx_ne_u32_e32 0xff, v6
	s_cbranch_execz .LBB12_698
; %bb.697:
	v_and_b32_e32 v3, 0x400000, v2
	v_and_or_b32 v6, 0x3fffff, v2, v6
	v_lshrrev_b32_e32 v2, 23, v2
	s_delay_alu instid0(VALU_DEP_3) | instskip(NEXT) | instid1(VALU_DEP_3)
	v_cmp_ne_u32_e32 vcc_lo, 0, v3
	v_cmp_ne_u32_e64 s0, 0, v6
	s_and_b32 s0, vcc_lo, s0
	s_delay_alu instid0(SALU_CYCLE_1) | instskip(NEXT) | instid1(VALU_DEP_1)
	v_cndmask_b32_e64 v3, 0, 1, s0
	v_add_nc_u32_e32 v3, v2, v3
.LBB12_698:
	s_or_b32 exec_lo, exec_lo, s3
	s_mov_b32 s3, -1
	s_mov_b32 s0, 0
	global_store_b8 v[4:5], v3, off
.LBB12_699:
	s_mov_b32 s4, 0
.LBB12_700:
	s_delay_alu instid0(SALU_CYCLE_1)
	s_and_b32 vcc_lo, exec_lo, s4
	s_cbranch_vccz .LBB12_703
; %bb.701:
	s_cmp_eq_u32 s2, 29
	s_mov_b32 s0, -1
	s_cbranch_scc0 .LBB12_703
; %bb.702:
	s_wait_xcnt 0x0
	v_trunc_f64_e32 v[2:3], v[0:1]
	s_mov_b32 s3, -1
	s_mov_b32 s0, 0
	s_mov_b32 s4, 0
	s_delay_alu instid0(VALU_DEP_1) | instskip(NEXT) | instid1(VALU_DEP_1)
	v_ldexp_f64 v[6:7], v[2:3], 0xffffffe0
	v_floor_f64_e32 v[6:7], v[6:7]
	s_delay_alu instid0(VALU_DEP_1) | instskip(SKIP_1) | instid1(VALU_DEP_2)
	v_fmamk_f64 v[2:3], v[6:7], 0xc1f00000, v[2:3]
	v_cvt_u32_f64_e32 v7, v[6:7]
	v_cvt_u32_f64_e32 v6, v[2:3]
	global_store_b64 v[4:5], v[6:7], off
	s_branch .LBB12_704
.LBB12_703:
	s_mov_b32 s4, 0
.LBB12_704:
	s_delay_alu instid0(SALU_CYCLE_1)
	s_and_b32 vcc_lo, exec_lo, s4
	s_cbranch_vccz .LBB12_720
; %bb.705:
	s_cmp_lt_i32 s2, 27
	s_mov_b32 s3, -1
	s_cbranch_scc1 .LBB12_711
; %bb.706:
	s_wait_xcnt 0x0
	v_cvt_u32_f64_e32 v2, v[0:1]
	s_cmp_gt_i32 s2, 27
	s_cbranch_scc0 .LBB12_708
; %bb.707:
	s_mov_b32 s3, 0
	global_store_b32 v[4:5], v2, off
.LBB12_708:
	s_and_not1_b32 vcc_lo, exec_lo, s3
	s_cbranch_vccnz .LBB12_710
; %bb.709:
	global_store_b16 v[4:5], v2, off
.LBB12_710:
	s_mov_b32 s3, 0
.LBB12_711:
	s_delay_alu instid0(SALU_CYCLE_1)
	s_and_not1_b32 vcc_lo, exec_lo, s3
	s_cbranch_vccnz .LBB12_719
; %bb.712:
	s_wait_xcnt 0x0
	v_cvt_f32_f64_e32 v2, v[0:1]
	v_mov_b32_e32 v6, 0x80
	s_mov_b32 s3, exec_lo
	s_delay_alu instid0(VALU_DEP_2) | instskip(NEXT) | instid1(VALU_DEP_1)
	v_and_b32_e32 v3, 0x7fffffff, v2
	v_cmpx_gt_u32_e32 0x43800000, v3
	s_cbranch_execz .LBB12_718
; %bb.713:
	v_cmp_lt_u32_e32 vcc_lo, 0x3bffffff, v3
	s_mov_b32 s4, 0
                                        ; implicit-def: $vgpr3
	s_and_saveexec_b32 s5, vcc_lo
	s_delay_alu instid0(SALU_CYCLE_1)
	s_xor_b32 s5, exec_lo, s5
	s_cbranch_execz .LBB12_833
; %bb.714:
	v_bfe_u32 v3, v2, 20, 1
	s_mov_b32 s4, exec_lo
	s_delay_alu instid0(VALU_DEP_1) | instskip(NEXT) | instid1(VALU_DEP_1)
	v_add3_u32 v3, v2, v3, 0x487ffff
	v_lshrrev_b32_e32 v3, 20, v3
	s_and_not1_saveexec_b32 s5, s5
	s_cbranch_execnz .LBB12_834
.LBB12_715:
	s_or_b32 exec_lo, exec_lo, s5
	v_mov_b32_e32 v6, 0
	s_and_saveexec_b32 s5, s4
.LBB12_716:
	v_lshrrev_b32_e32 v2, 24, v2
	s_delay_alu instid0(VALU_DEP_1)
	v_and_or_b32 v6, 0x80, v2, v3
.LBB12_717:
	s_or_b32 exec_lo, exec_lo, s5
.LBB12_718:
	s_delay_alu instid0(SALU_CYCLE_1)
	s_or_b32 exec_lo, exec_lo, s3
	global_store_b8 v[4:5], v6, off
.LBB12_719:
	s_mov_b32 s3, -1
.LBB12_720:
	s_mov_b32 s4, 0
.LBB12_721:
	s_delay_alu instid0(SALU_CYCLE_1)
	s_and_b32 vcc_lo, exec_lo, s4
	s_cbranch_vccz .LBB12_762
; %bb.722:
	s_cmp_gt_i32 s2, 22
	s_mov_b32 s4, -1
	s_cbranch_scc0 .LBB12_754
; %bb.723:
	s_cmp_lt_i32 s2, 24
	s_mov_b32 s3, -1
	s_cbranch_scc1 .LBB12_743
; %bb.724:
	s_cmp_gt_i32 s2, 24
	s_cbranch_scc0 .LBB12_732
; %bb.725:
	s_wait_xcnt 0x0
	v_cvt_f32_f64_e32 v2, v[0:1]
	v_mov_b32_e32 v6, 0x80
	s_mov_b32 s3, exec_lo
	s_delay_alu instid0(VALU_DEP_2) | instskip(NEXT) | instid1(VALU_DEP_1)
	v_and_b32_e32 v3, 0x7fffffff, v2
	v_cmpx_gt_u32_e32 0x47800000, v3
	s_cbranch_execz .LBB12_731
; %bb.726:
	v_cmp_lt_u32_e32 vcc_lo, 0x37ffffff, v3
	s_mov_b32 s4, 0
                                        ; implicit-def: $vgpr3
	s_and_saveexec_b32 s5, vcc_lo
	s_delay_alu instid0(SALU_CYCLE_1)
	s_xor_b32 s5, exec_lo, s5
	s_cbranch_execz .LBB12_965
; %bb.727:
	v_bfe_u32 v3, v2, 21, 1
	s_mov_b32 s4, exec_lo
	s_delay_alu instid0(VALU_DEP_1) | instskip(NEXT) | instid1(VALU_DEP_1)
	v_add3_u32 v3, v2, v3, 0x88fffff
	v_lshrrev_b32_e32 v3, 21, v3
	s_and_not1_saveexec_b32 s5, s5
	s_cbranch_execnz .LBB12_966
.LBB12_728:
	s_or_b32 exec_lo, exec_lo, s5
	v_mov_b32_e32 v6, 0
	s_and_saveexec_b32 s5, s4
.LBB12_729:
	v_lshrrev_b32_e32 v2, 24, v2
	s_delay_alu instid0(VALU_DEP_1)
	v_and_or_b32 v6, 0x80, v2, v3
.LBB12_730:
	s_or_b32 exec_lo, exec_lo, s5
.LBB12_731:
	s_delay_alu instid0(SALU_CYCLE_1)
	s_or_b32 exec_lo, exec_lo, s3
	s_mov_b32 s3, 0
	global_store_b8 v[4:5], v6, off
.LBB12_732:
	s_and_b32 vcc_lo, exec_lo, s3
	s_cbranch_vccz .LBB12_742
; %bb.733:
	s_wait_xcnt 0x0
	v_cvt_f32_f64_e32 v2, v[0:1]
	s_mov_b32 s3, exec_lo
                                        ; implicit-def: $vgpr3
	s_delay_alu instid0(VALU_DEP_1) | instskip(NEXT) | instid1(VALU_DEP_1)
	v_and_b32_e32 v6, 0x7fffffff, v2
	v_cmpx_gt_u32_e32 0x43f00000, v6
	s_xor_b32 s3, exec_lo, s3
	s_cbranch_execz .LBB12_739
; %bb.734:
	s_mov_b32 s4, exec_lo
                                        ; implicit-def: $vgpr3
	v_cmpx_lt_u32_e32 0x3c7fffff, v6
	s_xor_b32 s4, exec_lo, s4
; %bb.735:
	v_bfe_u32 v3, v2, 20, 1
	s_delay_alu instid0(VALU_DEP_1) | instskip(NEXT) | instid1(VALU_DEP_1)
	v_add3_u32 v3, v2, v3, 0x407ffff
	v_and_b32_e32 v6, 0xff00000, v3
	v_lshrrev_b32_e32 v3, 20, v3
	s_delay_alu instid0(VALU_DEP_2) | instskip(NEXT) | instid1(VALU_DEP_2)
	v_cmp_ne_u32_e32 vcc_lo, 0x7f00000, v6
	v_cndmask_b32_e32 v3, 0x7e, v3, vcc_lo
; %bb.736:
	s_and_not1_saveexec_b32 s4, s4
; %bb.737:
	v_add_f32_e64 v3, 0x46800000, |v2|
; %bb.738:
	s_or_b32 exec_lo, exec_lo, s4
                                        ; implicit-def: $vgpr6
.LBB12_739:
	s_and_not1_saveexec_b32 s3, s3
; %bb.740:
	v_mov_b32_e32 v3, 0x7f
	v_cmp_lt_u32_e32 vcc_lo, 0x7f800000, v6
	s_delay_alu instid0(VALU_DEP_2)
	v_cndmask_b32_e32 v3, 0x7e, v3, vcc_lo
; %bb.741:
	s_or_b32 exec_lo, exec_lo, s3
	v_lshrrev_b32_e32 v2, 24, v2
	s_delay_alu instid0(VALU_DEP_1)
	v_and_or_b32 v2, 0x80, v2, v3
	global_store_b8 v[4:5], v2, off
.LBB12_742:
	s_mov_b32 s3, 0
.LBB12_743:
	s_delay_alu instid0(SALU_CYCLE_1)
	s_and_not1_b32 vcc_lo, exec_lo, s3
	s_cbranch_vccnz .LBB12_753
; %bb.744:
	s_wait_xcnt 0x0
	v_cvt_f32_f64_e32 v2, v[0:1]
	s_mov_b32 s3, exec_lo
                                        ; implicit-def: $vgpr3
	s_delay_alu instid0(VALU_DEP_1) | instskip(NEXT) | instid1(VALU_DEP_1)
	v_and_b32_e32 v6, 0x7fffffff, v2
	v_cmpx_gt_u32_e32 0x47800000, v6
	s_xor_b32 s3, exec_lo, s3
	s_cbranch_execz .LBB12_750
; %bb.745:
	s_mov_b32 s4, exec_lo
                                        ; implicit-def: $vgpr3
	v_cmpx_lt_u32_e32 0x387fffff, v6
	s_xor_b32 s4, exec_lo, s4
; %bb.746:
	v_bfe_u32 v3, v2, 21, 1
	s_delay_alu instid0(VALU_DEP_1) | instskip(NEXT) | instid1(VALU_DEP_1)
	v_add3_u32 v3, v2, v3, 0x80fffff
	v_lshrrev_b32_e32 v3, 21, v3
; %bb.747:
	s_and_not1_saveexec_b32 s4, s4
; %bb.748:
	v_add_f32_e64 v3, 0x43000000, |v2|
; %bb.749:
	s_or_b32 exec_lo, exec_lo, s4
                                        ; implicit-def: $vgpr6
.LBB12_750:
	s_and_not1_saveexec_b32 s3, s3
; %bb.751:
	v_mov_b32_e32 v3, 0x7f
	v_cmp_lt_u32_e32 vcc_lo, 0x7f800000, v6
	s_delay_alu instid0(VALU_DEP_2)
	v_cndmask_b32_e32 v3, 0x7c, v3, vcc_lo
; %bb.752:
	s_or_b32 exec_lo, exec_lo, s3
	v_lshrrev_b32_e32 v2, 24, v2
	s_delay_alu instid0(VALU_DEP_1)
	v_and_or_b32 v2, 0x80, v2, v3
	global_store_b8 v[4:5], v2, off
.LBB12_753:
	s_mov_b32 s4, 0
	s_mov_b32 s3, -1
.LBB12_754:
	s_and_not1_b32 vcc_lo, exec_lo, s4
	s_cbranch_vccnz .LBB12_762
; %bb.755:
	s_cmp_gt_i32 s2, 14
	s_mov_b32 s4, -1
	s_cbranch_scc0 .LBB12_759
; %bb.756:
	s_cmp_eq_u32 s2, 15
	s_mov_b32 s0, -1
	s_cbranch_scc0 .LBB12_758
; %bb.757:
	s_wait_xcnt 0x0
	v_cvt_f32_f64_e32 v2, v[0:1]
	s_mov_b32 s3, -1
	s_mov_b32 s0, 0
	s_delay_alu instid0(VALU_DEP_1) | instskip(SKIP_1) | instid1(VALU_DEP_2)
	v_bfe_u32 v3, v2, 16, 1
	v_cmp_o_f32_e32 vcc_lo, v2, v2
	v_add3_u32 v3, v2, v3, 0x7fff
	s_delay_alu instid0(VALU_DEP_1) | instskip(NEXT) | instid1(VALU_DEP_1)
	v_lshrrev_b32_e32 v3, 16, v3
	v_cndmask_b32_e32 v2, 0x7fc0, v3, vcc_lo
	global_store_b16 v[4:5], v2, off
.LBB12_758:
	s_mov_b32 s4, 0
.LBB12_759:
	s_delay_alu instid0(SALU_CYCLE_1)
	s_and_b32 vcc_lo, exec_lo, s4
	s_cbranch_vccz .LBB12_762
; %bb.760:
	s_cmp_eq_u32 s2, 11
	s_mov_b32 s0, -1
	s_cbranch_scc0 .LBB12_762
; %bb.761:
	v_cmp_neq_f64_e32 vcc_lo, 0, v[0:1]
	s_mov_b32 s3, -1
	s_mov_b32 s0, 0
	s_wait_xcnt 0x0
	v_cndmask_b32_e64 v2, 0, 1, vcc_lo
	global_store_b8 v[4:5], v2, off
.LBB12_762:
	s_mov_b32 s2, 0
.LBB12_763:
	s_delay_alu instid0(SALU_CYCLE_1)
	s_and_b32 vcc_lo, exec_lo, s2
	s_cbranch_vccz .LBB12_802
; %bb.764:
	s_and_b32 s1, 0xffff, s1
	s_mov_b32 s2, -1
	s_cmp_lt_i32 s1, 5
	s_cbranch_scc1 .LBB12_785
; %bb.765:
	s_cmp_lt_i32 s1, 8
	s_cbranch_scc1 .LBB12_775
; %bb.766:
	;; [unrolled: 3-line block ×3, first 2 shown]
	s_cmp_gt_i32 s1, 9
	s_cbranch_scc0 .LBB12_769
; %bb.768:
	s_wait_xcnt 0x0
	v_mov_b32_e32 v2, 0
	s_mov_b32 s2, 0
	s_delay_alu instid0(VALU_DEP_1)
	v_mov_b32_e32 v3, v2
	global_store_b128 v[4:5], v[0:3], off
.LBB12_769:
	s_and_not1_b32 vcc_lo, exec_lo, s2
	s_cbranch_vccnz .LBB12_771
; %bb.770:
	s_wait_xcnt 0x0
	v_cvt_f32_f64_e32 v2, v[0:1]
	v_mov_b32_e32 v3, 0
	global_store_b64 v[4:5], v[2:3], off
.LBB12_771:
	s_mov_b32 s2, 0
.LBB12_772:
	s_delay_alu instid0(SALU_CYCLE_1)
	s_and_not1_b32 vcc_lo, exec_lo, s2
	s_cbranch_vccnz .LBB12_774
; %bb.773:
	s_wait_xcnt 0x0
	v_and_or_b32 v2, 0x1ff, v1, v0
	v_lshrrev_b32_e32 v3, 8, v1
	v_bfe_u32 v6, v1, 20, 11
	s_delay_alu instid0(VALU_DEP_3) | instskip(NEXT) | instid1(VALU_DEP_2)
	v_cmp_ne_u32_e32 vcc_lo, 0, v2
	v_sub_nc_u32_e32 v7, 0x3f1, v6
	v_cndmask_b32_e64 v2, 0, 1, vcc_lo
	s_delay_alu instid0(VALU_DEP_1) | instskip(NEXT) | instid1(VALU_DEP_3)
	v_and_or_b32 v2, 0xffe, v3, v2
	v_med3_i32 v3, v7, 0, 13
	s_delay_alu instid0(VALU_DEP_2) | instskip(NEXT) | instid1(VALU_DEP_1)
	v_or_b32_e32 v7, 0x1000, v2
	v_lshrrev_b32_e32 v8, v3, v7
	s_delay_alu instid0(VALU_DEP_1) | instskip(NEXT) | instid1(VALU_DEP_1)
	v_lshlrev_b32_e32 v3, v3, v8
	v_cmp_ne_u32_e32 vcc_lo, v3, v7
	v_cndmask_b32_e64 v3, 0, 1, vcc_lo
	s_delay_alu instid0(VALU_DEP_1) | instskip(SKIP_1) | instid1(VALU_DEP_1)
	v_or_b32_e32 v3, v8, v3
	v_add_nc_u32_e32 v6, 0xfffffc10, v6
	v_lshl_or_b32 v7, v6, 12, v2
	v_cmp_gt_i32_e32 vcc_lo, 1, v6
	s_delay_alu instid0(VALU_DEP_2) | instskip(NEXT) | instid1(VALU_DEP_1)
	v_cndmask_b32_e32 v3, v7, v3, vcc_lo
	v_dual_lshrrev_b32 v3, 2, v3 :: v_dual_bitop2_b32 v7, 7, v3 bitop3:0x40
	s_delay_alu instid0(VALU_DEP_1) | instskip(SKIP_4) | instid1(VALU_DEP_2)
	v_cmp_lt_i32_e32 vcc_lo, 5, v7
	v_cndmask_b32_e64 v8, 0, 1, vcc_lo
	v_cmp_eq_u32_e32 vcc_lo, 3, v7
	v_cndmask_b32_e64 v7, 0, 1, vcc_lo
	v_cmp_ne_u32_e32 vcc_lo, 0, v2
	v_or_b32_e32 v7, v7, v8
	s_delay_alu instid0(VALU_DEP_1) | instskip(NEXT) | instid1(VALU_DEP_1)
	v_dual_mov_b32 v8, 0x7e00 :: v_dual_add_nc_u32 v3, v3, v7
	v_cndmask_b32_e32 v2, 0x7c00, v8, vcc_lo
	v_cmp_gt_i32_e32 vcc_lo, 31, v6
	v_lshrrev_b32_e32 v7, 16, v1
	s_delay_alu instid0(VALU_DEP_4) | instskip(SKIP_1) | instid1(VALU_DEP_2)
	v_cndmask_b32_e32 v3, 0x7c00, v3, vcc_lo
	v_cmp_eq_u32_e32 vcc_lo, 0x40f, v6
	v_cndmask_b32_e32 v2, v3, v2, vcc_lo
	s_delay_alu instid0(VALU_DEP_4) | instskip(NEXT) | instid1(VALU_DEP_1)
	v_and_b32_e32 v3, 0x8000, v7
	v_bitop3_b32 v2, v3, 0xffff, v2 bitop3:0xc8
	global_store_b32 v[4:5], v2, off
.LBB12_774:
	s_mov_b32 s2, 0
.LBB12_775:
	s_delay_alu instid0(SALU_CYCLE_1)
	s_and_not1_b32 vcc_lo, exec_lo, s2
	s_cbranch_vccnz .LBB12_784
; %bb.776:
	s_cmp_lt_i32 s1, 6
	s_mov_b32 s2, -1
	s_cbranch_scc1 .LBB12_782
; %bb.777:
	s_cmp_gt_i32 s1, 6
	s_cbranch_scc0 .LBB12_779
; %bb.778:
	s_mov_b32 s2, 0
	global_store_b64 v[4:5], v[0:1], off
.LBB12_779:
	s_and_not1_b32 vcc_lo, exec_lo, s2
	s_cbranch_vccnz .LBB12_781
; %bb.780:
	s_wait_xcnt 0x0
	v_cvt_f32_f64_e32 v2, v[0:1]
	global_store_b32 v[4:5], v2, off
.LBB12_781:
	s_mov_b32 s2, 0
.LBB12_782:
	s_delay_alu instid0(SALU_CYCLE_1)
	s_and_not1_b32 vcc_lo, exec_lo, s2
	s_cbranch_vccnz .LBB12_784
; %bb.783:
	s_wait_xcnt 0x0
	v_and_or_b32 v2, 0x1ff, v1, v0
	v_lshrrev_b32_e32 v3, 8, v1
	v_bfe_u32 v6, v1, 20, 11
	s_delay_alu instid0(VALU_DEP_3) | instskip(NEXT) | instid1(VALU_DEP_2)
	v_cmp_ne_u32_e32 vcc_lo, 0, v2
	v_sub_nc_u32_e32 v7, 0x3f1, v6
	v_cndmask_b32_e64 v2, 0, 1, vcc_lo
	s_delay_alu instid0(VALU_DEP_1) | instskip(NEXT) | instid1(VALU_DEP_3)
	v_and_or_b32 v2, 0xffe, v3, v2
	v_med3_i32 v3, v7, 0, 13
	s_delay_alu instid0(VALU_DEP_2) | instskip(NEXT) | instid1(VALU_DEP_1)
	v_or_b32_e32 v7, 0x1000, v2
	v_lshrrev_b32_e32 v8, v3, v7
	s_delay_alu instid0(VALU_DEP_1) | instskip(NEXT) | instid1(VALU_DEP_1)
	v_lshlrev_b32_e32 v3, v3, v8
	v_cmp_ne_u32_e32 vcc_lo, v3, v7
	v_cndmask_b32_e64 v3, 0, 1, vcc_lo
	s_delay_alu instid0(VALU_DEP_1) | instskip(SKIP_1) | instid1(VALU_DEP_1)
	v_or_b32_e32 v3, v8, v3
	v_add_nc_u32_e32 v6, 0xfffffc10, v6
	v_lshl_or_b32 v7, v6, 12, v2
	v_cmp_gt_i32_e32 vcc_lo, 1, v6
	s_delay_alu instid0(VALU_DEP_2) | instskip(NEXT) | instid1(VALU_DEP_1)
	v_cndmask_b32_e32 v3, v7, v3, vcc_lo
	v_dual_lshrrev_b32 v3, 2, v3 :: v_dual_bitop2_b32 v7, 7, v3 bitop3:0x40
	s_delay_alu instid0(VALU_DEP_1) | instskip(SKIP_4) | instid1(VALU_DEP_2)
	v_cmp_lt_i32_e32 vcc_lo, 5, v7
	v_cndmask_b32_e64 v8, 0, 1, vcc_lo
	v_cmp_eq_u32_e32 vcc_lo, 3, v7
	v_cndmask_b32_e64 v7, 0, 1, vcc_lo
	v_cmp_ne_u32_e32 vcc_lo, 0, v2
	v_or_b32_e32 v7, v7, v8
	s_delay_alu instid0(VALU_DEP_1) | instskip(NEXT) | instid1(VALU_DEP_1)
	v_dual_mov_b32 v8, 0x7e00 :: v_dual_add_nc_u32 v3, v3, v7
	v_cndmask_b32_e32 v2, 0x7c00, v8, vcc_lo
	v_cmp_gt_i32_e32 vcc_lo, 31, v6
	s_delay_alu instid0(VALU_DEP_3) | instskip(SKIP_1) | instid1(VALU_DEP_2)
	v_cndmask_b32_e32 v3, 0x7c00, v3, vcc_lo
	v_cmp_eq_u32_e32 vcc_lo, 0x40f, v6
	v_dual_cndmask_b32 v2, v3, v2 :: v_dual_lshrrev_b32 v3, 16, v1
	s_delay_alu instid0(VALU_DEP_1)
	v_and_or_b32 v2, 0x8000, v3, v2
	global_store_b16 v[4:5], v2, off
.LBB12_784:
	s_mov_b32 s2, 0
.LBB12_785:
	s_delay_alu instid0(SALU_CYCLE_1)
	s_and_not1_b32 vcc_lo, exec_lo, s2
	s_cbranch_vccnz .LBB12_801
; %bb.786:
	s_cmp_lt_i32 s1, 2
	s_mov_b32 s2, -1
	s_cbranch_scc1 .LBB12_796
; %bb.787:
	s_cmp_lt_i32 s1, 3
	s_cbranch_scc1 .LBB12_793
; %bb.788:
	s_cmp_gt_i32 s1, 3
	s_cbranch_scc0 .LBB12_790
; %bb.789:
	s_wait_xcnt 0x0
	v_trunc_f64_e32 v[2:3], v[0:1]
	s_mov_b32 s2, 0
	s_delay_alu instid0(VALU_DEP_1) | instskip(NEXT) | instid1(VALU_DEP_1)
	v_ldexp_f64 v[6:7], v[2:3], 0xffffffe0
	v_floor_f64_e32 v[6:7], v[6:7]
	s_delay_alu instid0(VALU_DEP_1) | instskip(SKIP_1) | instid1(VALU_DEP_2)
	v_fmamk_f64 v[2:3], v[6:7], 0xc1f00000, v[2:3]
	v_cvt_i32_f64_e32 v7, v[6:7]
	v_cvt_u32_f64_e32 v6, v[2:3]
	global_store_b64 v[4:5], v[6:7], off
.LBB12_790:
	s_and_not1_b32 vcc_lo, exec_lo, s2
	s_cbranch_vccnz .LBB12_792
; %bb.791:
	s_wait_xcnt 0x0
	v_cvt_i32_f64_e32 v2, v[0:1]
	global_store_b32 v[4:5], v2, off
.LBB12_792:
	s_mov_b32 s2, 0
.LBB12_793:
	s_delay_alu instid0(SALU_CYCLE_1)
	s_and_not1_b32 vcc_lo, exec_lo, s2
	s_cbranch_vccnz .LBB12_795
; %bb.794:
	s_wait_xcnt 0x0
	v_cvt_i32_f64_e32 v2, v[0:1]
	global_store_b16 v[4:5], v2, off
.LBB12_795:
	s_mov_b32 s2, 0
.LBB12_796:
	s_delay_alu instid0(SALU_CYCLE_1)
	s_and_not1_b32 vcc_lo, exec_lo, s2
	s_cbranch_vccnz .LBB12_801
; %bb.797:
	s_cmp_gt_i32 s1, 0
	s_mov_b32 s1, -1
	s_cbranch_scc0 .LBB12_799
; %bb.798:
	s_wait_xcnt 0x0
	v_cvt_i32_f64_e32 v2, v[0:1]
	s_mov_b32 s1, 0
	global_store_b8 v[4:5], v2, off
.LBB12_799:
	s_and_not1_b32 vcc_lo, exec_lo, s1
	s_cbranch_vccnz .LBB12_801
; %bb.800:
	s_wait_xcnt 0x0
	v_trunc_f64_e32 v[0:1], v[0:1]
	s_delay_alu instid0(VALU_DEP_1) | instskip(NEXT) | instid1(VALU_DEP_1)
	v_ldexp_f64 v[2:3], v[0:1], 0xffffffe0
	v_floor_f64_e32 v[2:3], v[2:3]
	s_delay_alu instid0(VALU_DEP_1) | instskip(NEXT) | instid1(VALU_DEP_1)
	v_fmamk_f64 v[0:1], v[2:3], 0xc1f00000, v[0:1]
	v_cvt_u32_f64_e32 v0, v[0:1]
	global_store_b8 v[4:5], v0, off
.LBB12_801:
	s_mov_b32 s3, -1
.LBB12_802:
	s_delay_alu instid0(SALU_CYCLE_1)
	s_and_not1_b32 vcc_lo, exec_lo, s3
	s_cbranch_vccnz .LBB12_804
; %bb.803:
	v_add_nc_u32_e32 v46, 0x80, v46
	s_mov_b32 s1, -1
	s_branch .LBB12_806
.LBB12_804:
	s_mov_b32 s1, 0
.LBB12_805:
                                        ; implicit-def: $vgpr46
.LBB12_806:
	s_and_not1_b32 s2, s58, exec_lo
	s_and_b32 s0, s0, exec_lo
	s_and_not1_b32 s3, s75, exec_lo
	s_or_b32 s78, s2, s0
	s_and_not1_b32 s0, s74, exec_lo
	s_and_b32 s2, s79, exec_lo
	s_and_b32 s4, s77, exec_lo
	s_or_b32 s79, s0, s2
	s_or_b32 s77, s3, s4
	s_or_not1_b32 s4, s1, exec_lo
.LBB12_807:
	s_wait_xcnt 0x0
	s_or_b32 exec_lo, exec_lo, s80
	s_mov_b32 s2, 0
	s_mov_b32 s3, 0
	;; [unrolled: 1-line block ×3, first 2 shown]
                                        ; implicit-def: $sgpr0
                                        ; implicit-def: $vgpr2_vgpr3
                                        ; implicit-def: $vgpr0
                                        ; implicit-def: $vgpr56
                                        ; implicit-def: $vgpr42_vgpr43
	s_and_saveexec_b32 s80, s4
	s_cbranch_execz .LBB12_1311
; %bb.808:
	s_mov_b32 s8, -1
	s_mov_b32 s2, s77
	s_mov_b32 s4, s79
	;; [unrolled: 1-line block ×3, first 2 shown]
	s_mov_b32 s81, exec_lo
	v_cmpx_gt_i32_e64 s72, v46
	s_cbranch_execz .LBB12_1215
; %bb.809:
	s_and_not1_b32 vcc_lo, exec_lo, s65
	s_cbranch_vccnz .LBB12_815
; %bb.810:
	s_and_not1_b32 vcc_lo, exec_lo, s73
	s_cbranch_vccnz .LBB12_816
; %bb.811:
	v_dual_mov_b32 v56, 0 :: v_dual_mov_b32 v1, v46
	v_dual_mov_b32 v2, 0 :: v_dual_mov_b32 v0, 0
	s_add_co_i32 s2, s71, 1
	s_mov_b64 s[0:1], 0xffffffffffffffe8
	s_and_b32 s2, s2, 30
	s_add_nc_u64 s[0:1], s[34:35], s[0:1]
.LBB12_812:                             ; =>This Inner Loop Header: Depth=1
	s_clause 0x1
	s_load_b128 s[4:7], s[0:1], 0x1c
	s_load_b64 s[12:13], s[0:1], 0x2c
	s_add_co_i32 s2, s2, -2
	s_delay_alu instid0(SALU_CYCLE_1) | instskip(SKIP_2) | instid1(VALU_DEP_1)
	s_cmp_eq_u32 s2, 0
	s_wait_kmcnt 0x0
	v_mul_hi_u32 v3, s5, v1
	v_add_nc_u32_e32 v3, v1, v3
	s_delay_alu instid0(VALU_DEP_1) | instskip(NEXT) | instid1(VALU_DEP_1)
	v_lshrrev_b32_e32 v3, s6, v3
	v_mul_hi_u32 v4, s12, v3
	v_mul_lo_u32 v5, v3, s4
	s_clause 0x1
	s_load_b128 s[8:11], s[0:1], 0xdc
	s_load_b64 s[4:5], s[0:1], 0xec
	s_wait_xcnt 0x0
	s_add_nc_u64 s[0:1], s[0:1], 24
	s_delay_alu instid0(VALU_DEP_1) | instskip(NEXT) | instid1(VALU_DEP_1)
	v_dual_add_nc_u32 v4, v3, v4 :: v_dual_sub_nc_u32 v5, v1, v5
	v_lshrrev_b32_e32 v1, s13, v4
	s_wait_kmcnt 0x0
	s_delay_alu instid0(VALU_DEP_2) | instskip(NEXT) | instid1(VALU_DEP_2)
	v_mad_u32 v6, v5, s8, v56
	v_mul_lo_u32 v4, v1, s7
	v_mad_u32 v0, v5, s10, v0
	v_mad_u32 v2, v5, s9, v2
	s_delay_alu instid0(VALU_DEP_3) | instskip(NEXT) | instid1(VALU_DEP_1)
	v_sub_nc_u32_e32 v3, v3, v4
	v_mad_u32 v56, v3, s11, v6
	s_delay_alu instid0(VALU_DEP_4) | instskip(NEXT) | instid1(VALU_DEP_4)
	v_mad_u32 v0, v3, s5, v0
	v_mad_u32 v2, v3, s4, v2
	s_cbranch_scc0 .LBB12_812
; %bb.813:
	s_bitcmp1_b32 s71, 0
	s_cselect_b32 s2, -1, 0
	s_delay_alu instid0(SALU_CYCLE_1)
	s_and_b32 vcc_lo, exec_lo, s2
	s_cbranch_vccnz .LBB12_817
; %bb.814:
	s_clause 0x1
	s_load_b96 s[4:6], s[0:1], 0x1c
	s_load_b96 s[8:10], s[0:1], 0xdc
	s_wait_kmcnt 0x0
	v_mul_hi_u32 v3, s5, v1
	s_delay_alu instid0(VALU_DEP_1) | instskip(NEXT) | instid1(VALU_DEP_1)
	v_add_nc_u32_e32 v3, v1, v3
	v_lshrrev_b32_e32 v3, s6, v3
	s_delay_alu instid0(VALU_DEP_1) | instskip(NEXT) | instid1(VALU_DEP_1)
	v_mul_lo_u32 v3, v3, s4
	v_sub_nc_u32_e32 v1, v1, v3
	s_delay_alu instid0(VALU_DEP_1)
	v_mad_u32 v56, v1, s8, v56
	v_mad_u32 v2, v1, s9, v2
	;; [unrolled: 1-line block ×3, first 2 shown]
	s_branch .LBB12_817
.LBB12_815:
	s_mov_b32 s0, -1
                                        ; implicit-def: $vgpr0
                                        ; implicit-def: $vgpr2
                                        ; implicit-def: $vgpr56
	s_branch .LBB12_818
.LBB12_816:
	v_dual_mov_b32 v0, 0 :: v_dual_mov_b32 v2, 0
	v_mov_b32_e32 v56, 0
.LBB12_817:
	s_mov_b32 s0, 0
.LBB12_818:
	s_delay_alu instid0(SALU_CYCLE_1)
	s_and_not1_b32 vcc_lo, exec_lo, s0
	s_cbranch_vccnz .LBB12_821
; %bb.819:
	v_mov_b32_e32 v47, 0
	s_and_not1_b32 vcc_lo, exec_lo, s70
	s_delay_alu instid0(VALU_DEP_1) | instskip(NEXT) | instid1(VALU_DEP_1)
	v_mul_u64_e32 v[0:1], s[54:55], v[46:47]
	v_add_nc_u32_e32 v0, v46, v1
	s_delay_alu instid0(VALU_DEP_1) | instskip(NEXT) | instid1(VALU_DEP_1)
	v_lshrrev_b32_e32 v4, s46, v0
	v_mul_lo_u32 v0, v4, s44
	s_delay_alu instid0(VALU_DEP_1) | instskip(NEXT) | instid1(VALU_DEP_1)
	v_sub_nc_u32_e32 v1, v46, v0
	v_mul_lo_u32 v56, v1, s48
	v_mul_lo_u32 v0, v1, s50
	v_mul_lo_u32 v2, v1, s49
	s_cbranch_vccnz .LBB12_821
; %bb.820:
	v_mov_b32_e32 v5, v47
	s_delay_alu instid0(VALU_DEP_1) | instskip(NEXT) | instid1(VALU_DEP_1)
	v_mul_u64_e32 v[6:7], s[60:61], v[4:5]
	v_add_nc_u32_e32 v1, v4, v7
	s_delay_alu instid0(VALU_DEP_1) | instskip(NEXT) | instid1(VALU_DEP_1)
	v_lshrrev_b32_e32 v1, s59, v1
	v_mul_lo_u32 v1, v1, s47
	s_delay_alu instid0(VALU_DEP_1) | instskip(NEXT) | instid1(VALU_DEP_1)
	v_sub_nc_u32_e32 v1, v4, v1
	v_mad_u32 v56, v1, s51, v56
	v_mad_u32 v2, v1, s56, v2
	;; [unrolled: 1-line block ×3, first 2 shown]
.LBB12_821:
	v_mov_b32_e32 v3, 0
	s_and_b32 s0, s69, 0xff
	s_delay_alu instid0(SALU_CYCLE_1) | instskip(NEXT) | instid1(VALU_DEP_1)
	s_cmp_lt_i32 s0, 11
	v_add_nc_u64_e32 v[2:3], s[38:39], v[2:3]
	s_cbranch_scc1 .LBB12_828
; %bb.822:
	s_and_b32 s1, 0xffff, s0
	s_delay_alu instid0(SALU_CYCLE_1)
	s_cmp_gt_i32 s1, 25
	s_cbranch_scc0 .LBB12_829
; %bb.823:
	s_cmp_gt_i32 s1, 28
	s_cbranch_scc0 .LBB12_830
; %bb.824:
	s_cmp_gt_i32 s1, 43
	s_cbranch_scc0 .LBB12_831
; %bb.825:
	s_cmp_gt_i32 s1, 45
	s_cbranch_scc0 .LBB12_832
; %bb.826:
	s_cmp_eq_u32 s1, 46
	s_mov_b32 s3, 0
	s_cbranch_scc0 .LBB12_835
; %bb.827:
	global_load_b32 v1, v[2:3], off
	s_mov_b32 s2, -1
	s_mov_b32 s82, 0
	s_wait_loadcnt 0x0
	v_lshlrev_b32_e32 v1, 16, v1
	s_delay_alu instid0(VALU_DEP_1)
	v_cvt_f64_f32_e32 v[42:43], v1
	s_branch .LBB12_837
.LBB12_828:
	s_mov_b32 s1, -1
	s_mov_b32 s2, 0
	s_mov_b32 s82, s77
                                        ; implicit-def: $vgpr42_vgpr43
	s_branch .LBB12_902
.LBB12_829:
	s_mov_b32 s3, -1
	s_mov_b32 s2, 0
	s_mov_b32 s82, s77
                                        ; implicit-def: $vgpr42_vgpr43
	s_branch .LBB12_866
.LBB12_830:
	s_mov_b32 s3, -1
	s_mov_b32 s2, 0
	s_mov_b32 s82, s77
                                        ; implicit-def: $vgpr42_vgpr43
	s_branch .LBB12_847
.LBB12_831:
	s_mov_b32 s3, -1
	s_mov_b32 s2, 0
	s_mov_b32 s82, s77
                                        ; implicit-def: $vgpr42_vgpr43
	s_branch .LBB12_842
.LBB12_832:
	s_mov_b32 s3, -1
	s_mov_b32 s2, 0
	s_mov_b32 s82, s77
	s_branch .LBB12_836
.LBB12_833:
	s_and_not1_saveexec_b32 s5, s5
	s_cbranch_execz .LBB12_715
.LBB12_834:
	v_add_f32_e64 v3, 0x46000000, |v2|
	s_and_not1_b32 s4, s4, exec_lo
	s_delay_alu instid0(VALU_DEP_1) | instskip(NEXT) | instid1(VALU_DEP_1)
	v_and_b32_e32 v3, 0xff, v3
	v_cmp_ne_u32_e32 vcc_lo, 0, v3
	s_and_b32 s6, vcc_lo, exec_lo
	s_delay_alu instid0(SALU_CYCLE_1)
	s_or_b32 s4, s4, s6
	s_or_b32 exec_lo, exec_lo, s5
	v_mov_b32_e32 v6, 0
	s_and_saveexec_b32 s5, s4
	s_cbranch_execnz .LBB12_716
	s_branch .LBB12_717
.LBB12_835:
	s_mov_b32 s82, -1
	s_mov_b32 s2, 0
.LBB12_836:
                                        ; implicit-def: $vgpr42_vgpr43
.LBB12_837:
	s_and_b32 vcc_lo, exec_lo, s3
	s_cbranch_vccz .LBB12_841
; %bb.838:
	s_cmp_eq_u32 s1, 44
	s_cbranch_scc0 .LBB12_840
; %bb.839:
	global_load_u8 v1, v[2:3], off
	s_mov_b32 s82, 0
	s_mov_b32 s2, -1
	s_wait_loadcnt 0x0
	v_lshlrev_b32_e32 v4, 23, v1
	v_cmp_ne_u32_e32 vcc_lo, 0xff, v1
	s_delay_alu instid0(VALU_DEP_2) | instskip(NEXT) | instid1(VALU_DEP_1)
	v_cvt_f64_f32_e32 v[4:5], v4
	v_cndmask_b32_e32 v4, 0x20000000, v4, vcc_lo
	s_delay_alu instid0(VALU_DEP_2) | instskip(SKIP_1) | instid1(VALU_DEP_2)
	v_cndmask_b32_e32 v5, 0x7ff80000, v5, vcc_lo
	v_cmp_ne_u32_e32 vcc_lo, 0, v1
	v_cndmask_b32_e32 v43, 0x38000000, v5, vcc_lo
	s_delay_alu instid0(VALU_DEP_4)
	v_cndmask_b32_e32 v42, 0, v4, vcc_lo
	s_branch .LBB12_841
.LBB12_840:
	s_mov_b32 s82, -1
                                        ; implicit-def: $vgpr42_vgpr43
.LBB12_841:
	s_mov_b32 s3, 0
.LBB12_842:
	s_delay_alu instid0(SALU_CYCLE_1)
	s_and_b32 vcc_lo, exec_lo, s3
	s_cbranch_vccz .LBB12_846
; %bb.843:
	s_cmp_eq_u32 s1, 29
	s_cbranch_scc0 .LBB12_845
; %bb.844:
	global_load_b64 v[4:5], v[2:3], off
	s_mov_b32 s2, -1
	s_mov_b32 s82, 0
	s_mov_b32 s3, 0
	s_wait_loadcnt 0x0
	v_cvt_f64_u32_e32 v[6:7], v5
	v_cvt_f64_u32_e32 v[4:5], v4
	s_delay_alu instid0(VALU_DEP_2) | instskip(NEXT) | instid1(VALU_DEP_1)
	v_ldexp_f64 v[6:7], v[6:7], 32
	v_add_f64_e32 v[42:43], v[6:7], v[4:5]
	s_branch .LBB12_847
.LBB12_845:
	s_mov_b32 s82, -1
                                        ; implicit-def: $vgpr42_vgpr43
.LBB12_846:
	s_mov_b32 s3, 0
.LBB12_847:
	s_delay_alu instid0(SALU_CYCLE_1)
	s_and_b32 vcc_lo, exec_lo, s3
	s_cbranch_vccz .LBB12_865
; %bb.848:
	s_cmp_lt_i32 s1, 27
	s_cbranch_scc1 .LBB12_851
; %bb.849:
	s_cmp_gt_i32 s1, 27
	s_cbranch_scc0 .LBB12_852
; %bb.850:
	global_load_b32 v1, v[2:3], off
	s_mov_b32 s2, 0
	s_wait_loadcnt 0x0
	v_cvt_f64_u32_e32 v[42:43], v1
	s_branch .LBB12_853
.LBB12_851:
	s_mov_b32 s2, -1
                                        ; implicit-def: $vgpr42_vgpr43
	s_branch .LBB12_856
.LBB12_852:
	s_mov_b32 s2, -1
                                        ; implicit-def: $vgpr42_vgpr43
.LBB12_853:
	s_delay_alu instid0(SALU_CYCLE_1)
	s_and_not1_b32 vcc_lo, exec_lo, s2
	s_cbranch_vccnz .LBB12_855
; %bb.854:
	global_load_u16 v1, v[2:3], off
	s_wait_loadcnt 0x0
	v_cvt_f64_u32_e32 v[42:43], v1
.LBB12_855:
	s_mov_b32 s2, 0
.LBB12_856:
	s_delay_alu instid0(SALU_CYCLE_1)
	s_and_not1_b32 vcc_lo, exec_lo, s2
	s_cbranch_vccnz .LBB12_864
; %bb.857:
	global_load_u8 v1, v[2:3], off
	s_mov_b32 s2, 0
	s_mov_b32 s3, exec_lo
	s_wait_loadcnt 0x0
	v_cmpx_lt_i16_e32 0x7f, v1
	s_xor_b32 s3, exec_lo, s3
	s_cbranch_execz .LBB12_878
; %bb.858:
	s_mov_b32 s2, -1
	s_mov_b32 s4, exec_lo
	v_cmpx_eq_u16_e32 0x80, v1
; %bb.859:
	s_xor_b32 s2, exec_lo, -1
; %bb.860:
	s_or_b32 exec_lo, exec_lo, s4
	s_delay_alu instid0(SALU_CYCLE_1)
	s_and_b32 s2, s2, exec_lo
	s_or_saveexec_b32 s3, s3
	v_mov_b64_e32 v[42:43], 0x7ff8000020000000
	s_xor_b32 exec_lo, exec_lo, s3
	s_cbranch_execnz .LBB12_879
.LBB12_861:
	s_or_b32 exec_lo, exec_lo, s3
	s_and_saveexec_b32 s3, s2
	s_cbranch_execz .LBB12_863
.LBB12_862:
	v_and_b32_e32 v4, 0xffff, v1
	s_delay_alu instid0(VALU_DEP_1) | instskip(SKIP_1) | instid1(VALU_DEP_2)
	v_and_b32_e32 v5, 7, v4
	v_bfe_u32 v8, v4, 3, 4
	v_clz_i32_u32_e32 v6, v5
	s_delay_alu instid0(VALU_DEP_2) | instskip(NEXT) | instid1(VALU_DEP_2)
	v_cmp_eq_u32_e32 vcc_lo, 0, v8
	v_min_u32_e32 v6, 32, v6
	s_delay_alu instid0(VALU_DEP_1) | instskip(NEXT) | instid1(VALU_DEP_1)
	v_subrev_nc_u32_e32 v7, 28, v6
	v_dual_lshlrev_b32 v4, v7, v4 :: v_dual_sub_nc_u32 v6, 29, v6
	s_delay_alu instid0(VALU_DEP_1) | instskip(NEXT) | instid1(VALU_DEP_1)
	v_dual_lshlrev_b32 v1, 24, v1 :: v_dual_bitop2_b32 v4, 7, v4 bitop3:0x40
	v_dual_cndmask_b32 v6, v8, v6, vcc_lo :: v_dual_cndmask_b32 v4, v5, v4, vcc_lo
	s_delay_alu instid0(VALU_DEP_2) | instskip(NEXT) | instid1(VALU_DEP_2)
	v_and_b32_e32 v1, 0x80000000, v1
	v_lshl_add_u32 v5, v6, 23, 0x3b800000
	s_delay_alu instid0(VALU_DEP_3) | instskip(NEXT) | instid1(VALU_DEP_1)
	v_lshlrev_b32_e32 v4, 20, v4
	v_or3_b32 v1, v1, v5, v4
	s_delay_alu instid0(VALU_DEP_1)
	v_cvt_f64_f32_e32 v[42:43], v1
.LBB12_863:
	s_or_b32 exec_lo, exec_lo, s3
.LBB12_864:
	s_mov_b32 s2, -1
.LBB12_865:
	s_mov_b32 s3, 0
.LBB12_866:
	s_delay_alu instid0(SALU_CYCLE_1)
	s_and_b32 vcc_lo, exec_lo, s3
	s_cbranch_vccz .LBB12_901
; %bb.867:
	s_cmp_gt_i32 s1, 22
	s_cbranch_scc0 .LBB12_877
; %bb.868:
	s_cmp_lt_i32 s1, 24
	s_cbranch_scc1 .LBB12_880
; %bb.869:
	s_cmp_gt_i32 s1, 24
	s_cbranch_scc0 .LBB12_881
; %bb.870:
	global_load_u8 v1, v[2:3], off
	s_mov_b32 s2, 0
	s_mov_b32 s3, exec_lo
	s_wait_loadcnt 0x0
	v_cmpx_lt_i16_e32 0x7f, v1
	s_xor_b32 s3, exec_lo, s3
	s_cbranch_execz .LBB12_893
; %bb.871:
	s_mov_b32 s2, -1
	s_mov_b32 s4, exec_lo
	v_cmpx_eq_u16_e32 0x80, v1
; %bb.872:
	s_xor_b32 s2, exec_lo, -1
; %bb.873:
	s_or_b32 exec_lo, exec_lo, s4
	s_delay_alu instid0(SALU_CYCLE_1)
	s_and_b32 s2, s2, exec_lo
	s_or_saveexec_b32 s3, s3
	v_mov_b64_e32 v[42:43], 0x7ff8000020000000
	s_xor_b32 exec_lo, exec_lo, s3
	s_cbranch_execnz .LBB12_894
.LBB12_874:
	s_or_b32 exec_lo, exec_lo, s3
	s_and_saveexec_b32 s3, s2
	s_cbranch_execz .LBB12_876
.LBB12_875:
	v_and_b32_e32 v4, 0xffff, v1
	s_delay_alu instid0(VALU_DEP_1) | instskip(SKIP_1) | instid1(VALU_DEP_2)
	v_and_b32_e32 v5, 3, v4
	v_bfe_u32 v8, v4, 2, 5
	v_clz_i32_u32_e32 v6, v5
	s_delay_alu instid0(VALU_DEP_2) | instskip(NEXT) | instid1(VALU_DEP_2)
	v_cmp_eq_u32_e32 vcc_lo, 0, v8
	v_min_u32_e32 v6, 32, v6
	s_delay_alu instid0(VALU_DEP_1) | instskip(NEXT) | instid1(VALU_DEP_1)
	v_subrev_nc_u32_e32 v7, 29, v6
	v_dual_lshlrev_b32 v4, v7, v4 :: v_dual_sub_nc_u32 v6, 30, v6
	s_delay_alu instid0(VALU_DEP_1) | instskip(NEXT) | instid1(VALU_DEP_1)
	v_dual_lshlrev_b32 v1, 24, v1 :: v_dual_bitop2_b32 v4, 3, v4 bitop3:0x40
	v_dual_cndmask_b32 v6, v8, v6, vcc_lo :: v_dual_cndmask_b32 v4, v5, v4, vcc_lo
	s_delay_alu instid0(VALU_DEP_2) | instskip(NEXT) | instid1(VALU_DEP_2)
	v_and_b32_e32 v1, 0x80000000, v1
	v_lshl_add_u32 v5, v6, 23, 0x37800000
	s_delay_alu instid0(VALU_DEP_3) | instskip(NEXT) | instid1(VALU_DEP_1)
	v_lshlrev_b32_e32 v4, 21, v4
	v_or3_b32 v1, v1, v5, v4
	s_delay_alu instid0(VALU_DEP_1)
	v_cvt_f64_f32_e32 v[42:43], v1
.LBB12_876:
	s_or_b32 exec_lo, exec_lo, s3
	s_mov_b32 s2, 0
	s_branch .LBB12_882
.LBB12_877:
	s_mov_b32 s3, -1
                                        ; implicit-def: $vgpr42_vgpr43
	s_branch .LBB12_888
.LBB12_878:
	s_or_saveexec_b32 s3, s3
	v_mov_b64_e32 v[42:43], 0x7ff8000020000000
	s_xor_b32 exec_lo, exec_lo, s3
	s_cbranch_execz .LBB12_861
.LBB12_879:
	v_cmp_ne_u16_e32 vcc_lo, 0, v1
	v_mov_b64_e32 v[42:43], 0
	s_and_not1_b32 s2, s2, exec_lo
	s_and_b32 s4, vcc_lo, exec_lo
	s_delay_alu instid0(SALU_CYCLE_1)
	s_or_b32 s2, s2, s4
	s_or_b32 exec_lo, exec_lo, s3
	s_and_saveexec_b32 s3, s2
	s_cbranch_execnz .LBB12_862
	s_branch .LBB12_863
.LBB12_880:
	s_mov_b32 s2, -1
                                        ; implicit-def: $vgpr42_vgpr43
	s_branch .LBB12_885
.LBB12_881:
	s_mov_b32 s2, -1
                                        ; implicit-def: $vgpr42_vgpr43
.LBB12_882:
	s_delay_alu instid0(SALU_CYCLE_1)
	s_and_b32 vcc_lo, exec_lo, s2
	s_cbranch_vccz .LBB12_884
; %bb.883:
	global_load_u8 v1, v[2:3], off
	s_wait_loadcnt 0x0
	v_lshlrev_b32_e32 v1, 24, v1
	s_delay_alu instid0(VALU_DEP_1) | instskip(NEXT) | instid1(VALU_DEP_1)
	v_and_b32_e32 v4, 0x7f000000, v1
	v_clz_i32_u32_e32 v5, v4
	v_cmp_ne_u32_e32 vcc_lo, 0, v4
	v_add_nc_u32_e32 v7, 0x1000000, v4
	s_delay_alu instid0(VALU_DEP_3) | instskip(NEXT) | instid1(VALU_DEP_1)
	v_min_u32_e32 v5, 32, v5
	v_sub_nc_u32_e64 v5, v5, 4 clamp
	s_delay_alu instid0(VALU_DEP_1) | instskip(NEXT) | instid1(VALU_DEP_1)
	v_dual_lshlrev_b32 v6, v5, v4 :: v_dual_lshlrev_b32 v5, 23, v5
	v_lshrrev_b32_e32 v6, 4, v6
	s_delay_alu instid0(VALU_DEP_1) | instskip(NEXT) | instid1(VALU_DEP_1)
	v_dual_sub_nc_u32 v5, v6, v5 :: v_dual_ashrrev_i32 v6, 8, v7
	v_add_nc_u32_e32 v5, 0x3c000000, v5
	s_delay_alu instid0(VALU_DEP_1) | instskip(NEXT) | instid1(VALU_DEP_1)
	v_and_or_b32 v5, 0x7f800000, v6, v5
	v_cndmask_b32_e32 v4, 0, v5, vcc_lo
	s_delay_alu instid0(VALU_DEP_1) | instskip(NEXT) | instid1(VALU_DEP_1)
	v_and_or_b32 v1, 0x80000000, v1, v4
	v_cvt_f64_f32_e32 v[42:43], v1
.LBB12_884:
	s_mov_b32 s2, 0
.LBB12_885:
	s_delay_alu instid0(SALU_CYCLE_1)
	s_and_not1_b32 vcc_lo, exec_lo, s2
	s_cbranch_vccnz .LBB12_887
; %bb.886:
	global_load_u8 v1, v[2:3], off
	s_wait_loadcnt 0x0
	v_lshlrev_b32_e32 v4, 25, v1
	v_lshlrev_b16 v1, 8, v1
	s_delay_alu instid0(VALU_DEP_1) | instskip(SKIP_1) | instid1(VALU_DEP_2)
	v_and_or_b32 v6, 0x7f00, v1, 0.5
	v_bfe_i32 v1, v1, 0, 16
	v_dual_add_f32 v6, -0.5, v6 :: v_dual_lshrrev_b32 v5, 4, v4
	v_cmp_gt_u32_e32 vcc_lo, 0x8000000, v4
	s_delay_alu instid0(VALU_DEP_2) | instskip(NEXT) | instid1(VALU_DEP_1)
	v_or_b32_e32 v5, 0x70000000, v5
	v_mul_f32_e32 v5, 0x7800000, v5
	s_delay_alu instid0(VALU_DEP_1) | instskip(NEXT) | instid1(VALU_DEP_1)
	v_cndmask_b32_e32 v4, v5, v6, vcc_lo
	v_and_or_b32 v1, 0x80000000, v1, v4
	s_delay_alu instid0(VALU_DEP_1)
	v_cvt_f64_f32_e32 v[42:43], v1
.LBB12_887:
	s_mov_b32 s3, 0
	s_mov_b32 s2, -1
.LBB12_888:
	s_and_not1_b32 vcc_lo, exec_lo, s3
	s_cbranch_vccnz .LBB12_901
; %bb.889:
	s_cmp_gt_i32 s1, 14
	s_cbranch_scc0 .LBB12_892
; %bb.890:
	s_cmp_eq_u32 s1, 15
	s_cbranch_scc0 .LBB12_895
; %bb.891:
	global_load_u16 v1, v[2:3], off
	s_mov_b32 s2, -1
	s_mov_b32 s82, 0
	s_wait_loadcnt 0x0
	v_lshlrev_b32_e32 v1, 16, v1
	s_delay_alu instid0(VALU_DEP_1)
	v_cvt_f64_f32_e32 v[42:43], v1
	s_branch .LBB12_896
.LBB12_892:
	s_mov_b32 s3, -1
                                        ; implicit-def: $vgpr42_vgpr43
	s_branch .LBB12_897
.LBB12_893:
	s_or_saveexec_b32 s3, s3
	v_mov_b64_e32 v[42:43], 0x7ff8000020000000
	s_xor_b32 exec_lo, exec_lo, s3
	s_cbranch_execz .LBB12_874
.LBB12_894:
	v_cmp_ne_u16_e32 vcc_lo, 0, v1
	v_mov_b64_e32 v[42:43], 0
	s_and_not1_b32 s2, s2, exec_lo
	s_and_b32 s4, vcc_lo, exec_lo
	s_delay_alu instid0(SALU_CYCLE_1)
	s_or_b32 s2, s2, s4
	s_or_b32 exec_lo, exec_lo, s3
	s_and_saveexec_b32 s3, s2
	s_cbranch_execnz .LBB12_875
	s_branch .LBB12_876
.LBB12_895:
	s_mov_b32 s82, -1
                                        ; implicit-def: $vgpr42_vgpr43
.LBB12_896:
	s_mov_b32 s3, 0
.LBB12_897:
	s_delay_alu instid0(SALU_CYCLE_1)
	s_and_b32 vcc_lo, exec_lo, s3
	s_cbranch_vccz .LBB12_901
; %bb.898:
	s_cmp_eq_u32 s1, 11
	s_cbranch_scc0 .LBB12_900
; %bb.899:
	global_load_u8 v1, v[2:3], off
	s_wait_loadcnt 0x1
	v_mov_b32_e32 v42, 0
	s_mov_b32 s82, 0
	s_mov_b32 s2, -1
	s_wait_loadcnt 0x0
	v_cmp_ne_u16_e32 vcc_lo, 0, v1
	v_cndmask_b32_e64 v43, 0, 0x3ff00000, vcc_lo
	s_branch .LBB12_901
.LBB12_900:
	s_mov_b32 s82, -1
                                        ; implicit-def: $vgpr42_vgpr43
.LBB12_901:
	s_mov_b32 s1, 0
.LBB12_902:
	s_delay_alu instid0(SALU_CYCLE_1)
	s_and_b32 vcc_lo, exec_lo, s1
	s_cbranch_vccz .LBB12_951
; %bb.903:
	s_and_b32 s0, 0xffff, s0
	s_delay_alu instid0(SALU_CYCLE_1)
	s_cmp_lt_i32 s0, 5
	s_cbranch_scc1 .LBB12_908
; %bb.904:
	s_cmp_lt_i32 s0, 8
	s_cbranch_scc1 .LBB12_909
; %bb.905:
	;; [unrolled: 3-line block ×3, first 2 shown]
	s_cmp_gt_i32 s0, 9
	s_cbranch_scc0 .LBB12_911
; %bb.907:
	s_wait_loadcnt 0x0
	global_load_b64 v[42:43], v[2:3], off
	s_mov_b32 s1, 0
	s_branch .LBB12_912
.LBB12_908:
	s_mov_b32 s1, -1
                                        ; implicit-def: $vgpr42_vgpr43
	s_branch .LBB12_930
.LBB12_909:
	s_mov_b32 s1, -1
                                        ; implicit-def: $vgpr42_vgpr43
	s_branch .LBB12_918
.LBB12_910:
	s_mov_b32 s1, -1
                                        ; implicit-def: $vgpr42_vgpr43
	s_branch .LBB12_915
.LBB12_911:
	s_mov_b32 s1, -1
                                        ; implicit-def: $vgpr42_vgpr43
.LBB12_912:
	s_delay_alu instid0(SALU_CYCLE_1)
	s_and_not1_b32 vcc_lo, exec_lo, s1
	s_cbranch_vccnz .LBB12_914
; %bb.913:
	global_load_b32 v1, v[2:3], off
	s_wait_loadcnt 0x0
	v_cvt_f64_f32_e32 v[42:43], v1
.LBB12_914:
	s_mov_b32 s1, 0
.LBB12_915:
	s_delay_alu instid0(SALU_CYCLE_1)
	s_and_not1_b32 vcc_lo, exec_lo, s1
	s_cbranch_vccnz .LBB12_917
; %bb.916:
	global_load_b32 v1, v[2:3], off
	s_wait_loadcnt 0x0
	v_cvt_f32_f16_e32 v1, v1
	s_delay_alu instid0(VALU_DEP_1)
	v_cvt_f64_f32_e32 v[42:43], v1
.LBB12_917:
	s_mov_b32 s1, 0
.LBB12_918:
	s_delay_alu instid0(SALU_CYCLE_1)
	s_and_not1_b32 vcc_lo, exec_lo, s1
	s_cbranch_vccnz .LBB12_929
; %bb.919:
	s_cmp_lt_i32 s0, 6
	s_cbranch_scc1 .LBB12_922
; %bb.920:
	s_cmp_gt_i32 s0, 6
	s_cbranch_scc0 .LBB12_923
; %bb.921:
	s_wait_loadcnt 0x0
	global_load_b64 v[42:43], v[2:3], off
	s_mov_b32 s1, 0
	s_branch .LBB12_924
.LBB12_922:
	s_mov_b32 s1, -1
                                        ; implicit-def: $vgpr42_vgpr43
	s_branch .LBB12_927
.LBB12_923:
	s_mov_b32 s1, -1
                                        ; implicit-def: $vgpr42_vgpr43
.LBB12_924:
	s_delay_alu instid0(SALU_CYCLE_1)
	s_and_not1_b32 vcc_lo, exec_lo, s1
	s_cbranch_vccnz .LBB12_926
; %bb.925:
	global_load_b32 v1, v[2:3], off
	s_wait_loadcnt 0x0
	v_cvt_f64_f32_e32 v[42:43], v1
.LBB12_926:
	s_mov_b32 s1, 0
.LBB12_927:
	s_delay_alu instid0(SALU_CYCLE_1)
	s_and_not1_b32 vcc_lo, exec_lo, s1
	s_cbranch_vccnz .LBB12_929
; %bb.928:
	global_load_u16 v1, v[2:3], off
	s_wait_loadcnt 0x0
	v_cvt_f32_f16_e32 v1, v1
	s_delay_alu instid0(VALU_DEP_1)
	v_cvt_f64_f32_e32 v[42:43], v1
.LBB12_929:
	s_mov_b32 s1, 0
.LBB12_930:
	s_delay_alu instid0(SALU_CYCLE_1)
	s_and_not1_b32 vcc_lo, exec_lo, s1
	s_cbranch_vccnz .LBB12_950
; %bb.931:
	s_cmp_lt_i32 s0, 2
	s_cbranch_scc1 .LBB12_935
; %bb.932:
	s_cmp_lt_i32 s0, 3
	s_cbranch_scc1 .LBB12_936
; %bb.933:
	s_cmp_gt_i32 s0, 3
	s_cbranch_scc0 .LBB12_937
; %bb.934:
	global_load_b64 v[4:5], v[2:3], off
	s_mov_b32 s1, 0
	s_wait_loadcnt 0x0
	v_cvt_f64_i32_e32 v[6:7], v5
	v_cvt_f64_u32_e32 v[4:5], v4
	s_delay_alu instid0(VALU_DEP_2) | instskip(NEXT) | instid1(VALU_DEP_1)
	v_ldexp_f64 v[6:7], v[6:7], 32
	v_add_f64_e32 v[42:43], v[6:7], v[4:5]
	s_branch .LBB12_938
.LBB12_935:
	s_mov_b32 s1, -1
                                        ; implicit-def: $vgpr42_vgpr43
	s_branch .LBB12_944
.LBB12_936:
	s_mov_b32 s1, -1
                                        ; implicit-def: $vgpr42_vgpr43
	s_branch .LBB12_941
.LBB12_937:
	s_mov_b32 s1, -1
                                        ; implicit-def: $vgpr42_vgpr43
.LBB12_938:
	s_delay_alu instid0(SALU_CYCLE_1)
	s_and_not1_b32 vcc_lo, exec_lo, s1
	s_cbranch_vccnz .LBB12_940
; %bb.939:
	global_load_b32 v1, v[2:3], off
	s_wait_loadcnt 0x0
	v_cvt_f64_i32_e32 v[42:43], v1
.LBB12_940:
	s_mov_b32 s1, 0
.LBB12_941:
	s_delay_alu instid0(SALU_CYCLE_1)
	s_and_not1_b32 vcc_lo, exec_lo, s1
	s_cbranch_vccnz .LBB12_943
; %bb.942:
	global_load_i16 v1, v[2:3], off
	s_wait_loadcnt 0x0
	v_cvt_f64_i32_e32 v[42:43], v1
.LBB12_943:
	s_mov_b32 s1, 0
.LBB12_944:
	s_delay_alu instid0(SALU_CYCLE_1)
	s_and_not1_b32 vcc_lo, exec_lo, s1
	s_cbranch_vccnz .LBB12_950
; %bb.945:
	s_cmp_gt_i32 s0, 0
	s_mov_b32 s0, 0
	s_cbranch_scc0 .LBB12_947
; %bb.946:
	global_load_i8 v1, v[2:3], off
	s_wait_loadcnt 0x0
	v_cvt_f64_i32_e32 v[42:43], v1
	s_branch .LBB12_948
.LBB12_947:
	s_mov_b32 s0, -1
                                        ; implicit-def: $vgpr42_vgpr43
.LBB12_948:
	s_delay_alu instid0(SALU_CYCLE_1)
	s_and_not1_b32 vcc_lo, exec_lo, s0
	s_cbranch_vccnz .LBB12_950
; %bb.949:
	global_load_u8 v1, v[2:3], off
	s_wait_loadcnt 0x0
	v_cvt_f64_u32_e32 v[42:43], v1
.LBB12_950:
	s_mov_b32 s2, -1
.LBB12_951:
	s_delay_alu instid0(SALU_CYCLE_1)
	s_and_not1_b32 vcc_lo, exec_lo, s2
	s_cbranch_vccnz .LBB12_959
; %bb.952:
	v_mov_b32_e32 v1, 0
	s_and_b32 s0, 0xffff, s68
	s_delay_alu instid0(SALU_CYCLE_1) | instskip(NEXT) | instid1(VALU_DEP_1)
	s_cmp_lt_i32 s0, 11
	v_add_nc_u64_e32 v[0:1], s[52:53], v[0:1]
	s_cbranch_scc1 .LBB12_960
; %bb.953:
	s_cmp_gt_i32 s0, 25
	s_cbranch_scc0 .LBB12_961
; %bb.954:
	s_cmp_gt_i32 s0, 28
	s_cbranch_scc0 .LBB12_962
	;; [unrolled: 3-line block ×4, first 2 shown]
; %bb.957:
	s_cmp_eq_u32 s0, 46
	s_mov_b32 s2, 0
	s_cbranch_scc0 .LBB12_967
; %bb.958:
	global_load_b32 v2, v[0:1], off
	s_mov_b32 s1, -1
	s_mov_b32 s83, 0
	s_wait_loadcnt 0x0
	v_lshlrev_b32_e32 v2, 16, v2
	s_delay_alu instid0(VALU_DEP_1)
	v_cvt_f64_f32_e32 v[44:45], v2
	s_branch .LBB12_969
.LBB12_959:
	s_mov_b32 s1, 0
	s_mov_b32 s0, s78
	;; [unrolled: 1-line block ×3, first 2 shown]
	s_branch .LBB12_1213
.LBB12_960:
	s_mov_b32 s2, -1
	s_mov_b32 s1, 0
	s_mov_b32 s83, s79
                                        ; implicit-def: $vgpr44_vgpr45
	s_branch .LBB12_1034
.LBB12_961:
	s_mov_b32 s2, -1
	s_mov_b32 s1, 0
	s_mov_b32 s83, s79
                                        ; implicit-def: $vgpr44_vgpr45
	s_branch .LBB12_998
.LBB12_962:
	s_mov_b32 s2, -1
	s_mov_b32 s1, 0
	s_mov_b32 s83, s79
                                        ; implicit-def: $vgpr44_vgpr45
	s_branch .LBB12_979
.LBB12_963:
	s_mov_b32 s2, -1
	s_mov_b32 s1, 0
	s_mov_b32 s83, s79
                                        ; implicit-def: $vgpr44_vgpr45
	s_branch .LBB12_974
.LBB12_964:
	s_mov_b32 s2, -1
	s_mov_b32 s1, 0
	s_mov_b32 s83, s79
	s_branch .LBB12_968
.LBB12_965:
	s_and_not1_saveexec_b32 s5, s5
	s_cbranch_execz .LBB12_728
.LBB12_966:
	v_add_f32_e64 v3, 0x42800000, |v2|
	s_and_not1_b32 s4, s4, exec_lo
	s_delay_alu instid0(VALU_DEP_1) | instskip(NEXT) | instid1(VALU_DEP_1)
	v_and_b32_e32 v3, 0xff, v3
	v_cmp_ne_u32_e32 vcc_lo, 0, v3
	s_and_b32 s6, vcc_lo, exec_lo
	s_delay_alu instid0(SALU_CYCLE_1)
	s_or_b32 s4, s4, s6
	s_or_b32 exec_lo, exec_lo, s5
	v_mov_b32_e32 v6, 0
	s_and_saveexec_b32 s5, s4
	s_cbranch_execnz .LBB12_729
	s_branch .LBB12_730
.LBB12_967:
	s_mov_b32 s83, -1
	s_mov_b32 s1, 0
.LBB12_968:
                                        ; implicit-def: $vgpr44_vgpr45
.LBB12_969:
	s_and_b32 vcc_lo, exec_lo, s2
	s_cbranch_vccz .LBB12_973
; %bb.970:
	s_cmp_eq_u32 s0, 44
	s_cbranch_scc0 .LBB12_972
; %bb.971:
	global_load_u8 v4, v[0:1], off
	s_mov_b32 s83, 0
	s_mov_b32 s1, -1
	s_wait_loadcnt 0x0
	v_cmp_ne_u32_e32 vcc_lo, 0xff, v4
	s_wait_xcnt 0x1
	v_lshlrev_b32_e32 v2, 23, v4
	s_delay_alu instid0(VALU_DEP_1) | instskip(NEXT) | instid1(VALU_DEP_1)
	v_cvt_f64_f32_e32 v[2:3], v2
	v_cndmask_b32_e32 v2, 0x20000000, v2, vcc_lo
	s_delay_alu instid0(VALU_DEP_2) | instskip(SKIP_1) | instid1(VALU_DEP_2)
	v_cndmask_b32_e32 v3, 0x7ff80000, v3, vcc_lo
	v_cmp_ne_u32_e32 vcc_lo, 0, v4
	v_cndmask_b32_e32 v45, 0x38000000, v3, vcc_lo
	s_delay_alu instid0(VALU_DEP_4)
	v_cndmask_b32_e32 v44, 0, v2, vcc_lo
	s_branch .LBB12_973
.LBB12_972:
	s_mov_b32 s83, -1
                                        ; implicit-def: $vgpr44_vgpr45
.LBB12_973:
	s_mov_b32 s2, 0
.LBB12_974:
	s_delay_alu instid0(SALU_CYCLE_1)
	s_and_b32 vcc_lo, exec_lo, s2
	s_cbranch_vccz .LBB12_978
; %bb.975:
	s_cmp_eq_u32 s0, 29
	s_cbranch_scc0 .LBB12_977
; %bb.976:
	global_load_b64 v[2:3], v[0:1], off
	s_mov_b32 s1, -1
	s_mov_b32 s83, 0
	s_mov_b32 s2, 0
	s_wait_loadcnt 0x0
	v_cvt_f64_u32_e32 v[4:5], v3
	v_cvt_f64_u32_e32 v[2:3], v2
	s_delay_alu instid0(VALU_DEP_2) | instskip(NEXT) | instid1(VALU_DEP_1)
	v_ldexp_f64 v[4:5], v[4:5], 32
	v_add_f64_e32 v[44:45], v[4:5], v[2:3]
	s_branch .LBB12_979
.LBB12_977:
	s_mov_b32 s83, -1
                                        ; implicit-def: $vgpr44_vgpr45
.LBB12_978:
	s_mov_b32 s2, 0
.LBB12_979:
	s_delay_alu instid0(SALU_CYCLE_1)
	s_and_b32 vcc_lo, exec_lo, s2
	s_cbranch_vccz .LBB12_997
; %bb.980:
	s_cmp_lt_i32 s0, 27
	s_cbranch_scc1 .LBB12_983
; %bb.981:
	s_cmp_gt_i32 s0, 27
	s_cbranch_scc0 .LBB12_984
; %bb.982:
	global_load_b32 v2, v[0:1], off
	s_mov_b32 s1, 0
	s_wait_loadcnt 0x0
	v_cvt_f64_u32_e32 v[44:45], v2
	s_branch .LBB12_985
.LBB12_983:
	s_mov_b32 s1, -1
                                        ; implicit-def: $vgpr44_vgpr45
	s_branch .LBB12_988
.LBB12_984:
	s_mov_b32 s1, -1
                                        ; implicit-def: $vgpr44_vgpr45
.LBB12_985:
	s_delay_alu instid0(SALU_CYCLE_1)
	s_and_not1_b32 vcc_lo, exec_lo, s1
	s_cbranch_vccnz .LBB12_987
; %bb.986:
	global_load_u16 v2, v[0:1], off
	s_wait_loadcnt 0x0
	v_cvt_f64_u32_e32 v[44:45], v2
.LBB12_987:
	s_mov_b32 s1, 0
.LBB12_988:
	s_delay_alu instid0(SALU_CYCLE_1)
	s_and_not1_b32 vcc_lo, exec_lo, s1
	s_cbranch_vccnz .LBB12_996
; %bb.989:
	global_load_u8 v2, v[0:1], off
	s_mov_b32 s1, 0
	s_mov_b32 s2, exec_lo
	s_wait_loadcnt 0x0
	v_cmpx_lt_i16_e32 0x7f, v2
	s_xor_b32 s2, exec_lo, s2
	s_cbranch_execz .LBB12_1010
; %bb.990:
	s_mov_b32 s1, -1
	s_mov_b32 s3, exec_lo
	v_cmpx_eq_u16_e32 0x80, v2
; %bb.991:
	s_xor_b32 s1, exec_lo, -1
; %bb.992:
	s_or_b32 exec_lo, exec_lo, s3
	s_delay_alu instid0(SALU_CYCLE_1)
	s_and_b32 s1, s1, exec_lo
	s_or_saveexec_b32 s2, s2
	v_mov_b64_e32 v[44:45], 0x7ff8000020000000
	s_xor_b32 exec_lo, exec_lo, s2
	s_cbranch_execnz .LBB12_1011
.LBB12_993:
	s_or_b32 exec_lo, exec_lo, s2
	s_and_saveexec_b32 s2, s1
	s_cbranch_execz .LBB12_995
.LBB12_994:
	v_and_b32_e32 v3, 0xffff, v2
	s_delay_alu instid0(VALU_DEP_1) | instskip(SKIP_1) | instid1(VALU_DEP_2)
	v_and_b32_e32 v4, 7, v3
	v_bfe_u32 v7, v3, 3, 4
	v_clz_i32_u32_e32 v5, v4
	s_delay_alu instid0(VALU_DEP_2) | instskip(NEXT) | instid1(VALU_DEP_2)
	v_cmp_eq_u32_e32 vcc_lo, 0, v7
	v_min_u32_e32 v5, 32, v5
	s_delay_alu instid0(VALU_DEP_1) | instskip(NEXT) | instid1(VALU_DEP_1)
	v_subrev_nc_u32_e32 v6, 28, v5
	v_dual_lshlrev_b32 v3, v6, v3 :: v_dual_sub_nc_u32 v5, 29, v5
	s_delay_alu instid0(VALU_DEP_1) | instskip(NEXT) | instid1(VALU_DEP_1)
	v_dual_lshlrev_b32 v2, 24, v2 :: v_dual_bitop2_b32 v3, 7, v3 bitop3:0x40
	v_dual_cndmask_b32 v5, v7, v5, vcc_lo :: v_dual_cndmask_b32 v3, v4, v3, vcc_lo
	s_delay_alu instid0(VALU_DEP_2) | instskip(NEXT) | instid1(VALU_DEP_2)
	v_and_b32_e32 v2, 0x80000000, v2
	v_lshl_add_u32 v4, v5, 23, 0x3b800000
	s_delay_alu instid0(VALU_DEP_3) | instskip(NEXT) | instid1(VALU_DEP_1)
	v_lshlrev_b32_e32 v3, 20, v3
	v_or3_b32 v2, v2, v4, v3
	s_delay_alu instid0(VALU_DEP_1)
	v_cvt_f64_f32_e32 v[44:45], v2
.LBB12_995:
	s_or_b32 exec_lo, exec_lo, s2
.LBB12_996:
	s_mov_b32 s1, -1
.LBB12_997:
	s_mov_b32 s2, 0
.LBB12_998:
	s_delay_alu instid0(SALU_CYCLE_1)
	s_and_b32 vcc_lo, exec_lo, s2
	s_cbranch_vccz .LBB12_1033
; %bb.999:
	s_cmp_gt_i32 s0, 22
	s_cbranch_scc0 .LBB12_1009
; %bb.1000:
	s_cmp_lt_i32 s0, 24
	s_cbranch_scc1 .LBB12_1012
; %bb.1001:
	s_cmp_gt_i32 s0, 24
	s_cbranch_scc0 .LBB12_1013
; %bb.1002:
	global_load_u8 v2, v[0:1], off
	s_mov_b32 s1, 0
	s_mov_b32 s2, exec_lo
	s_wait_loadcnt 0x0
	v_cmpx_lt_i16_e32 0x7f, v2
	s_xor_b32 s2, exec_lo, s2
	s_cbranch_execz .LBB12_1025
; %bb.1003:
	s_mov_b32 s1, -1
	s_mov_b32 s3, exec_lo
	v_cmpx_eq_u16_e32 0x80, v2
; %bb.1004:
	s_xor_b32 s1, exec_lo, -1
; %bb.1005:
	s_or_b32 exec_lo, exec_lo, s3
	s_delay_alu instid0(SALU_CYCLE_1)
	s_and_b32 s1, s1, exec_lo
	s_or_saveexec_b32 s2, s2
	v_mov_b64_e32 v[44:45], 0x7ff8000020000000
	s_xor_b32 exec_lo, exec_lo, s2
	s_cbranch_execnz .LBB12_1026
.LBB12_1006:
	s_or_b32 exec_lo, exec_lo, s2
	s_and_saveexec_b32 s2, s1
	s_cbranch_execz .LBB12_1008
.LBB12_1007:
	v_and_b32_e32 v3, 0xffff, v2
	s_delay_alu instid0(VALU_DEP_1) | instskip(SKIP_1) | instid1(VALU_DEP_2)
	v_and_b32_e32 v4, 3, v3
	v_bfe_u32 v7, v3, 2, 5
	v_clz_i32_u32_e32 v5, v4
	s_delay_alu instid0(VALU_DEP_2) | instskip(NEXT) | instid1(VALU_DEP_2)
	v_cmp_eq_u32_e32 vcc_lo, 0, v7
	v_min_u32_e32 v5, 32, v5
	s_delay_alu instid0(VALU_DEP_1) | instskip(NEXT) | instid1(VALU_DEP_1)
	v_subrev_nc_u32_e32 v6, 29, v5
	v_dual_lshlrev_b32 v3, v6, v3 :: v_dual_sub_nc_u32 v5, 30, v5
	s_delay_alu instid0(VALU_DEP_1) | instskip(NEXT) | instid1(VALU_DEP_1)
	v_dual_lshlrev_b32 v2, 24, v2 :: v_dual_bitop2_b32 v3, 3, v3 bitop3:0x40
	v_dual_cndmask_b32 v5, v7, v5, vcc_lo :: v_dual_cndmask_b32 v3, v4, v3, vcc_lo
	s_delay_alu instid0(VALU_DEP_2) | instskip(NEXT) | instid1(VALU_DEP_2)
	v_and_b32_e32 v2, 0x80000000, v2
	v_lshl_add_u32 v4, v5, 23, 0x37800000
	s_delay_alu instid0(VALU_DEP_3) | instskip(NEXT) | instid1(VALU_DEP_1)
	v_lshlrev_b32_e32 v3, 21, v3
	v_or3_b32 v2, v2, v4, v3
	s_delay_alu instid0(VALU_DEP_1)
	v_cvt_f64_f32_e32 v[44:45], v2
.LBB12_1008:
	s_or_b32 exec_lo, exec_lo, s2
	s_mov_b32 s1, 0
	s_branch .LBB12_1014
.LBB12_1009:
	s_mov_b32 s2, -1
                                        ; implicit-def: $vgpr44_vgpr45
	s_branch .LBB12_1020
.LBB12_1010:
	s_or_saveexec_b32 s2, s2
	v_mov_b64_e32 v[44:45], 0x7ff8000020000000
	s_xor_b32 exec_lo, exec_lo, s2
	s_cbranch_execz .LBB12_993
.LBB12_1011:
	v_cmp_ne_u16_e32 vcc_lo, 0, v2
	v_mov_b64_e32 v[44:45], 0
	s_and_not1_b32 s1, s1, exec_lo
	s_and_b32 s3, vcc_lo, exec_lo
	s_delay_alu instid0(SALU_CYCLE_1)
	s_or_b32 s1, s1, s3
	s_or_b32 exec_lo, exec_lo, s2
	s_and_saveexec_b32 s2, s1
	s_cbranch_execnz .LBB12_994
	s_branch .LBB12_995
.LBB12_1012:
	s_mov_b32 s1, -1
                                        ; implicit-def: $vgpr44_vgpr45
	s_branch .LBB12_1017
.LBB12_1013:
	s_mov_b32 s1, -1
                                        ; implicit-def: $vgpr44_vgpr45
.LBB12_1014:
	s_delay_alu instid0(SALU_CYCLE_1)
	s_and_b32 vcc_lo, exec_lo, s1
	s_cbranch_vccz .LBB12_1016
; %bb.1015:
	global_load_u8 v2, v[0:1], off
	s_wait_loadcnt 0x0
	v_lshlrev_b32_e32 v2, 24, v2
	s_delay_alu instid0(VALU_DEP_1) | instskip(NEXT) | instid1(VALU_DEP_1)
	v_and_b32_e32 v3, 0x7f000000, v2
	v_clz_i32_u32_e32 v4, v3
	v_cmp_ne_u32_e32 vcc_lo, 0, v3
	v_add_nc_u32_e32 v6, 0x1000000, v3
	s_delay_alu instid0(VALU_DEP_3) | instskip(NEXT) | instid1(VALU_DEP_1)
	v_min_u32_e32 v4, 32, v4
	v_sub_nc_u32_e64 v4, v4, 4 clamp
	s_delay_alu instid0(VALU_DEP_1) | instskip(NEXT) | instid1(VALU_DEP_1)
	v_dual_lshlrev_b32 v5, v4, v3 :: v_dual_lshlrev_b32 v4, 23, v4
	v_lshrrev_b32_e32 v5, 4, v5
	s_delay_alu instid0(VALU_DEP_1) | instskip(NEXT) | instid1(VALU_DEP_1)
	v_dual_sub_nc_u32 v4, v5, v4 :: v_dual_ashrrev_i32 v5, 8, v6
	v_add_nc_u32_e32 v4, 0x3c000000, v4
	s_delay_alu instid0(VALU_DEP_1) | instskip(NEXT) | instid1(VALU_DEP_1)
	v_and_or_b32 v4, 0x7f800000, v5, v4
	v_cndmask_b32_e32 v3, 0, v4, vcc_lo
	s_delay_alu instid0(VALU_DEP_1) | instskip(NEXT) | instid1(VALU_DEP_1)
	v_and_or_b32 v2, 0x80000000, v2, v3
	v_cvt_f64_f32_e32 v[44:45], v2
.LBB12_1016:
	s_mov_b32 s1, 0
.LBB12_1017:
	s_delay_alu instid0(SALU_CYCLE_1)
	s_and_not1_b32 vcc_lo, exec_lo, s1
	s_cbranch_vccnz .LBB12_1019
; %bb.1018:
	global_load_u8 v2, v[0:1], off
	s_wait_loadcnt 0x0
	v_lshlrev_b32_e32 v3, 25, v2
	v_lshlrev_b16 v2, 8, v2
	s_delay_alu instid0(VALU_DEP_1) | instskip(SKIP_1) | instid1(VALU_DEP_2)
	v_and_or_b32 v5, 0x7f00, v2, 0.5
	v_bfe_i32 v2, v2, 0, 16
	v_dual_add_f32 v5, -0.5, v5 :: v_dual_lshrrev_b32 v4, 4, v3
	v_cmp_gt_u32_e32 vcc_lo, 0x8000000, v3
	s_delay_alu instid0(VALU_DEP_2) | instskip(NEXT) | instid1(VALU_DEP_1)
	v_or_b32_e32 v4, 0x70000000, v4
	v_mul_f32_e32 v4, 0x7800000, v4
	s_delay_alu instid0(VALU_DEP_1) | instskip(NEXT) | instid1(VALU_DEP_1)
	v_cndmask_b32_e32 v3, v4, v5, vcc_lo
	v_and_or_b32 v2, 0x80000000, v2, v3
	s_delay_alu instid0(VALU_DEP_1)
	v_cvt_f64_f32_e32 v[44:45], v2
.LBB12_1019:
	s_mov_b32 s2, 0
	s_mov_b32 s1, -1
.LBB12_1020:
	s_and_not1_b32 vcc_lo, exec_lo, s2
	s_cbranch_vccnz .LBB12_1033
; %bb.1021:
	s_cmp_gt_i32 s0, 14
	s_cbranch_scc0 .LBB12_1024
; %bb.1022:
	s_cmp_eq_u32 s0, 15
	s_cbranch_scc0 .LBB12_1027
; %bb.1023:
	global_load_u16 v2, v[0:1], off
	s_mov_b32 s1, -1
	s_mov_b32 s83, 0
	s_wait_loadcnt 0x0
	v_lshlrev_b32_e32 v2, 16, v2
	s_delay_alu instid0(VALU_DEP_1)
	v_cvt_f64_f32_e32 v[44:45], v2
	s_branch .LBB12_1028
.LBB12_1024:
	s_mov_b32 s2, -1
                                        ; implicit-def: $vgpr44_vgpr45
	s_branch .LBB12_1029
.LBB12_1025:
	s_or_saveexec_b32 s2, s2
	v_mov_b64_e32 v[44:45], 0x7ff8000020000000
	s_xor_b32 exec_lo, exec_lo, s2
	s_cbranch_execz .LBB12_1006
.LBB12_1026:
	v_cmp_ne_u16_e32 vcc_lo, 0, v2
	v_mov_b64_e32 v[44:45], 0
	s_and_not1_b32 s1, s1, exec_lo
	s_and_b32 s3, vcc_lo, exec_lo
	s_delay_alu instid0(SALU_CYCLE_1)
	s_or_b32 s1, s1, s3
	s_or_b32 exec_lo, exec_lo, s2
	s_and_saveexec_b32 s2, s1
	s_cbranch_execnz .LBB12_1007
	s_branch .LBB12_1008
.LBB12_1027:
	s_mov_b32 s83, -1
                                        ; implicit-def: $vgpr44_vgpr45
.LBB12_1028:
	s_mov_b32 s2, 0
.LBB12_1029:
	s_delay_alu instid0(SALU_CYCLE_1)
	s_and_b32 vcc_lo, exec_lo, s2
	s_cbranch_vccz .LBB12_1033
; %bb.1030:
	s_cmp_eq_u32 s0, 11
	s_cbranch_scc0 .LBB12_1032
; %bb.1031:
	global_load_u8 v2, v[0:1], off
	s_wait_loadcnt 0x1
	v_mov_b32_e32 v44, 0
	s_mov_b32 s83, 0
	s_mov_b32 s1, -1
	s_wait_loadcnt 0x0
	v_cmp_ne_u16_e32 vcc_lo, 0, v2
	v_cndmask_b32_e64 v45, 0, 0x3ff00000, vcc_lo
	s_branch .LBB12_1033
.LBB12_1032:
	s_mov_b32 s83, -1
                                        ; implicit-def: $vgpr44_vgpr45
.LBB12_1033:
	s_mov_b32 s2, 0
.LBB12_1034:
	s_delay_alu instid0(SALU_CYCLE_1)
	s_and_b32 vcc_lo, exec_lo, s2
	s_cbranch_vccz .LBB12_1083
; %bb.1035:
	s_cmp_lt_i32 s0, 5
	s_cbranch_scc1 .LBB12_1040
; %bb.1036:
	s_cmp_lt_i32 s0, 8
	s_cbranch_scc1 .LBB12_1041
	;; [unrolled: 3-line block ×3, first 2 shown]
; %bb.1038:
	s_cmp_gt_i32 s0, 9
	s_cbranch_scc0 .LBB12_1043
; %bb.1039:
	s_wait_loadcnt 0x0
	global_load_b64 v[44:45], v[0:1], off
	s_mov_b32 s1, 0
	s_branch .LBB12_1044
.LBB12_1040:
	s_mov_b32 s1, -1
                                        ; implicit-def: $vgpr44_vgpr45
	s_branch .LBB12_1062
.LBB12_1041:
	s_mov_b32 s1, -1
                                        ; implicit-def: $vgpr44_vgpr45
	s_branch .LBB12_1050
.LBB12_1042:
	s_mov_b32 s1, -1
                                        ; implicit-def: $vgpr44_vgpr45
	s_branch .LBB12_1047
.LBB12_1043:
	s_mov_b32 s1, -1
                                        ; implicit-def: $vgpr44_vgpr45
.LBB12_1044:
	s_delay_alu instid0(SALU_CYCLE_1)
	s_and_not1_b32 vcc_lo, exec_lo, s1
	s_cbranch_vccnz .LBB12_1046
; %bb.1045:
	global_load_b32 v2, v[0:1], off
	s_wait_loadcnt 0x0
	v_cvt_f64_f32_e32 v[44:45], v2
.LBB12_1046:
	s_mov_b32 s1, 0
.LBB12_1047:
	s_delay_alu instid0(SALU_CYCLE_1)
	s_and_not1_b32 vcc_lo, exec_lo, s1
	s_cbranch_vccnz .LBB12_1049
; %bb.1048:
	global_load_b32 v2, v[0:1], off
	s_wait_loadcnt 0x0
	v_cvt_f32_f16_e32 v2, v2
	s_delay_alu instid0(VALU_DEP_1)
	v_cvt_f64_f32_e32 v[44:45], v2
.LBB12_1049:
	s_mov_b32 s1, 0
.LBB12_1050:
	s_delay_alu instid0(SALU_CYCLE_1)
	s_and_not1_b32 vcc_lo, exec_lo, s1
	s_cbranch_vccnz .LBB12_1061
; %bb.1051:
	s_cmp_lt_i32 s0, 6
	s_cbranch_scc1 .LBB12_1054
; %bb.1052:
	s_cmp_gt_i32 s0, 6
	s_cbranch_scc0 .LBB12_1055
; %bb.1053:
	s_wait_loadcnt 0x0
	global_load_b64 v[44:45], v[0:1], off
	s_mov_b32 s1, 0
	s_branch .LBB12_1056
.LBB12_1054:
	s_mov_b32 s1, -1
                                        ; implicit-def: $vgpr44_vgpr45
	s_branch .LBB12_1059
.LBB12_1055:
	s_mov_b32 s1, -1
                                        ; implicit-def: $vgpr44_vgpr45
.LBB12_1056:
	s_delay_alu instid0(SALU_CYCLE_1)
	s_and_not1_b32 vcc_lo, exec_lo, s1
	s_cbranch_vccnz .LBB12_1058
; %bb.1057:
	global_load_b32 v2, v[0:1], off
	s_wait_loadcnt 0x0
	v_cvt_f64_f32_e32 v[44:45], v2
.LBB12_1058:
	s_mov_b32 s1, 0
.LBB12_1059:
	s_delay_alu instid0(SALU_CYCLE_1)
	s_and_not1_b32 vcc_lo, exec_lo, s1
	s_cbranch_vccnz .LBB12_1061
; %bb.1060:
	global_load_u16 v2, v[0:1], off
	s_wait_loadcnt 0x0
	v_cvt_f32_f16_e32 v2, v2
	s_delay_alu instid0(VALU_DEP_1)
	v_cvt_f64_f32_e32 v[44:45], v2
.LBB12_1061:
	s_mov_b32 s1, 0
.LBB12_1062:
	s_delay_alu instid0(SALU_CYCLE_1)
	s_and_not1_b32 vcc_lo, exec_lo, s1
	s_cbranch_vccnz .LBB12_1082
; %bb.1063:
	s_cmp_lt_i32 s0, 2
	s_cbranch_scc1 .LBB12_1067
; %bb.1064:
	s_cmp_lt_i32 s0, 3
	s_cbranch_scc1 .LBB12_1068
; %bb.1065:
	s_cmp_gt_i32 s0, 3
	s_cbranch_scc0 .LBB12_1069
; %bb.1066:
	global_load_b64 v[2:3], v[0:1], off
	s_mov_b32 s1, 0
	s_wait_loadcnt 0x0
	v_cvt_f64_i32_e32 v[4:5], v3
	v_cvt_f64_u32_e32 v[2:3], v2
	s_delay_alu instid0(VALU_DEP_2) | instskip(NEXT) | instid1(VALU_DEP_1)
	v_ldexp_f64 v[4:5], v[4:5], 32
	v_add_f64_e32 v[44:45], v[4:5], v[2:3]
	s_branch .LBB12_1070
.LBB12_1067:
	s_mov_b32 s1, -1
                                        ; implicit-def: $vgpr44_vgpr45
	s_branch .LBB12_1076
.LBB12_1068:
	s_mov_b32 s1, -1
                                        ; implicit-def: $vgpr44_vgpr45
	s_branch .LBB12_1073
.LBB12_1069:
	s_mov_b32 s1, -1
                                        ; implicit-def: $vgpr44_vgpr45
.LBB12_1070:
	s_delay_alu instid0(SALU_CYCLE_1)
	s_and_not1_b32 vcc_lo, exec_lo, s1
	s_cbranch_vccnz .LBB12_1072
; %bb.1071:
	global_load_b32 v2, v[0:1], off
	s_wait_loadcnt 0x0
	v_cvt_f64_i32_e32 v[44:45], v2
.LBB12_1072:
	s_mov_b32 s1, 0
.LBB12_1073:
	s_delay_alu instid0(SALU_CYCLE_1)
	s_and_not1_b32 vcc_lo, exec_lo, s1
	s_cbranch_vccnz .LBB12_1075
; %bb.1074:
	global_load_i16 v2, v[0:1], off
	s_wait_loadcnt 0x0
	v_cvt_f64_i32_e32 v[44:45], v2
.LBB12_1075:
	s_mov_b32 s1, 0
.LBB12_1076:
	s_delay_alu instid0(SALU_CYCLE_1)
	s_and_not1_b32 vcc_lo, exec_lo, s1
	s_cbranch_vccnz .LBB12_1082
; %bb.1077:
	s_cmp_gt_i32 s0, 0
	s_mov_b32 s0, 0
	s_cbranch_scc0 .LBB12_1079
; %bb.1078:
	global_load_i8 v2, v[0:1], off
	s_wait_loadcnt 0x0
	v_cvt_f64_i32_e32 v[44:45], v2
	s_branch .LBB12_1080
.LBB12_1079:
	s_mov_b32 s0, -1
                                        ; implicit-def: $vgpr44_vgpr45
.LBB12_1080:
	s_delay_alu instid0(SALU_CYCLE_1)
	s_and_not1_b32 vcc_lo, exec_lo, s0
	s_cbranch_vccnz .LBB12_1082
; %bb.1081:
	global_load_u8 v0, v[0:1], off
	s_wait_loadcnt 0x0
	v_cvt_f64_u32_e32 v[44:45], v0
.LBB12_1082:
	s_mov_b32 s1, -1
.LBB12_1083:
	s_delay_alu instid0(SALU_CYCLE_1)
	s_and_not1_b32 vcc_lo, exec_lo, s1
	s_cbranch_vccnz .LBB12_1086
; %bb.1084:
	s_and_not1_b32 vcc_lo, exec_lo, s45
	s_cbranch_vccnz .LBB12_1087
; %bb.1085:
	s_wait_loadcnt 0x0
	s_delay_alu instid0(VALU_DEP_3) | instskip(NEXT) | instid1(VALU_DEP_2)
	v_dual_mov_b32 v0, v42 :: v_dual_mov_b32 v1, v43
	v_dual_mov_b32 v2, v44 :: v_dual_mov_b32 v3, v45
	s_get_pc_i64 s[0:1]
	s_add_nc_u64 s[0:1], s[0:1], _ZN12_GLOBAL__N_111calc_igammaIdEET_S1_S1_@rel64+4
	s_delay_alu instid0(SALU_CYCLE_1)
	s_swap_pc_i64 s[30:31], s[0:1]
	s_mov_b32 s0, 0
	s_branch .LBB12_1088
.LBB12_1086:
	s_mov_b32 s1, 0
	s_mov_b32 s0, s78
	s_branch .LBB12_1213
.LBB12_1087:
	s_mov_b32 s0, -1
                                        ; implicit-def: $vgpr0_vgpr1
.LBB12_1088:
	s_delay_alu instid0(SALU_CYCLE_1)
	s_and_not1_b32 vcc_lo, exec_lo, s0
	s_cbranch_vccnz .LBB12_1090
; %bb.1089:
	s_wait_loadcnt 0x0
	s_delay_alu instid0(VALU_DEP_3) | instskip(NEXT) | instid1(VALU_DEP_2)
	v_dual_mov_b32 v0, v42 :: v_dual_mov_b32 v1, v43
	v_dual_mov_b32 v2, v44 :: v_dual_mov_b32 v3, v45
	s_get_pc_i64 s[0:1]
	s_add_nc_u64 s[0:1], s[0:1], _ZN12_GLOBAL__N_112calc_igammacIdEET_S1_S1_@rel64+4
	s_delay_alu instid0(SALU_CYCLE_1)
	s_swap_pc_i64 s[30:31], s[0:1]
.LBB12_1090:
	v_mov_b32_e32 v57, 0
	s_and_b32 s1, s67, 0xff
	s_delay_alu instid0(SALU_CYCLE_1) | instskip(NEXT) | instid1(VALU_DEP_1)
	s_cmp_lt_i32 s1, 11
	v_add_nc_u64_e32 v[4:5], s[36:37], v[56:57]
	s_cbranch_scc1 .LBB12_1097
; %bb.1091:
	s_and_b32 s2, 0xffff, s1
	s_delay_alu instid0(SALU_CYCLE_1)
	s_cmp_gt_i32 s2, 25
	s_cbranch_scc0 .LBB12_1098
; %bb.1092:
	s_cmp_gt_i32 s2, 28
	s_cbranch_scc0 .LBB12_1099
; %bb.1093:
	;; [unrolled: 3-line block ×4, first 2 shown]
	s_mov_b32 s4, 0
	s_mov_b32 s0, -1
	s_cmp_eq_u32 s2, 46
	s_mov_b32 s3, 0
	s_cbranch_scc0 .LBB12_1102
; %bb.1096:
	s_wait_xcnt 0x0
	v_cvt_f32_f64_e32 v2, v[0:1]
	s_mov_b32 s3, -1
	s_mov_b32 s0, 0
	s_delay_alu instid0(VALU_DEP_1) | instskip(SKIP_1) | instid1(VALU_DEP_2)
	v_bfe_u32 v3, v2, 16, 1
	v_cmp_o_f32_e32 vcc_lo, v2, v2
	v_add3_u32 v3, v2, v3, 0x7fff
	s_delay_alu instid0(VALU_DEP_1) | instskip(NEXT) | instid1(VALU_DEP_1)
	v_lshrrev_b32_e32 v3, 16, v3
	v_cndmask_b32_e32 v2, 0x7fc0, v3, vcc_lo
	global_store_b32 v[4:5], v2, off
	s_branch .LBB12_1102
.LBB12_1097:
	s_mov_b32 s2, -1
	s_mov_b32 s3, 0
	s_mov_b32 s0, s78
	s_branch .LBB12_1171
.LBB12_1098:
	s_mov_b32 s4, -1
	s_mov_b32 s3, 0
	s_mov_b32 s0, s78
	s_branch .LBB12_1129
.LBB12_1099:
	s_mov_b32 s4, -1
	s_mov_b32 s3, 0
	s_mov_b32 s0, s78
	s_branch .LBB12_1112
.LBB12_1100:
	s_mov_b32 s4, -1
	s_mov_b32 s3, 0
	s_mov_b32 s0, s78
	s_branch .LBB12_1108
.LBB12_1101:
	s_mov_b32 s4, -1
	s_mov_b32 s3, 0
	s_mov_b32 s0, s78
.LBB12_1102:
	s_and_b32 vcc_lo, exec_lo, s4
	s_cbranch_vccz .LBB12_1107
; %bb.1103:
	s_cmp_eq_u32 s2, 44
	s_mov_b32 s0, -1
	s_cbranch_scc0 .LBB12_1107
; %bb.1104:
	s_wait_xcnt 0x0
	v_cvt_f32_f64_e32 v2, v[0:1]
	v_mov_b32_e32 v3, 0xff
	s_mov_b32 s3, exec_lo
	s_delay_alu instid0(VALU_DEP_2) | instskip(NEXT) | instid1(VALU_DEP_1)
	v_bfe_u32 v6, v2, 23, 8
	v_cmpx_ne_u32_e32 0xff, v6
	s_cbranch_execz .LBB12_1106
; %bb.1105:
	v_and_b32_e32 v3, 0x400000, v2
	v_and_or_b32 v6, 0x3fffff, v2, v6
	v_lshrrev_b32_e32 v2, 23, v2
	s_delay_alu instid0(VALU_DEP_3) | instskip(NEXT) | instid1(VALU_DEP_3)
	v_cmp_ne_u32_e32 vcc_lo, 0, v3
	v_cmp_ne_u32_e64 s0, 0, v6
	s_and_b32 s0, vcc_lo, s0
	s_delay_alu instid0(SALU_CYCLE_1) | instskip(NEXT) | instid1(VALU_DEP_1)
	v_cndmask_b32_e64 v3, 0, 1, s0
	v_add_nc_u32_e32 v3, v2, v3
.LBB12_1106:
	s_or_b32 exec_lo, exec_lo, s3
	s_mov_b32 s3, -1
	s_mov_b32 s0, 0
	global_store_b8 v[4:5], v3, off
.LBB12_1107:
	s_mov_b32 s4, 0
.LBB12_1108:
	s_delay_alu instid0(SALU_CYCLE_1)
	s_and_b32 vcc_lo, exec_lo, s4
	s_cbranch_vccz .LBB12_1111
; %bb.1109:
	s_cmp_eq_u32 s2, 29
	s_mov_b32 s0, -1
	s_cbranch_scc0 .LBB12_1111
; %bb.1110:
	s_wait_xcnt 0x0
	v_trunc_f64_e32 v[2:3], v[0:1]
	s_mov_b32 s3, -1
	s_mov_b32 s0, 0
	s_mov_b32 s4, 0
	s_delay_alu instid0(VALU_DEP_1) | instskip(NEXT) | instid1(VALU_DEP_1)
	v_ldexp_f64 v[6:7], v[2:3], 0xffffffe0
	v_floor_f64_e32 v[6:7], v[6:7]
	s_delay_alu instid0(VALU_DEP_1) | instskip(SKIP_1) | instid1(VALU_DEP_2)
	v_fmamk_f64 v[2:3], v[6:7], 0xc1f00000, v[2:3]
	v_cvt_u32_f64_e32 v7, v[6:7]
	v_cvt_u32_f64_e32 v6, v[2:3]
	global_store_b64 v[4:5], v[6:7], off
	s_branch .LBB12_1112
.LBB12_1111:
	s_mov_b32 s4, 0
.LBB12_1112:
	s_delay_alu instid0(SALU_CYCLE_1)
	s_and_b32 vcc_lo, exec_lo, s4
	s_cbranch_vccz .LBB12_1128
; %bb.1113:
	s_cmp_lt_i32 s2, 27
	s_mov_b32 s3, -1
	s_cbranch_scc1 .LBB12_1119
; %bb.1114:
	s_cmp_gt_i32 s2, 27
	s_cbranch_scc0 .LBB12_1116
; %bb.1115:
	s_wait_xcnt 0x0
	v_cvt_u32_f64_e32 v2, v[0:1]
	s_mov_b32 s3, 0
	global_store_b32 v[4:5], v2, off
.LBB12_1116:
	s_and_not1_b32 vcc_lo, exec_lo, s3
	s_cbranch_vccnz .LBB12_1118
; %bb.1117:
	s_wait_xcnt 0x0
	v_cvt_u32_f64_e32 v2, v[0:1]
	global_store_b16 v[4:5], v2, off
.LBB12_1118:
	s_mov_b32 s3, 0
.LBB12_1119:
	s_delay_alu instid0(SALU_CYCLE_1)
	s_and_not1_b32 vcc_lo, exec_lo, s3
	s_cbranch_vccnz .LBB12_1127
; %bb.1120:
	s_wait_xcnt 0x0
	v_cvt_f32_f64_e32 v2, v[0:1]
	v_mov_b32_e32 v6, 0x80
	s_mov_b32 s3, exec_lo
	s_delay_alu instid0(VALU_DEP_2) | instskip(NEXT) | instid1(VALU_DEP_1)
	v_and_b32_e32 v3, 0x7fffffff, v2
	v_cmpx_gt_u32_e32 0x43800000, v3
	s_cbranch_execz .LBB12_1126
; %bb.1121:
	v_cmp_lt_u32_e32 vcc_lo, 0x3bffffff, v3
	s_mov_b32 s4, 0
                                        ; implicit-def: $vgpr3
	s_and_saveexec_b32 s5, vcc_lo
	s_delay_alu instid0(SALU_CYCLE_1)
	s_xor_b32 s5, exec_lo, s5
	s_cbranch_execz .LBB12_1241
; %bb.1122:
	v_bfe_u32 v3, v2, 20, 1
	s_mov_b32 s4, exec_lo
	s_delay_alu instid0(VALU_DEP_1) | instskip(NEXT) | instid1(VALU_DEP_1)
	v_add3_u32 v3, v2, v3, 0x487ffff
	v_lshrrev_b32_e32 v3, 20, v3
	s_and_not1_saveexec_b32 s5, s5
	s_cbranch_execnz .LBB12_1242
.LBB12_1123:
	s_or_b32 exec_lo, exec_lo, s5
	v_mov_b32_e32 v6, 0
	s_and_saveexec_b32 s5, s4
.LBB12_1124:
	v_lshrrev_b32_e32 v2, 24, v2
	s_delay_alu instid0(VALU_DEP_1)
	v_and_or_b32 v6, 0x80, v2, v3
.LBB12_1125:
	s_or_b32 exec_lo, exec_lo, s5
.LBB12_1126:
	s_delay_alu instid0(SALU_CYCLE_1)
	s_or_b32 exec_lo, exec_lo, s3
	global_store_b8 v[4:5], v6, off
.LBB12_1127:
	s_mov_b32 s3, -1
.LBB12_1128:
	s_mov_b32 s4, 0
.LBB12_1129:
	s_delay_alu instid0(SALU_CYCLE_1)
	s_and_b32 vcc_lo, exec_lo, s4
	s_cbranch_vccz .LBB12_1170
; %bb.1130:
	s_cmp_gt_i32 s2, 22
	s_mov_b32 s4, -1
	s_cbranch_scc0 .LBB12_1162
; %bb.1131:
	s_cmp_lt_i32 s2, 24
	s_mov_b32 s3, -1
	s_cbranch_scc1 .LBB12_1151
; %bb.1132:
	s_cmp_gt_i32 s2, 24
	s_cbranch_scc0 .LBB12_1140
; %bb.1133:
	s_wait_xcnt 0x0
	v_cvt_f32_f64_e32 v2, v[0:1]
	v_mov_b32_e32 v6, 0x80
	s_mov_b32 s3, exec_lo
	s_delay_alu instid0(VALU_DEP_2) | instskip(NEXT) | instid1(VALU_DEP_1)
	v_and_b32_e32 v3, 0x7fffffff, v2
	v_cmpx_gt_u32_e32 0x47800000, v3
	s_cbranch_execz .LBB12_1139
; %bb.1134:
	v_cmp_lt_u32_e32 vcc_lo, 0x37ffffff, v3
	s_mov_b32 s4, 0
                                        ; implicit-def: $vgpr3
	s_and_saveexec_b32 s5, vcc_lo
	s_delay_alu instid0(SALU_CYCLE_1)
	s_xor_b32 s5, exec_lo, s5
	s_cbranch_execz .LBB12_2326
; %bb.1135:
	v_bfe_u32 v3, v2, 21, 1
	s_mov_b32 s4, exec_lo
	s_delay_alu instid0(VALU_DEP_1) | instskip(NEXT) | instid1(VALU_DEP_1)
	v_add3_u32 v3, v2, v3, 0x88fffff
	v_lshrrev_b32_e32 v3, 21, v3
	s_and_not1_saveexec_b32 s5, s5
	s_cbranch_execnz .LBB12_2327
.LBB12_1136:
	s_or_b32 exec_lo, exec_lo, s5
	v_mov_b32_e32 v6, 0
	s_and_saveexec_b32 s5, s4
.LBB12_1137:
	v_lshrrev_b32_e32 v2, 24, v2
	s_delay_alu instid0(VALU_DEP_1)
	v_and_or_b32 v6, 0x80, v2, v3
.LBB12_1138:
	s_or_b32 exec_lo, exec_lo, s5
.LBB12_1139:
	s_delay_alu instid0(SALU_CYCLE_1)
	s_or_b32 exec_lo, exec_lo, s3
	s_mov_b32 s3, 0
	global_store_b8 v[4:5], v6, off
.LBB12_1140:
	s_and_b32 vcc_lo, exec_lo, s3
	s_cbranch_vccz .LBB12_1150
; %bb.1141:
	s_wait_xcnt 0x0
	v_cvt_f32_f64_e32 v2, v[0:1]
	s_mov_b32 s3, exec_lo
                                        ; implicit-def: $vgpr3
	s_delay_alu instid0(VALU_DEP_1) | instskip(NEXT) | instid1(VALU_DEP_1)
	v_and_b32_e32 v6, 0x7fffffff, v2
	v_cmpx_gt_u32_e32 0x43f00000, v6
	s_xor_b32 s3, exec_lo, s3
	s_cbranch_execz .LBB12_1147
; %bb.1142:
	s_mov_b32 s4, exec_lo
                                        ; implicit-def: $vgpr3
	v_cmpx_lt_u32_e32 0x3c7fffff, v6
	s_xor_b32 s4, exec_lo, s4
; %bb.1143:
	v_bfe_u32 v3, v2, 20, 1
	s_delay_alu instid0(VALU_DEP_1) | instskip(NEXT) | instid1(VALU_DEP_1)
	v_add3_u32 v3, v2, v3, 0x407ffff
	v_and_b32_e32 v6, 0xff00000, v3
	v_lshrrev_b32_e32 v3, 20, v3
	s_delay_alu instid0(VALU_DEP_2) | instskip(NEXT) | instid1(VALU_DEP_2)
	v_cmp_ne_u32_e32 vcc_lo, 0x7f00000, v6
	v_cndmask_b32_e32 v3, 0x7e, v3, vcc_lo
; %bb.1144:
	s_and_not1_saveexec_b32 s4, s4
; %bb.1145:
	v_add_f32_e64 v3, 0x46800000, |v2|
; %bb.1146:
	s_or_b32 exec_lo, exec_lo, s4
                                        ; implicit-def: $vgpr6
.LBB12_1147:
	s_and_not1_saveexec_b32 s3, s3
; %bb.1148:
	v_mov_b32_e32 v3, 0x7f
	v_cmp_lt_u32_e32 vcc_lo, 0x7f800000, v6
	s_delay_alu instid0(VALU_DEP_2)
	v_cndmask_b32_e32 v3, 0x7e, v3, vcc_lo
; %bb.1149:
	s_or_b32 exec_lo, exec_lo, s3
	v_lshrrev_b32_e32 v2, 24, v2
	s_delay_alu instid0(VALU_DEP_1)
	v_and_or_b32 v2, 0x80, v2, v3
	global_store_b8 v[4:5], v2, off
.LBB12_1150:
	s_mov_b32 s3, 0
.LBB12_1151:
	s_delay_alu instid0(SALU_CYCLE_1)
	s_and_not1_b32 vcc_lo, exec_lo, s3
	s_cbranch_vccnz .LBB12_1161
; %bb.1152:
	s_wait_xcnt 0x0
	v_cvt_f32_f64_e32 v2, v[0:1]
	s_mov_b32 s3, exec_lo
                                        ; implicit-def: $vgpr3
	s_delay_alu instid0(VALU_DEP_1) | instskip(NEXT) | instid1(VALU_DEP_1)
	v_and_b32_e32 v6, 0x7fffffff, v2
	v_cmpx_gt_u32_e32 0x47800000, v6
	s_xor_b32 s3, exec_lo, s3
	s_cbranch_execz .LBB12_1158
; %bb.1153:
	s_mov_b32 s4, exec_lo
                                        ; implicit-def: $vgpr3
	v_cmpx_lt_u32_e32 0x387fffff, v6
	s_xor_b32 s4, exec_lo, s4
; %bb.1154:
	v_bfe_u32 v3, v2, 21, 1
	s_delay_alu instid0(VALU_DEP_1) | instskip(NEXT) | instid1(VALU_DEP_1)
	v_add3_u32 v3, v2, v3, 0x80fffff
	v_lshrrev_b32_e32 v3, 21, v3
; %bb.1155:
	s_and_not1_saveexec_b32 s4, s4
; %bb.1156:
	v_add_f32_e64 v3, 0x43000000, |v2|
; %bb.1157:
	s_or_b32 exec_lo, exec_lo, s4
                                        ; implicit-def: $vgpr6
.LBB12_1158:
	s_and_not1_saveexec_b32 s3, s3
; %bb.1159:
	v_mov_b32_e32 v3, 0x7f
	v_cmp_lt_u32_e32 vcc_lo, 0x7f800000, v6
	s_delay_alu instid0(VALU_DEP_2)
	v_cndmask_b32_e32 v3, 0x7c, v3, vcc_lo
; %bb.1160:
	s_or_b32 exec_lo, exec_lo, s3
	v_lshrrev_b32_e32 v2, 24, v2
	s_delay_alu instid0(VALU_DEP_1)
	v_and_or_b32 v2, 0x80, v2, v3
	global_store_b8 v[4:5], v2, off
.LBB12_1161:
	s_mov_b32 s4, 0
	s_mov_b32 s3, -1
.LBB12_1162:
	s_and_not1_b32 vcc_lo, exec_lo, s4
	s_cbranch_vccnz .LBB12_1170
; %bb.1163:
	s_cmp_gt_i32 s2, 14
	s_mov_b32 s4, -1
	s_cbranch_scc0 .LBB12_1167
; %bb.1164:
	s_cmp_eq_u32 s2, 15
	s_mov_b32 s0, -1
	s_cbranch_scc0 .LBB12_1166
; %bb.1165:
	s_wait_xcnt 0x0
	v_cvt_f32_f64_e32 v2, v[0:1]
	s_mov_b32 s3, -1
	s_mov_b32 s0, 0
	s_delay_alu instid0(VALU_DEP_1) | instskip(SKIP_1) | instid1(VALU_DEP_2)
	v_bfe_u32 v3, v2, 16, 1
	v_cmp_o_f32_e32 vcc_lo, v2, v2
	v_add3_u32 v3, v2, v3, 0x7fff
	s_delay_alu instid0(VALU_DEP_1) | instskip(NEXT) | instid1(VALU_DEP_1)
	v_lshrrev_b32_e32 v3, 16, v3
	v_cndmask_b32_e32 v2, 0x7fc0, v3, vcc_lo
	global_store_b16 v[4:5], v2, off
.LBB12_1166:
	s_mov_b32 s4, 0
.LBB12_1167:
	s_delay_alu instid0(SALU_CYCLE_1)
	s_and_b32 vcc_lo, exec_lo, s4
	s_cbranch_vccz .LBB12_1170
; %bb.1168:
	s_cmp_eq_u32 s2, 11
	s_mov_b32 s0, -1
	s_cbranch_scc0 .LBB12_1170
; %bb.1169:
	v_cmp_neq_f64_e32 vcc_lo, 0, v[0:1]
	s_mov_b32 s3, -1
	s_mov_b32 s0, 0
	s_wait_xcnt 0x0
	v_cndmask_b32_e64 v2, 0, 1, vcc_lo
	global_store_b8 v[4:5], v2, off
.LBB12_1170:
	s_mov_b32 s2, 0
.LBB12_1171:
	s_delay_alu instid0(SALU_CYCLE_1)
	s_and_b32 vcc_lo, exec_lo, s2
	s_cbranch_vccz .LBB12_1210
; %bb.1172:
	s_and_b32 s1, 0xffff, s1
	s_mov_b32 s2, -1
	s_cmp_lt_i32 s1, 5
	s_cbranch_scc1 .LBB12_1193
; %bb.1173:
	s_cmp_lt_i32 s1, 8
	s_cbranch_scc1 .LBB12_1183
; %bb.1174:
	;; [unrolled: 3-line block ×3, first 2 shown]
	s_cmp_gt_i32 s1, 9
	s_cbranch_scc0 .LBB12_1177
; %bb.1176:
	s_wait_xcnt 0x0
	v_mov_b32_e32 v2, 0
	s_mov_b32 s2, 0
	s_delay_alu instid0(VALU_DEP_1)
	v_mov_b32_e32 v3, v2
	global_store_b128 v[4:5], v[0:3], off
.LBB12_1177:
	s_and_not1_b32 vcc_lo, exec_lo, s2
	s_cbranch_vccnz .LBB12_1179
; %bb.1178:
	s_wait_xcnt 0x0
	v_cvt_f32_f64_e32 v2, v[0:1]
	v_mov_b32_e32 v3, 0
	global_store_b64 v[4:5], v[2:3], off
.LBB12_1179:
	s_mov_b32 s2, 0
.LBB12_1180:
	s_delay_alu instid0(SALU_CYCLE_1)
	s_and_not1_b32 vcc_lo, exec_lo, s2
	s_cbranch_vccnz .LBB12_1182
; %bb.1181:
	s_wait_xcnt 0x0
	v_and_or_b32 v2, 0x1ff, v1, v0
	v_lshrrev_b32_e32 v3, 8, v1
	v_bfe_u32 v6, v1, 20, 11
	s_delay_alu instid0(VALU_DEP_3) | instskip(NEXT) | instid1(VALU_DEP_2)
	v_cmp_ne_u32_e32 vcc_lo, 0, v2
	v_sub_nc_u32_e32 v7, 0x3f1, v6
	v_cndmask_b32_e64 v2, 0, 1, vcc_lo
	s_delay_alu instid0(VALU_DEP_1) | instskip(NEXT) | instid1(VALU_DEP_3)
	v_and_or_b32 v2, 0xffe, v3, v2
	v_med3_i32 v3, v7, 0, 13
	s_delay_alu instid0(VALU_DEP_2) | instskip(NEXT) | instid1(VALU_DEP_1)
	v_or_b32_e32 v7, 0x1000, v2
	v_lshrrev_b32_e32 v8, v3, v7
	s_delay_alu instid0(VALU_DEP_1) | instskip(NEXT) | instid1(VALU_DEP_1)
	v_lshlrev_b32_e32 v3, v3, v8
	v_cmp_ne_u32_e32 vcc_lo, v3, v7
	v_cndmask_b32_e64 v3, 0, 1, vcc_lo
	s_delay_alu instid0(VALU_DEP_1) | instskip(SKIP_1) | instid1(VALU_DEP_1)
	v_or_b32_e32 v3, v8, v3
	v_add_nc_u32_e32 v6, 0xfffffc10, v6
	v_lshl_or_b32 v7, v6, 12, v2
	v_cmp_gt_i32_e32 vcc_lo, 1, v6
	s_delay_alu instid0(VALU_DEP_2) | instskip(NEXT) | instid1(VALU_DEP_1)
	v_cndmask_b32_e32 v3, v7, v3, vcc_lo
	v_dual_lshrrev_b32 v3, 2, v3 :: v_dual_bitop2_b32 v7, 7, v3 bitop3:0x40
	s_delay_alu instid0(VALU_DEP_1) | instskip(SKIP_4) | instid1(VALU_DEP_2)
	v_cmp_lt_i32_e32 vcc_lo, 5, v7
	v_cndmask_b32_e64 v8, 0, 1, vcc_lo
	v_cmp_eq_u32_e32 vcc_lo, 3, v7
	v_cndmask_b32_e64 v7, 0, 1, vcc_lo
	v_cmp_ne_u32_e32 vcc_lo, 0, v2
	v_or_b32_e32 v7, v7, v8
	s_delay_alu instid0(VALU_DEP_1) | instskip(NEXT) | instid1(VALU_DEP_1)
	v_dual_mov_b32 v8, 0x7e00 :: v_dual_add_nc_u32 v3, v3, v7
	v_cndmask_b32_e32 v2, 0x7c00, v8, vcc_lo
	v_cmp_gt_i32_e32 vcc_lo, 31, v6
	v_lshrrev_b32_e32 v7, 16, v1
	s_delay_alu instid0(VALU_DEP_4) | instskip(SKIP_1) | instid1(VALU_DEP_2)
	v_cndmask_b32_e32 v3, 0x7c00, v3, vcc_lo
	v_cmp_eq_u32_e32 vcc_lo, 0x40f, v6
	v_cndmask_b32_e32 v2, v3, v2, vcc_lo
	s_delay_alu instid0(VALU_DEP_4) | instskip(NEXT) | instid1(VALU_DEP_1)
	v_and_b32_e32 v3, 0x8000, v7
	v_bitop3_b32 v2, v3, 0xffff, v2 bitop3:0xc8
	global_store_b32 v[4:5], v2, off
.LBB12_1182:
	s_mov_b32 s2, 0
.LBB12_1183:
	s_delay_alu instid0(SALU_CYCLE_1)
	s_and_not1_b32 vcc_lo, exec_lo, s2
	s_cbranch_vccnz .LBB12_1192
; %bb.1184:
	s_cmp_lt_i32 s1, 6
	s_mov_b32 s2, -1
	s_cbranch_scc1 .LBB12_1190
; %bb.1185:
	s_cmp_gt_i32 s1, 6
	s_cbranch_scc0 .LBB12_1187
; %bb.1186:
	s_mov_b32 s2, 0
	global_store_b64 v[4:5], v[0:1], off
.LBB12_1187:
	s_and_not1_b32 vcc_lo, exec_lo, s2
	s_cbranch_vccnz .LBB12_1189
; %bb.1188:
	s_wait_xcnt 0x0
	v_cvt_f32_f64_e32 v2, v[0:1]
	global_store_b32 v[4:5], v2, off
.LBB12_1189:
	s_mov_b32 s2, 0
.LBB12_1190:
	s_delay_alu instid0(SALU_CYCLE_1)
	s_and_not1_b32 vcc_lo, exec_lo, s2
	s_cbranch_vccnz .LBB12_1192
; %bb.1191:
	s_wait_xcnt 0x0
	v_and_or_b32 v2, 0x1ff, v1, v0
	v_lshrrev_b32_e32 v3, 8, v1
	v_bfe_u32 v6, v1, 20, 11
	s_delay_alu instid0(VALU_DEP_3) | instskip(NEXT) | instid1(VALU_DEP_2)
	v_cmp_ne_u32_e32 vcc_lo, 0, v2
	v_sub_nc_u32_e32 v7, 0x3f1, v6
	v_cndmask_b32_e64 v2, 0, 1, vcc_lo
	s_delay_alu instid0(VALU_DEP_1) | instskip(NEXT) | instid1(VALU_DEP_3)
	v_and_or_b32 v2, 0xffe, v3, v2
	v_med3_i32 v3, v7, 0, 13
	s_delay_alu instid0(VALU_DEP_2) | instskip(NEXT) | instid1(VALU_DEP_1)
	v_or_b32_e32 v7, 0x1000, v2
	v_lshrrev_b32_e32 v8, v3, v7
	s_delay_alu instid0(VALU_DEP_1) | instskip(NEXT) | instid1(VALU_DEP_1)
	v_lshlrev_b32_e32 v3, v3, v8
	v_cmp_ne_u32_e32 vcc_lo, v3, v7
	v_cndmask_b32_e64 v3, 0, 1, vcc_lo
	s_delay_alu instid0(VALU_DEP_1) | instskip(SKIP_1) | instid1(VALU_DEP_1)
	v_or_b32_e32 v3, v8, v3
	v_add_nc_u32_e32 v6, 0xfffffc10, v6
	v_lshl_or_b32 v7, v6, 12, v2
	v_cmp_gt_i32_e32 vcc_lo, 1, v6
	s_delay_alu instid0(VALU_DEP_2) | instskip(NEXT) | instid1(VALU_DEP_1)
	v_cndmask_b32_e32 v3, v7, v3, vcc_lo
	v_dual_lshrrev_b32 v3, 2, v3 :: v_dual_bitop2_b32 v7, 7, v3 bitop3:0x40
	s_delay_alu instid0(VALU_DEP_1) | instskip(SKIP_4) | instid1(VALU_DEP_2)
	v_cmp_lt_i32_e32 vcc_lo, 5, v7
	v_cndmask_b32_e64 v8, 0, 1, vcc_lo
	v_cmp_eq_u32_e32 vcc_lo, 3, v7
	v_cndmask_b32_e64 v7, 0, 1, vcc_lo
	v_cmp_ne_u32_e32 vcc_lo, 0, v2
	v_or_b32_e32 v7, v7, v8
	s_delay_alu instid0(VALU_DEP_1) | instskip(NEXT) | instid1(VALU_DEP_1)
	v_dual_mov_b32 v8, 0x7e00 :: v_dual_add_nc_u32 v3, v3, v7
	v_cndmask_b32_e32 v2, 0x7c00, v8, vcc_lo
	v_cmp_gt_i32_e32 vcc_lo, 31, v6
	s_delay_alu instid0(VALU_DEP_3) | instskip(SKIP_1) | instid1(VALU_DEP_2)
	v_cndmask_b32_e32 v3, 0x7c00, v3, vcc_lo
	v_cmp_eq_u32_e32 vcc_lo, 0x40f, v6
	v_dual_cndmask_b32 v2, v3, v2 :: v_dual_lshrrev_b32 v3, 16, v1
	s_delay_alu instid0(VALU_DEP_1)
	v_and_or_b32 v2, 0x8000, v3, v2
	global_store_b16 v[4:5], v2, off
.LBB12_1192:
	s_mov_b32 s2, 0
.LBB12_1193:
	s_delay_alu instid0(SALU_CYCLE_1)
	s_and_not1_b32 vcc_lo, exec_lo, s2
	s_cbranch_vccnz .LBB12_1209
; %bb.1194:
	s_cmp_lt_i32 s1, 2
	s_mov_b32 s2, -1
	s_cbranch_scc1 .LBB12_1204
; %bb.1195:
	s_cmp_lt_i32 s1, 3
	s_cbranch_scc1 .LBB12_1201
; %bb.1196:
	s_cmp_gt_i32 s1, 3
	s_cbranch_scc0 .LBB12_1198
; %bb.1197:
	s_wait_xcnt 0x0
	v_trunc_f64_e32 v[2:3], v[0:1]
	s_mov_b32 s2, 0
	s_delay_alu instid0(VALU_DEP_1) | instskip(NEXT) | instid1(VALU_DEP_1)
	v_ldexp_f64 v[6:7], v[2:3], 0xffffffe0
	v_floor_f64_e32 v[6:7], v[6:7]
	s_delay_alu instid0(VALU_DEP_1) | instskip(SKIP_1) | instid1(VALU_DEP_2)
	v_fmamk_f64 v[2:3], v[6:7], 0xc1f00000, v[2:3]
	v_cvt_i32_f64_e32 v7, v[6:7]
	v_cvt_u32_f64_e32 v6, v[2:3]
	global_store_b64 v[4:5], v[6:7], off
.LBB12_1198:
	s_and_not1_b32 vcc_lo, exec_lo, s2
	s_cbranch_vccnz .LBB12_1200
; %bb.1199:
	s_wait_xcnt 0x0
	v_cvt_i32_f64_e32 v2, v[0:1]
	global_store_b32 v[4:5], v2, off
.LBB12_1200:
	s_mov_b32 s2, 0
.LBB12_1201:
	s_delay_alu instid0(SALU_CYCLE_1)
	s_and_not1_b32 vcc_lo, exec_lo, s2
	s_cbranch_vccnz .LBB12_1203
; %bb.1202:
	s_wait_xcnt 0x0
	v_cvt_i32_f64_e32 v2, v[0:1]
	global_store_b16 v[4:5], v2, off
.LBB12_1203:
	s_mov_b32 s2, 0
.LBB12_1204:
	s_delay_alu instid0(SALU_CYCLE_1)
	s_and_not1_b32 vcc_lo, exec_lo, s2
	s_cbranch_vccnz .LBB12_1209
; %bb.1205:
	s_cmp_gt_i32 s1, 0
	s_mov_b32 s1, -1
	s_cbranch_scc0 .LBB12_1207
; %bb.1206:
	s_wait_xcnt 0x0
	v_cvt_i32_f64_e32 v2, v[0:1]
	s_mov_b32 s1, 0
	global_store_b8 v[4:5], v2, off
.LBB12_1207:
	s_and_not1_b32 vcc_lo, exec_lo, s1
	s_cbranch_vccnz .LBB12_1209
; %bb.1208:
	s_wait_xcnt 0x0
	v_trunc_f64_e32 v[0:1], v[0:1]
	s_delay_alu instid0(VALU_DEP_1) | instskip(NEXT) | instid1(VALU_DEP_1)
	v_ldexp_f64 v[2:3], v[0:1], 0xffffffe0
	v_floor_f64_e32 v[2:3], v[2:3]
	s_delay_alu instid0(VALU_DEP_1) | instskip(NEXT) | instid1(VALU_DEP_1)
	v_fmamk_f64 v[0:1], v[2:3], 0xc1f00000, v[0:1]
	v_cvt_u32_f64_e32 v0, v[0:1]
	global_store_b8 v[4:5], v0, off
.LBB12_1209:
	s_mov_b32 s3, -1
.LBB12_1210:
	s_delay_alu instid0(SALU_CYCLE_1)
	s_and_not1_b32 vcc_lo, exec_lo, s3
	s_cbranch_vccnz .LBB12_1212
; %bb.1211:
	v_add_nc_u32_e32 v46, 0x80, v46
	s_mov_b32 s1, -1
	s_branch .LBB12_1214
.LBB12_1212:
	s_mov_b32 s1, 0
.LBB12_1213:
                                        ; implicit-def: $vgpr46
.LBB12_1214:
	s_and_not1_b32 s2, s78, exec_lo
	s_and_b32 s0, s0, exec_lo
	s_and_not1_b32 s5, s77, exec_lo
	s_or_b32 s3, s2, s0
	s_and_not1_b32 s0, s79, exec_lo
	s_and_b32 s2, s83, exec_lo
	s_and_b32 s6, s82, exec_lo
	s_or_b32 s4, s0, s2
	s_or_b32 s2, s5, s6
	s_or_not1_b32 s8, s1, exec_lo
.LBB12_1215:
	s_wait_xcnt 0x0
	s_or_b32 exec_lo, exec_lo, s81
	s_mov_b32 s6, 0
	s_mov_b32 s7, 0
	s_mov_b32 s1, 0
                                        ; implicit-def: $sgpr0
                                        ; implicit-def: $vgpr2_vgpr3
                                        ; implicit-def: $vgpr0
                                        ; implicit-def: $vgpr56
                                        ; implicit-def: $vgpr42_vgpr43
	s_and_saveexec_b32 s5, s8
	s_cbranch_execz .LBB12_1310
; %bb.1216:
	s_mov_b32 s8, 0
	s_mov_b32 s10, s2
	;; [unrolled: 1-line block ×3, first 2 shown]
	s_mov_b32 s6, exec_lo
                                        ; implicit-def: $sgpr0
                                        ; implicit-def: $vgpr2_vgpr3
                                        ; implicit-def: $vgpr0
                                        ; implicit-def: $vgpr56
                                        ; implicit-def: $vgpr42_vgpr43
	v_cmpx_gt_i32_e64 s72, v46
	s_cbranch_execz .LBB12_1309
; %bb.1217:
	s_and_not1_b32 vcc_lo, exec_lo, s65
	s_cbranch_vccnz .LBB12_1223
; %bb.1218:
	s_and_not1_b32 vcc_lo, exec_lo, s73
	s_cbranch_vccnz .LBB12_1224
; %bb.1219:
	v_dual_mov_b32 v56, 0 :: v_dual_mov_b32 v1, v46
	v_dual_mov_b32 v2, 0 :: v_dual_mov_b32 v0, 0
	s_add_co_i32 s7, s71, 1
	s_mov_b64 s[0:1], 0xffffffffffffffe8
	s_and_b32 s7, s7, 30
	s_add_nc_u64 s[0:1], s[34:35], s[0:1]
.LBB12_1220:                            ; =>This Inner Loop Header: Depth=1
	s_clause 0x1
	s_load_b128 s[8:11], s[0:1], 0x1c
	s_load_b64 s[16:17], s[0:1], 0x2c
	s_add_co_i32 s7, s7, -2
	s_delay_alu instid0(SALU_CYCLE_1) | instskip(SKIP_2) | instid1(VALU_DEP_1)
	s_cmp_eq_u32 s7, 0
	s_wait_kmcnt 0x0
	v_mul_hi_u32 v3, s9, v1
	v_add_nc_u32_e32 v3, v1, v3
	s_delay_alu instid0(VALU_DEP_1) | instskip(NEXT) | instid1(VALU_DEP_1)
	v_lshrrev_b32_e32 v3, s10, v3
	v_mul_hi_u32 v4, s16, v3
	v_mul_lo_u32 v5, v3, s8
	s_clause 0x1
	s_load_b128 s[12:15], s[0:1], 0xdc
	s_load_b64 s[8:9], s[0:1], 0xec
	s_wait_xcnt 0x0
	s_add_nc_u64 s[0:1], s[0:1], 24
	s_delay_alu instid0(VALU_DEP_1) | instskip(NEXT) | instid1(VALU_DEP_1)
	v_dual_add_nc_u32 v4, v3, v4 :: v_dual_sub_nc_u32 v5, v1, v5
	v_lshrrev_b32_e32 v1, s17, v4
	s_wait_kmcnt 0x0
	s_delay_alu instid0(VALU_DEP_2) | instskip(NEXT) | instid1(VALU_DEP_2)
	v_mad_u32 v6, v5, s12, v56
	v_mul_lo_u32 v4, v1, s11
	v_mad_u32 v0, v5, s14, v0
	v_mad_u32 v2, v5, s13, v2
	s_delay_alu instid0(VALU_DEP_3) | instskip(NEXT) | instid1(VALU_DEP_1)
	v_sub_nc_u32_e32 v3, v3, v4
	v_mad_u32 v56, v3, s15, v6
	s_delay_alu instid0(VALU_DEP_4) | instskip(NEXT) | instid1(VALU_DEP_4)
	v_mad_u32 v0, v3, s9, v0
	v_mad_u32 v2, v3, s8, v2
	s_cbranch_scc0 .LBB12_1220
; %bb.1221:
	s_bitcmp1_b32 s71, 0
	s_cselect_b32 s7, -1, 0
	s_delay_alu instid0(SALU_CYCLE_1)
	s_and_b32 vcc_lo, exec_lo, s7
	s_cbranch_vccnz .LBB12_1225
; %bb.1222:
	s_clause 0x1
	s_load_b96 s[8:10], s[0:1], 0x1c
	s_load_b96 s[12:14], s[0:1], 0xdc
	s_wait_kmcnt 0x0
	v_mul_hi_u32 v3, s9, v1
	s_delay_alu instid0(VALU_DEP_1) | instskip(NEXT) | instid1(VALU_DEP_1)
	v_add_nc_u32_e32 v3, v1, v3
	v_lshrrev_b32_e32 v3, s10, v3
	s_delay_alu instid0(VALU_DEP_1) | instskip(NEXT) | instid1(VALU_DEP_1)
	v_mul_lo_u32 v3, v3, s8
	v_sub_nc_u32_e32 v1, v1, v3
	s_delay_alu instid0(VALU_DEP_1)
	v_mad_u32 v56, v1, s12, v56
	v_mad_u32 v2, v1, s13, v2
	;; [unrolled: 1-line block ×3, first 2 shown]
	s_branch .LBB12_1225
.LBB12_1223:
	s_mov_b32 s0, -1
                                        ; implicit-def: $vgpr0
                                        ; implicit-def: $vgpr2
                                        ; implicit-def: $vgpr56
	s_branch .LBB12_1226
.LBB12_1224:
	v_dual_mov_b32 v0, 0 :: v_dual_mov_b32 v2, 0
	v_mov_b32_e32 v56, 0
.LBB12_1225:
	s_mov_b32 s0, 0
.LBB12_1226:
	s_delay_alu instid0(SALU_CYCLE_1)
	s_and_not1_b32 vcc_lo, exec_lo, s0
	s_cbranch_vccnz .LBB12_1229
; %bb.1227:
	v_mov_b32_e32 v47, 0
	s_and_not1_b32 vcc_lo, exec_lo, s70
	s_delay_alu instid0(VALU_DEP_1) | instskip(NEXT) | instid1(VALU_DEP_1)
	v_mul_u64_e32 v[0:1], s[54:55], v[46:47]
	v_add_nc_u32_e32 v0, v46, v1
	s_delay_alu instid0(VALU_DEP_1) | instskip(NEXT) | instid1(VALU_DEP_1)
	v_lshrrev_b32_e32 v4, s46, v0
	v_mul_lo_u32 v0, v4, s44
	s_delay_alu instid0(VALU_DEP_1) | instskip(NEXT) | instid1(VALU_DEP_1)
	v_sub_nc_u32_e32 v1, v46, v0
	v_mul_lo_u32 v56, v1, s48
	v_mul_lo_u32 v0, v1, s50
	v_mul_lo_u32 v2, v1, s49
	s_cbranch_vccnz .LBB12_1229
; %bb.1228:
	v_mov_b32_e32 v5, v47
	s_delay_alu instid0(VALU_DEP_1) | instskip(NEXT) | instid1(VALU_DEP_1)
	v_mul_u64_e32 v[6:7], s[60:61], v[4:5]
	v_add_nc_u32_e32 v1, v4, v7
	s_delay_alu instid0(VALU_DEP_1) | instskip(NEXT) | instid1(VALU_DEP_1)
	v_lshrrev_b32_e32 v1, s59, v1
	v_mul_lo_u32 v1, v1, s47
	s_delay_alu instid0(VALU_DEP_1) | instskip(NEXT) | instid1(VALU_DEP_1)
	v_sub_nc_u32_e32 v1, v4, v1
	v_mad_u32 v56, v1, s51, v56
	v_mad_u32 v2, v1, s56, v2
	;; [unrolled: 1-line block ×3, first 2 shown]
.LBB12_1229:
	v_mov_b32_e32 v3, 0
	s_and_b32 s0, s69, 0xff
	s_delay_alu instid0(SALU_CYCLE_1) | instskip(NEXT) | instid1(VALU_DEP_1)
	s_cmp_lt_i32 s0, 11
	v_add_nc_u64_e32 v[2:3], s[38:39], v[2:3]
	s_cbranch_scc1 .LBB12_1236
; %bb.1230:
	s_and_b32 s1, 0xffff, s0
	s_mov_b32 s8, 0
	s_cmp_gt_i32 s1, 25
	s_cbranch_scc0 .LBB12_1237
; %bb.1231:
	s_cmp_gt_i32 s1, 28
	s_cbranch_scc0 .LBB12_1238
; %bb.1232:
	;; [unrolled: 3-line block ×4, first 2 shown]
	s_cmp_eq_u32 s1, 46
	s_mov_b32 s10, 0
	s_cbranch_scc0 .LBB12_1243
; %bb.1235:
	global_load_b32 v1, v[2:3], off
	s_mov_b32 s7, 0
	s_mov_b32 s9, -1
	s_wait_loadcnt 0x0
	v_lshlrev_b32_e32 v1, 16, v1
	s_delay_alu instid0(VALU_DEP_1)
	v_cvt_f64_f32_e32 v[42:43], v1
	s_branch .LBB12_1245
.LBB12_1236:
	s_mov_b32 s10, -1
	s_mov_b32 s9, 0
	s_mov_b32 s8, 0
	;; [unrolled: 1-line block ×3, first 2 shown]
                                        ; implicit-def: $vgpr42_vgpr43
	s_branch .LBB12_1308
.LBB12_1237:
	s_mov_b32 s10, -1
	s_mov_b32 s9, 0
	s_mov_b32 s7, s2
                                        ; implicit-def: $vgpr42_vgpr43
	s_branch .LBB12_1274
.LBB12_1238:
	s_mov_b32 s10, -1
	s_mov_b32 s9, 0
	s_mov_b32 s7, s2
                                        ; implicit-def: $vgpr42_vgpr43
	s_branch .LBB12_1255
.LBB12_1239:
	s_mov_b32 s10, -1
	s_mov_b32 s9, 0
	s_mov_b32 s7, s2
                                        ; implicit-def: $vgpr42_vgpr43
	s_branch .LBB12_1250
.LBB12_1240:
	s_mov_b32 s10, -1
	s_mov_b32 s9, 0
	s_mov_b32 s7, s2
	s_branch .LBB12_1244
.LBB12_1241:
	s_and_not1_saveexec_b32 s5, s5
	s_cbranch_execz .LBB12_1123
.LBB12_1242:
	v_add_f32_e64 v3, 0x46000000, |v2|
	s_and_not1_b32 s4, s4, exec_lo
	s_delay_alu instid0(VALU_DEP_1) | instskip(NEXT) | instid1(VALU_DEP_1)
	v_and_b32_e32 v3, 0xff, v3
	v_cmp_ne_u32_e32 vcc_lo, 0, v3
	s_and_b32 s6, vcc_lo, exec_lo
	s_delay_alu instid0(SALU_CYCLE_1)
	s_or_b32 s4, s4, s6
	s_or_b32 exec_lo, exec_lo, s5
	v_mov_b32_e32 v6, 0
	s_and_saveexec_b32 s5, s4
	s_cbranch_execnz .LBB12_1124
	s_branch .LBB12_1125
.LBB12_1243:
	s_mov_b32 s7, -1
	s_mov_b32 s9, 0
.LBB12_1244:
                                        ; implicit-def: $vgpr42_vgpr43
.LBB12_1245:
	s_and_b32 vcc_lo, exec_lo, s10
	s_cbranch_vccz .LBB12_1249
; %bb.1246:
	s_cmp_eq_u32 s1, 44
	s_cbranch_scc0 .LBB12_1248
; %bb.1247:
	global_load_u8 v1, v[2:3], off
	s_mov_b32 s7, 0
	s_mov_b32 s9, -1
	s_wait_loadcnt 0x0
	v_lshlrev_b32_e32 v4, 23, v1
	v_cmp_ne_u32_e32 vcc_lo, 0xff, v1
	s_delay_alu instid0(VALU_DEP_2) | instskip(NEXT) | instid1(VALU_DEP_1)
	v_cvt_f64_f32_e32 v[4:5], v4
	v_cndmask_b32_e32 v4, 0x20000000, v4, vcc_lo
	s_delay_alu instid0(VALU_DEP_2) | instskip(SKIP_1) | instid1(VALU_DEP_2)
	v_cndmask_b32_e32 v5, 0x7ff80000, v5, vcc_lo
	v_cmp_ne_u32_e32 vcc_lo, 0, v1
	v_cndmask_b32_e32 v43, 0x38000000, v5, vcc_lo
	s_delay_alu instid0(VALU_DEP_4)
	v_cndmask_b32_e32 v42, 0, v4, vcc_lo
	s_branch .LBB12_1249
.LBB12_1248:
	s_mov_b32 s7, -1
                                        ; implicit-def: $vgpr42_vgpr43
.LBB12_1249:
	s_mov_b32 s10, 0
.LBB12_1250:
	s_delay_alu instid0(SALU_CYCLE_1)
	s_and_b32 vcc_lo, exec_lo, s10
	s_cbranch_vccz .LBB12_1254
; %bb.1251:
	s_cmp_eq_u32 s1, 29
	s_cbranch_scc0 .LBB12_1253
; %bb.1252:
	global_load_b64 v[4:5], v[2:3], off
	s_mov_b32 s7, 0
	s_mov_b32 s9, -1
	s_mov_b32 s10, 0
	s_wait_loadcnt 0x0
	v_cvt_f64_u32_e32 v[6:7], v5
	v_cvt_f64_u32_e32 v[4:5], v4
	s_delay_alu instid0(VALU_DEP_2) | instskip(NEXT) | instid1(VALU_DEP_1)
	v_ldexp_f64 v[6:7], v[6:7], 32
	v_add_f64_e32 v[42:43], v[6:7], v[4:5]
	s_branch .LBB12_1255
.LBB12_1253:
	s_mov_b32 s7, -1
                                        ; implicit-def: $vgpr42_vgpr43
.LBB12_1254:
	s_mov_b32 s10, 0
.LBB12_1255:
	s_delay_alu instid0(SALU_CYCLE_1)
	s_and_b32 vcc_lo, exec_lo, s10
	s_cbranch_vccz .LBB12_1273
; %bb.1256:
	s_cmp_lt_i32 s1, 27
	s_cbranch_scc1 .LBB12_1259
; %bb.1257:
	s_cmp_gt_i32 s1, 27
	s_cbranch_scc0 .LBB12_1260
; %bb.1258:
	global_load_b32 v1, v[2:3], off
	s_mov_b32 s9, 0
	s_wait_loadcnt 0x0
	v_cvt_f64_u32_e32 v[42:43], v1
	s_branch .LBB12_1261
.LBB12_1259:
	s_mov_b32 s9, -1
                                        ; implicit-def: $vgpr42_vgpr43
	s_branch .LBB12_1264
.LBB12_1260:
	s_mov_b32 s9, -1
                                        ; implicit-def: $vgpr42_vgpr43
.LBB12_1261:
	s_delay_alu instid0(SALU_CYCLE_1)
	s_and_not1_b32 vcc_lo, exec_lo, s9
	s_cbranch_vccnz .LBB12_1263
; %bb.1262:
	global_load_u16 v1, v[2:3], off
	s_wait_loadcnt 0x0
	v_cvt_f64_u32_e32 v[42:43], v1
.LBB12_1263:
	s_mov_b32 s9, 0
.LBB12_1264:
	s_delay_alu instid0(SALU_CYCLE_1)
	s_and_not1_b32 vcc_lo, exec_lo, s9
	s_cbranch_vccnz .LBB12_1272
; %bb.1265:
	global_load_u8 v1, v[2:3], off
	s_mov_b32 s9, 0
	s_mov_b32 s10, exec_lo
	s_wait_loadcnt 0x0
	v_cmpx_lt_i16_e32 0x7f, v1
	s_xor_b32 s10, exec_lo, s10
	s_cbranch_execz .LBB12_1286
; %bb.1266:
	s_mov_b32 s9, -1
	s_mov_b32 s11, exec_lo
	v_cmpx_eq_u16_e32 0x80, v1
; %bb.1267:
	s_xor_b32 s9, exec_lo, -1
; %bb.1268:
	s_or_b32 exec_lo, exec_lo, s11
	s_delay_alu instid0(SALU_CYCLE_1)
	s_and_b32 s9, s9, exec_lo
	s_or_saveexec_b32 s10, s10
	v_mov_b64_e32 v[42:43], 0x7ff8000020000000
	s_xor_b32 exec_lo, exec_lo, s10
	s_cbranch_execnz .LBB12_1287
.LBB12_1269:
	s_or_b32 exec_lo, exec_lo, s10
	s_and_saveexec_b32 s10, s9
	s_cbranch_execz .LBB12_1271
.LBB12_1270:
	v_and_b32_e32 v4, 0xffff, v1
	s_delay_alu instid0(VALU_DEP_1) | instskip(SKIP_1) | instid1(VALU_DEP_2)
	v_and_b32_e32 v5, 7, v4
	v_bfe_u32 v8, v4, 3, 4
	v_clz_i32_u32_e32 v6, v5
	s_delay_alu instid0(VALU_DEP_2) | instskip(NEXT) | instid1(VALU_DEP_2)
	v_cmp_eq_u32_e32 vcc_lo, 0, v8
	v_min_u32_e32 v6, 32, v6
	s_delay_alu instid0(VALU_DEP_1) | instskip(NEXT) | instid1(VALU_DEP_1)
	v_subrev_nc_u32_e32 v7, 28, v6
	v_dual_lshlrev_b32 v4, v7, v4 :: v_dual_sub_nc_u32 v6, 29, v6
	s_delay_alu instid0(VALU_DEP_1) | instskip(NEXT) | instid1(VALU_DEP_1)
	v_dual_lshlrev_b32 v1, 24, v1 :: v_dual_bitop2_b32 v4, 7, v4 bitop3:0x40
	v_dual_cndmask_b32 v6, v8, v6, vcc_lo :: v_dual_cndmask_b32 v4, v5, v4, vcc_lo
	s_delay_alu instid0(VALU_DEP_2) | instskip(NEXT) | instid1(VALU_DEP_2)
	v_and_b32_e32 v1, 0x80000000, v1
	v_lshl_add_u32 v5, v6, 23, 0x3b800000
	s_delay_alu instid0(VALU_DEP_3) | instskip(NEXT) | instid1(VALU_DEP_1)
	v_lshlrev_b32_e32 v4, 20, v4
	v_or3_b32 v1, v1, v5, v4
	s_delay_alu instid0(VALU_DEP_1)
	v_cvt_f64_f32_e32 v[42:43], v1
.LBB12_1271:
	s_or_b32 exec_lo, exec_lo, s10
.LBB12_1272:
	s_mov_b32 s9, -1
.LBB12_1273:
	s_mov_b32 s10, 0
.LBB12_1274:
	s_delay_alu instid0(SALU_CYCLE_1)
	s_and_b32 vcc_lo, exec_lo, s10
	s_cbranch_vccz .LBB12_1307
; %bb.1275:
	s_cmp_gt_i32 s1, 22
	s_cbranch_scc0 .LBB12_1285
; %bb.1276:
	s_cmp_lt_i32 s1, 24
	s_cbranch_scc1 .LBB12_1288
; %bb.1277:
	s_cmp_gt_i32 s1, 24
	s_cbranch_scc0 .LBB12_1289
; %bb.1278:
	global_load_u8 v1, v[2:3], off
	s_mov_b32 s9, exec_lo
	s_wait_loadcnt 0x0
	v_cmpx_lt_i16_e32 0x7f, v1
	s_xor_b32 s9, exec_lo, s9
	s_cbranch_execz .LBB12_1301
; %bb.1279:
	s_mov_b32 s8, -1
	s_mov_b32 s10, exec_lo
	v_cmpx_eq_u16_e32 0x80, v1
; %bb.1280:
	s_xor_b32 s8, exec_lo, -1
; %bb.1281:
	s_or_b32 exec_lo, exec_lo, s10
	s_delay_alu instid0(SALU_CYCLE_1)
	s_and_b32 s8, s8, exec_lo
	s_or_saveexec_b32 s9, s9
	v_mov_b64_e32 v[42:43], 0x7ff8000020000000
	s_xor_b32 exec_lo, exec_lo, s9
	s_cbranch_execnz .LBB12_1302
.LBB12_1282:
	s_or_b32 exec_lo, exec_lo, s9
	s_and_saveexec_b32 s9, s8
	s_cbranch_execz .LBB12_1284
.LBB12_1283:
	v_and_b32_e32 v4, 0xffff, v1
	s_delay_alu instid0(VALU_DEP_1) | instskip(SKIP_1) | instid1(VALU_DEP_2)
	v_and_b32_e32 v5, 3, v4
	v_bfe_u32 v8, v4, 2, 5
	v_clz_i32_u32_e32 v6, v5
	s_delay_alu instid0(VALU_DEP_2) | instskip(NEXT) | instid1(VALU_DEP_2)
	v_cmp_eq_u32_e32 vcc_lo, 0, v8
	v_min_u32_e32 v6, 32, v6
	s_delay_alu instid0(VALU_DEP_1) | instskip(NEXT) | instid1(VALU_DEP_1)
	v_subrev_nc_u32_e32 v7, 29, v6
	v_dual_lshlrev_b32 v4, v7, v4 :: v_dual_sub_nc_u32 v6, 30, v6
	s_delay_alu instid0(VALU_DEP_1) | instskip(NEXT) | instid1(VALU_DEP_1)
	v_dual_lshlrev_b32 v1, 24, v1 :: v_dual_bitop2_b32 v4, 3, v4 bitop3:0x40
	v_dual_cndmask_b32 v6, v8, v6, vcc_lo :: v_dual_cndmask_b32 v4, v5, v4, vcc_lo
	s_delay_alu instid0(VALU_DEP_2) | instskip(NEXT) | instid1(VALU_DEP_2)
	v_and_b32_e32 v1, 0x80000000, v1
	v_lshl_add_u32 v5, v6, 23, 0x37800000
	s_delay_alu instid0(VALU_DEP_3) | instskip(NEXT) | instid1(VALU_DEP_1)
	v_lshlrev_b32_e32 v4, 21, v4
	v_or3_b32 v1, v1, v5, v4
	s_delay_alu instid0(VALU_DEP_1)
	v_cvt_f64_f32_e32 v[42:43], v1
.LBB12_1284:
	s_or_b32 exec_lo, exec_lo, s9
	s_mov_b32 s8, 0
	s_branch .LBB12_1290
.LBB12_1285:
	s_mov_b32 s8, -1
                                        ; implicit-def: $vgpr42_vgpr43
	s_branch .LBB12_1296
.LBB12_1286:
	s_or_saveexec_b32 s10, s10
	v_mov_b64_e32 v[42:43], 0x7ff8000020000000
	s_xor_b32 exec_lo, exec_lo, s10
	s_cbranch_execz .LBB12_1269
.LBB12_1287:
	v_cmp_ne_u16_e32 vcc_lo, 0, v1
	v_mov_b64_e32 v[42:43], 0
	s_and_not1_b32 s9, s9, exec_lo
	s_and_b32 s11, vcc_lo, exec_lo
	s_delay_alu instid0(SALU_CYCLE_1)
	s_or_b32 s9, s9, s11
	s_or_b32 exec_lo, exec_lo, s10
	s_and_saveexec_b32 s10, s9
	s_cbranch_execnz .LBB12_1270
	s_branch .LBB12_1271
.LBB12_1288:
	s_mov_b32 s8, -1
                                        ; implicit-def: $vgpr42_vgpr43
	s_branch .LBB12_1293
.LBB12_1289:
	s_mov_b32 s8, -1
                                        ; implicit-def: $vgpr42_vgpr43
.LBB12_1290:
	s_delay_alu instid0(SALU_CYCLE_1)
	s_and_b32 vcc_lo, exec_lo, s8
	s_cbranch_vccz .LBB12_1292
; %bb.1291:
	global_load_u8 v1, v[2:3], off
	s_wait_loadcnt 0x0
	v_lshlrev_b32_e32 v1, 24, v1
	s_delay_alu instid0(VALU_DEP_1) | instskip(NEXT) | instid1(VALU_DEP_1)
	v_and_b32_e32 v4, 0x7f000000, v1
	v_clz_i32_u32_e32 v5, v4
	v_cmp_ne_u32_e32 vcc_lo, 0, v4
	v_add_nc_u32_e32 v7, 0x1000000, v4
	s_delay_alu instid0(VALU_DEP_3) | instskip(NEXT) | instid1(VALU_DEP_1)
	v_min_u32_e32 v5, 32, v5
	v_sub_nc_u32_e64 v5, v5, 4 clamp
	s_delay_alu instid0(VALU_DEP_1) | instskip(NEXT) | instid1(VALU_DEP_1)
	v_dual_lshlrev_b32 v6, v5, v4 :: v_dual_lshlrev_b32 v5, 23, v5
	v_lshrrev_b32_e32 v6, 4, v6
	s_delay_alu instid0(VALU_DEP_1) | instskip(NEXT) | instid1(VALU_DEP_1)
	v_dual_sub_nc_u32 v5, v6, v5 :: v_dual_ashrrev_i32 v6, 8, v7
	v_add_nc_u32_e32 v5, 0x3c000000, v5
	s_delay_alu instid0(VALU_DEP_1) | instskip(NEXT) | instid1(VALU_DEP_1)
	v_and_or_b32 v5, 0x7f800000, v6, v5
	v_cndmask_b32_e32 v4, 0, v5, vcc_lo
	s_delay_alu instid0(VALU_DEP_1) | instskip(NEXT) | instid1(VALU_DEP_1)
	v_and_or_b32 v1, 0x80000000, v1, v4
	v_cvt_f64_f32_e32 v[42:43], v1
.LBB12_1292:
	s_mov_b32 s8, 0
.LBB12_1293:
	s_delay_alu instid0(SALU_CYCLE_1)
	s_and_not1_b32 vcc_lo, exec_lo, s8
	s_cbranch_vccnz .LBB12_1295
; %bb.1294:
	global_load_u8 v1, v[2:3], off
	s_wait_loadcnt 0x0
	v_lshlrev_b32_e32 v4, 25, v1
	v_lshlrev_b16 v1, 8, v1
	s_delay_alu instid0(VALU_DEP_1) | instskip(SKIP_1) | instid1(VALU_DEP_2)
	v_and_or_b32 v6, 0x7f00, v1, 0.5
	v_bfe_i32 v1, v1, 0, 16
	v_dual_add_f32 v6, -0.5, v6 :: v_dual_lshrrev_b32 v5, 4, v4
	v_cmp_gt_u32_e32 vcc_lo, 0x8000000, v4
	s_delay_alu instid0(VALU_DEP_2) | instskip(NEXT) | instid1(VALU_DEP_1)
	v_or_b32_e32 v5, 0x70000000, v5
	v_mul_f32_e32 v5, 0x7800000, v5
	s_delay_alu instid0(VALU_DEP_1) | instskip(NEXT) | instid1(VALU_DEP_1)
	v_cndmask_b32_e32 v4, v5, v6, vcc_lo
	v_and_or_b32 v1, 0x80000000, v1, v4
	s_delay_alu instid0(VALU_DEP_1)
	v_cvt_f64_f32_e32 v[42:43], v1
.LBB12_1295:
	s_mov_b32 s8, 0
	s_mov_b32 s9, -1
.LBB12_1296:
	s_and_not1_b32 vcc_lo, exec_lo, s8
	s_mov_b32 s8, 0
	s_cbranch_vccnz .LBB12_1307
; %bb.1297:
	s_cmp_gt_i32 s1, 14
	s_cbranch_scc0 .LBB12_1300
; %bb.1298:
	s_cmp_eq_u32 s1, 15
	s_cbranch_scc0 .LBB12_1303
; %bb.1299:
	global_load_u16 v1, v[2:3], off
	s_mov_b32 s7, 0
	s_mov_b32 s9, -1
	s_wait_loadcnt 0x0
	v_lshlrev_b32_e32 v1, 16, v1
	s_delay_alu instid0(VALU_DEP_1)
	v_cvt_f64_f32_e32 v[42:43], v1
	s_branch .LBB12_1305
.LBB12_1300:
	s_mov_b32 s8, -1
	s_branch .LBB12_1304
.LBB12_1301:
	s_or_saveexec_b32 s9, s9
	v_mov_b64_e32 v[42:43], 0x7ff8000020000000
	s_xor_b32 exec_lo, exec_lo, s9
	s_cbranch_execz .LBB12_1282
.LBB12_1302:
	v_cmp_ne_u16_e32 vcc_lo, 0, v1
	v_mov_b64_e32 v[42:43], 0
	s_and_not1_b32 s8, s8, exec_lo
	s_and_b32 s10, vcc_lo, exec_lo
	s_delay_alu instid0(SALU_CYCLE_1)
	s_or_b32 s8, s8, s10
	s_or_b32 exec_lo, exec_lo, s9
	s_and_saveexec_b32 s9, s8
	s_cbranch_execnz .LBB12_1283
	s_branch .LBB12_1284
.LBB12_1303:
	s_mov_b32 s7, -1
.LBB12_1304:
                                        ; implicit-def: $vgpr42_vgpr43
.LBB12_1305:
	s_and_b32 vcc_lo, exec_lo, s8
	s_mov_b32 s8, 0
	s_cbranch_vccz .LBB12_1307
; %bb.1306:
	s_cmp_lg_u32 s1, 11
	s_mov_b32 s8, -1
	s_cselect_b32 s1, -1, 0
	s_and_not1_b32 s7, s7, exec_lo
	s_and_b32 s1, s1, exec_lo
	s_delay_alu instid0(SALU_CYCLE_1)
	s_or_b32 s7, s7, s1
.LBB12_1307:
	s_mov_b32 s10, 0
.LBB12_1308:
	s_and_b32 s1, s9, exec_lo
	s_and_b32 s9, s10, exec_lo
	s_and_not1_b32 s10, s2, exec_lo
	s_and_b32 s7, s7, exec_lo
	s_and_b32 s8, s8, exec_lo
	s_or_b32 s10, s10, s7
.LBB12_1309:
	s_wait_xcnt 0x0
	s_or_b32 exec_lo, exec_lo, s6
	s_delay_alu instid0(SALU_CYCLE_1)
	s_and_b32 s7, s9, exec_lo
	s_and_not1_b32 s2, s2, exec_lo
	s_and_b32 s9, s10, exec_lo
	s_and_b32 s1, s1, exec_lo
	;; [unrolled: 1-line block ×3, first 2 shown]
	s_or_b32 s2, s2, s9
.LBB12_1310:
	s_or_b32 exec_lo, exec_lo, s5
	s_delay_alu instid0(SALU_CYCLE_1)
	s_and_not1_b32 s5, s78, exec_lo
	s_and_b32 s3, s3, exec_lo
	s_and_not1_b32 s8, s79, exec_lo
	s_and_b32 s4, s4, exec_lo
	s_or_b32 s78, s5, s3
	s_or_b32 s79, s8, s4
	s_and_not1_b32 s4, s77, exec_lo
	s_and_b32 s5, s2, exec_lo
	s_and_b32 s1, s1, exec_lo
	;; [unrolled: 1-line block ×4, first 2 shown]
	s_or_b32 s77, s4, s5
.LBB12_1311:
	s_or_b32 exec_lo, exec_lo, s80
	s_delay_alu instid0(SALU_CYCLE_1)
	s_and_not1_b32 s4, s58, exec_lo
	s_and_b32 s5, s78, exec_lo
	s_and_not1_b32 s6, s74, exec_lo
	s_and_b32 s7, s79, exec_lo
	s_or_b32 s58, s4, s5
	s_and_not1_b32 s4, s75, exec_lo
	s_and_b32 s5, s77, exec_lo
	s_or_b32 s74, s6, s7
	s_and_b32 s1, s1, exec_lo
	s_and_b32 s3, s3, exec_lo
	;; [unrolled: 1-line block ×3, first 2 shown]
	s_or_b32 s75, s4, s5
	s_or_b32 exec_lo, exec_lo, s76
	s_mov_b32 s38, 0
	s_and_saveexec_b32 s2, s75
	s_cbranch_execz .LBB12_407
.LBB12_1312:
	s_mov_b32 s38, exec_lo
	s_and_not1_b32 s55, s55, exec_lo
	s_trap 2
	s_or_b32 exec_lo, exec_lo, s2
	s_and_saveexec_b32 s2, s55
	s_delay_alu instid0(SALU_CYCLE_1)
	s_xor_b32 s2, exec_lo, s2
	s_cbranch_execnz .LBB12_408
.LBB12_1313:
	s_or_b32 exec_lo, exec_lo, s2
	s_and_saveexec_b32 s2, s3
	s_cbranch_execz .LBB12_1359
.LBB12_1314:
	s_sext_i32_i16 s3, s0
	s_delay_alu instid0(SALU_CYCLE_1)
	s_cmp_lt_i32 s3, 5
	s_cbranch_scc1 .LBB12_1319
; %bb.1315:
	s_cmp_lt_i32 s3, 8
	s_cbranch_scc1 .LBB12_1320
; %bb.1316:
	;; [unrolled: 3-line block ×3, first 2 shown]
	s_cmp_gt_i32 s3, 9
	s_cbranch_scc0 .LBB12_1322
; %bb.1318:
	s_wait_loadcnt 0x0
	global_load_b64 v[42:43], v[2:3], off
	s_mov_b32 s3, 0
	s_branch .LBB12_1323
.LBB12_1319:
                                        ; implicit-def: $vgpr42_vgpr43
	s_branch .LBB12_1340
.LBB12_1320:
                                        ; implicit-def: $vgpr42_vgpr43
	s_branch .LBB12_1329
.LBB12_1321:
	s_mov_b32 s3, -1
                                        ; implicit-def: $vgpr42_vgpr43
	s_branch .LBB12_1326
.LBB12_1322:
	s_mov_b32 s3, -1
                                        ; implicit-def: $vgpr42_vgpr43
.LBB12_1323:
	s_delay_alu instid0(SALU_CYCLE_1)
	s_and_not1_b32 vcc_lo, exec_lo, s3
	s_cbranch_vccnz .LBB12_1325
; %bb.1324:
	global_load_b32 v1, v[2:3], off
	s_wait_loadcnt 0x0
	v_cvt_f64_f32_e32 v[42:43], v1
.LBB12_1325:
	s_mov_b32 s3, 0
.LBB12_1326:
	s_delay_alu instid0(SALU_CYCLE_1)
	s_and_not1_b32 vcc_lo, exec_lo, s3
	s_cbranch_vccnz .LBB12_1328
; %bb.1327:
	global_load_b32 v1, v[2:3], off
	s_wait_loadcnt 0x0
	v_cvt_f32_f16_e32 v1, v1
	s_delay_alu instid0(VALU_DEP_1)
	v_cvt_f64_f32_e32 v[42:43], v1
.LBB12_1328:
	s_cbranch_execnz .LBB12_1339
.LBB12_1329:
	s_sext_i32_i16 s3, s0
	s_delay_alu instid0(SALU_CYCLE_1)
	s_cmp_lt_i32 s3, 6
	s_cbranch_scc1 .LBB12_1332
; %bb.1330:
	s_cmp_gt_i32 s3, 6
	s_cbranch_scc0 .LBB12_1333
; %bb.1331:
	s_wait_loadcnt 0x0
	global_load_b64 v[42:43], v[2:3], off
	s_mov_b32 s3, 0
	s_branch .LBB12_1334
.LBB12_1332:
	s_mov_b32 s3, -1
                                        ; implicit-def: $vgpr42_vgpr43
	s_branch .LBB12_1337
.LBB12_1333:
	s_mov_b32 s3, -1
                                        ; implicit-def: $vgpr42_vgpr43
.LBB12_1334:
	s_delay_alu instid0(SALU_CYCLE_1)
	s_and_not1_b32 vcc_lo, exec_lo, s3
	s_cbranch_vccnz .LBB12_1336
; %bb.1335:
	global_load_b32 v1, v[2:3], off
	s_wait_loadcnt 0x0
	v_cvt_f64_f32_e32 v[42:43], v1
.LBB12_1336:
	s_mov_b32 s3, 0
.LBB12_1337:
	s_delay_alu instid0(SALU_CYCLE_1)
	s_and_not1_b32 vcc_lo, exec_lo, s3
	s_cbranch_vccnz .LBB12_1339
; %bb.1338:
	global_load_u16 v1, v[2:3], off
	s_wait_loadcnt 0x0
	v_cvt_f32_f16_e32 v1, v1
	s_delay_alu instid0(VALU_DEP_1)
	v_cvt_f64_f32_e32 v[42:43], v1
.LBB12_1339:
	s_cbranch_execnz .LBB12_1358
.LBB12_1340:
	s_sext_i32_i16 s3, s0
	s_delay_alu instid0(SALU_CYCLE_1)
	s_cmp_lt_i32 s3, 2
	s_cbranch_scc1 .LBB12_1344
; %bb.1341:
	s_cmp_lt_i32 s3, 3
	s_cbranch_scc1 .LBB12_1345
; %bb.1342:
	s_cmp_gt_i32 s3, 3
	s_cbranch_scc0 .LBB12_1346
; %bb.1343:
	global_load_b64 v[4:5], v[2:3], off
	s_mov_b32 s3, 0
	s_wait_loadcnt 0x0
	v_cvt_f64_i32_e32 v[6:7], v5
	v_cvt_f64_u32_e32 v[4:5], v4
	s_delay_alu instid0(VALU_DEP_2) | instskip(NEXT) | instid1(VALU_DEP_1)
	v_ldexp_f64 v[6:7], v[6:7], 32
	v_add_f64_e32 v[42:43], v[6:7], v[4:5]
	s_branch .LBB12_1347
.LBB12_1344:
                                        ; implicit-def: $vgpr42_vgpr43
	s_branch .LBB12_1353
.LBB12_1345:
	s_mov_b32 s3, -1
                                        ; implicit-def: $vgpr42_vgpr43
	s_branch .LBB12_1350
.LBB12_1346:
	s_mov_b32 s3, -1
                                        ; implicit-def: $vgpr42_vgpr43
.LBB12_1347:
	s_delay_alu instid0(SALU_CYCLE_1)
	s_and_not1_b32 vcc_lo, exec_lo, s3
	s_cbranch_vccnz .LBB12_1349
; %bb.1348:
	global_load_b32 v1, v[2:3], off
	s_wait_loadcnt 0x0
	v_cvt_f64_i32_e32 v[42:43], v1
.LBB12_1349:
	s_mov_b32 s3, 0
.LBB12_1350:
	s_delay_alu instid0(SALU_CYCLE_1)
	s_and_not1_b32 vcc_lo, exec_lo, s3
	s_cbranch_vccnz .LBB12_1352
; %bb.1351:
	global_load_i16 v1, v[2:3], off
	s_wait_loadcnt 0x0
	v_cvt_f64_i32_e32 v[42:43], v1
.LBB12_1352:
	s_cbranch_execnz .LBB12_1358
.LBB12_1353:
	s_sext_i32_i16 s0, s0
	s_delay_alu instid0(SALU_CYCLE_1)
	s_cmp_gt_i32 s0, 0
	s_mov_b32 s0, 0
	s_cbranch_scc0 .LBB12_1355
; %bb.1354:
	global_load_i8 v1, v[2:3], off
	s_wait_loadcnt 0x0
	v_cvt_f64_i32_e32 v[42:43], v1
	s_branch .LBB12_1356
.LBB12_1355:
	s_mov_b32 s0, -1
                                        ; implicit-def: $vgpr42_vgpr43
.LBB12_1356:
	s_delay_alu instid0(SALU_CYCLE_1)
	s_and_not1_b32 vcc_lo, exec_lo, s0
	s_cbranch_vccnz .LBB12_1358
; %bb.1357:
	global_load_u8 v1, v[2:3], off
	s_wait_loadcnt 0x0
	v_cvt_f64_u32_e32 v[42:43], v1
.LBB12_1358:
	s_or_b32 s1, s1, exec_lo
.LBB12_1359:
	s_wait_xcnt 0x0
	s_or_b32 exec_lo, exec_lo, s2
	s_mov_b32 s2, 0
	s_mov_b32 s5, 0
	;; [unrolled: 1-line block ×3, first 2 shown]
                                        ; implicit-def: $vgpr2_vgpr3
                                        ; implicit-def: $vgpr44_vgpr45
	s_and_saveexec_b32 s0, s1
	s_cbranch_execz .LBB12_1367
; %bb.1360:
	v_mov_b32_e32 v1, 0
	s_and_b32 s1, 0xffff, s68
	s_delay_alu instid0(SALU_CYCLE_1) | instskip(NEXT) | instid1(VALU_DEP_1)
	s_cmp_lt_i32 s1, 11
	v_add_nc_u64_e32 v[2:3], s[52:53], v[0:1]
	s_cbranch_scc1 .LBB12_1370
; %bb.1361:
	s_cmp_gt_i32 s1, 25
	s_mov_b32 s3, 0
	s_cbranch_scc0 .LBB12_1371
; %bb.1362:
	s_cmp_gt_i32 s1, 28
	s_cbranch_scc0 .LBB12_1372
; %bb.1363:
	s_cmp_gt_i32 s1, 43
	;; [unrolled: 3-line block ×3, first 2 shown]
	s_cbranch_scc0 .LBB12_1374
; %bb.1365:
	s_cmp_eq_u32 s1, 46
	s_cbranch_scc0 .LBB12_1375
; %bb.1366:
	global_load_b32 v0, v[2:3], off
	s_mov_b32 s4, -1
	s_wait_loadcnt 0x0
	v_lshlrev_b32_e32 v0, 16, v0
	s_delay_alu instid0(VALU_DEP_1)
	v_cvt_f64_f32_e32 v[44:45], v0
	s_branch .LBB12_1377
.LBB12_1367:
	s_or_b32 exec_lo, exec_lo, s0
	s_and_saveexec_b32 s0, s74
	s_cbranch_execnz .LBB12_1440
.LBB12_1368:
	s_or_b32 exec_lo, exec_lo, s0
	s_and_saveexec_b32 s0, s2
	s_delay_alu instid0(SALU_CYCLE_1)
	s_xor_b32 s0, exec_lo, s0
	s_cbranch_execz .LBB12_1441
.LBB12_1369:
	global_load_u8 v0, v[2:3], off
	s_wait_loadcnt 0x1
	v_mov_b32_e32 v44, 0
	s_or_b32 s4, s4, exec_lo
	s_wait_loadcnt 0x0
	v_cmp_ne_u16_e32 vcc_lo, 0, v0
	v_cndmask_b32_e64 v45, 0, 0x3ff00000, vcc_lo
	s_wait_xcnt 0x0
	s_or_b32 exec_lo, exec_lo, s0
	s_and_saveexec_b32 s0, s5
	s_cbranch_execz .LBB12_1487
	s_branch .LBB12_1442
.LBB12_1370:
	s_mov_b32 s1, -1
	s_mov_b32 s3, 0
	s_mov_b32 s2, s74
                                        ; implicit-def: $vgpr44_vgpr45
	s_branch .LBB12_1439
.LBB12_1371:
	s_mov_b32 s2, s74
                                        ; implicit-def: $vgpr44_vgpr45
	s_cbranch_execnz .LBB12_1406
	s_branch .LBB12_1438
.LBB12_1372:
	s_mov_b32 s5, -1
	s_mov_b32 s2, s74
                                        ; implicit-def: $vgpr44_vgpr45
	s_branch .LBB12_1387
.LBB12_1373:
	s_mov_b32 s5, -1
	s_mov_b32 s2, s74
                                        ; implicit-def: $vgpr44_vgpr45
	s_branch .LBB12_1382
.LBB12_1374:
	s_mov_b32 s5, -1
	s_mov_b32 s2, s74
	s_branch .LBB12_1376
.LBB12_1375:
	s_mov_b32 s2, -1
.LBB12_1376:
                                        ; implicit-def: $vgpr44_vgpr45
.LBB12_1377:
	s_and_b32 vcc_lo, exec_lo, s5
	s_cbranch_vccz .LBB12_1381
; %bb.1378:
	s_cmp_eq_u32 s1, 44
	s_cbranch_scc0 .LBB12_1380
; %bb.1379:
	global_load_u8 v4, v[2:3], off
	s_mov_b32 s2, 0
	s_mov_b32 s4, -1
	s_wait_loadcnt 0x0
	v_cmp_ne_u32_e32 vcc_lo, 0xff, v4
	v_lshlrev_b32_e32 v0, 23, v4
	s_delay_alu instid0(VALU_DEP_1) | instskip(NEXT) | instid1(VALU_DEP_1)
	v_cvt_f64_f32_e32 v[0:1], v0
	v_cndmask_b32_e32 v0, 0x20000000, v0, vcc_lo
	s_delay_alu instid0(VALU_DEP_2) | instskip(SKIP_1) | instid1(VALU_DEP_2)
	v_cndmask_b32_e32 v1, 0x7ff80000, v1, vcc_lo
	v_cmp_ne_u32_e32 vcc_lo, 0, v4
	v_cndmask_b32_e32 v45, 0x38000000, v1, vcc_lo
	s_delay_alu instid0(VALU_DEP_4)
	v_cndmask_b32_e32 v44, 0, v0, vcc_lo
	s_branch .LBB12_1381
.LBB12_1380:
	s_mov_b32 s2, -1
                                        ; implicit-def: $vgpr44_vgpr45
.LBB12_1381:
	s_mov_b32 s5, 0
.LBB12_1382:
	s_delay_alu instid0(SALU_CYCLE_1)
	s_and_b32 vcc_lo, exec_lo, s5
	s_cbranch_vccz .LBB12_1386
; %bb.1383:
	s_cmp_eq_u32 s1, 29
	s_cbranch_scc0 .LBB12_1385
; %bb.1384:
	global_load_b64 v[0:1], v[2:3], off
	s_mov_b32 s2, 0
	s_mov_b32 s4, -1
	s_mov_b32 s5, 0
	s_wait_loadcnt 0x0
	v_cvt_f64_u32_e32 v[4:5], v1
	v_cvt_f64_u32_e32 v[0:1], v0
	s_delay_alu instid0(VALU_DEP_2) | instskip(NEXT) | instid1(VALU_DEP_1)
	v_ldexp_f64 v[4:5], v[4:5], 32
	v_add_f64_e32 v[44:45], v[4:5], v[0:1]
	s_branch .LBB12_1387
.LBB12_1385:
	s_mov_b32 s2, -1
                                        ; implicit-def: $vgpr44_vgpr45
.LBB12_1386:
	s_mov_b32 s5, 0
.LBB12_1387:
	s_delay_alu instid0(SALU_CYCLE_1)
	s_and_b32 vcc_lo, exec_lo, s5
	s_cbranch_vccz .LBB12_1405
; %bb.1388:
	s_cmp_lt_i32 s1, 27
	s_cbranch_scc1 .LBB12_1391
; %bb.1389:
	s_cmp_gt_i32 s1, 27
	s_cbranch_scc0 .LBB12_1392
; %bb.1390:
	global_load_b32 v0, v[2:3], off
	s_mov_b32 s4, 0
	s_wait_loadcnt 0x0
	v_cvt_f64_u32_e32 v[44:45], v0
	s_branch .LBB12_1393
.LBB12_1391:
	s_mov_b32 s4, -1
                                        ; implicit-def: $vgpr44_vgpr45
	s_branch .LBB12_1396
.LBB12_1392:
	s_mov_b32 s4, -1
                                        ; implicit-def: $vgpr44_vgpr45
.LBB12_1393:
	s_delay_alu instid0(SALU_CYCLE_1)
	s_and_not1_b32 vcc_lo, exec_lo, s4
	s_cbranch_vccnz .LBB12_1395
; %bb.1394:
	global_load_u16 v0, v[2:3], off
	s_wait_loadcnt 0x0
	v_cvt_f64_u32_e32 v[44:45], v0
.LBB12_1395:
	s_mov_b32 s4, 0
.LBB12_1396:
	s_delay_alu instid0(SALU_CYCLE_1)
	s_and_not1_b32 vcc_lo, exec_lo, s4
	s_cbranch_vccnz .LBB12_1404
; %bb.1397:
	global_load_u8 v0, v[2:3], off
	s_mov_b32 s4, 0
	s_mov_b32 s5, exec_lo
	s_wait_loadcnt 0x0
	v_cmpx_lt_i16_e32 0x7f, v0
	s_xor_b32 s5, exec_lo, s5
	s_cbranch_execz .LBB12_1417
; %bb.1398:
	s_mov_b32 s4, -1
	s_mov_b32 s6, exec_lo
	v_cmpx_eq_u16_e32 0x80, v0
; %bb.1399:
	s_xor_b32 s4, exec_lo, -1
; %bb.1400:
	s_or_b32 exec_lo, exec_lo, s6
	s_delay_alu instid0(SALU_CYCLE_1)
	s_and_b32 s4, s4, exec_lo
	s_or_saveexec_b32 s5, s5
	v_mov_b64_e32 v[44:45], 0x7ff8000020000000
	s_xor_b32 exec_lo, exec_lo, s5
	s_cbranch_execnz .LBB12_1418
.LBB12_1401:
	s_or_b32 exec_lo, exec_lo, s5
	s_and_saveexec_b32 s5, s4
	s_cbranch_execz .LBB12_1403
.LBB12_1402:
	v_and_b32_e32 v1, 0xffff, v0
	s_delay_alu instid0(VALU_DEP_1) | instskip(SKIP_1) | instid1(VALU_DEP_2)
	v_dual_lshlrev_b32 v0, 24, v0 :: v_dual_bitop2_b32 v4, 7, v1 bitop3:0x40
	v_bfe_u32 v7, v1, 3, 4
	v_and_b32_e32 v0, 0x80000000, v0
	s_delay_alu instid0(VALU_DEP_3) | instskip(NEXT) | instid1(VALU_DEP_3)
	v_clz_i32_u32_e32 v5, v4
	v_cmp_eq_u32_e32 vcc_lo, 0, v7
	s_delay_alu instid0(VALU_DEP_2) | instskip(NEXT) | instid1(VALU_DEP_1)
	v_min_u32_e32 v5, 32, v5
	v_subrev_nc_u32_e32 v6, 28, v5
	v_sub_nc_u32_e32 v5, 29, v5
	s_delay_alu instid0(VALU_DEP_2) | instskip(NEXT) | instid1(VALU_DEP_2)
	v_lshlrev_b32_e32 v1, v6, v1
	v_cndmask_b32_e32 v5, v7, v5, vcc_lo
	s_delay_alu instid0(VALU_DEP_2) | instskip(NEXT) | instid1(VALU_DEP_1)
	v_and_b32_e32 v1, 7, v1
	v_cndmask_b32_e32 v1, v4, v1, vcc_lo
	s_delay_alu instid0(VALU_DEP_3) | instskip(NEXT) | instid1(VALU_DEP_2)
	v_lshl_add_u32 v4, v5, 23, 0x3b800000
	v_lshlrev_b32_e32 v1, 20, v1
	s_delay_alu instid0(VALU_DEP_1) | instskip(NEXT) | instid1(VALU_DEP_1)
	v_or3_b32 v0, v0, v4, v1
	v_cvt_f64_f32_e32 v[44:45], v0
.LBB12_1403:
	s_or_b32 exec_lo, exec_lo, s5
.LBB12_1404:
	s_mov_b32 s4, -1
.LBB12_1405:
	s_branch .LBB12_1438
.LBB12_1406:
	s_cmp_gt_i32 s1, 22
	s_cbranch_scc0 .LBB12_1416
; %bb.1407:
	s_cmp_lt_i32 s1, 24
	s_cbranch_scc1 .LBB12_1419
; %bb.1408:
	s_cmp_gt_i32 s1, 24
	s_cbranch_scc0 .LBB12_1420
; %bb.1409:
	global_load_u8 v0, v[2:3], off
	s_mov_b32 s4, exec_lo
	s_wait_loadcnt 0x0
	v_cmpx_lt_i16_e32 0x7f, v0
	s_xor_b32 s4, exec_lo, s4
	s_cbranch_execz .LBB12_1432
; %bb.1410:
	s_mov_b32 s3, -1
	s_mov_b32 s5, exec_lo
	v_cmpx_eq_u16_e32 0x80, v0
; %bb.1411:
	s_xor_b32 s3, exec_lo, -1
; %bb.1412:
	s_or_b32 exec_lo, exec_lo, s5
	s_delay_alu instid0(SALU_CYCLE_1)
	s_and_b32 s3, s3, exec_lo
	s_or_saveexec_b32 s4, s4
	v_mov_b64_e32 v[44:45], 0x7ff8000020000000
	s_xor_b32 exec_lo, exec_lo, s4
	s_cbranch_execnz .LBB12_1433
.LBB12_1413:
	s_or_b32 exec_lo, exec_lo, s4
	s_and_saveexec_b32 s4, s3
	s_cbranch_execz .LBB12_1415
.LBB12_1414:
	v_and_b32_e32 v1, 0xffff, v0
	s_delay_alu instid0(VALU_DEP_1) | instskip(SKIP_1) | instid1(VALU_DEP_2)
	v_dual_lshlrev_b32 v0, 24, v0 :: v_dual_bitop2_b32 v4, 3, v1 bitop3:0x40
	v_bfe_u32 v7, v1, 2, 5
	v_and_b32_e32 v0, 0x80000000, v0
	s_delay_alu instid0(VALU_DEP_3) | instskip(NEXT) | instid1(VALU_DEP_3)
	v_clz_i32_u32_e32 v5, v4
	v_cmp_eq_u32_e32 vcc_lo, 0, v7
	s_delay_alu instid0(VALU_DEP_2) | instskip(NEXT) | instid1(VALU_DEP_1)
	v_min_u32_e32 v5, 32, v5
	v_subrev_nc_u32_e32 v6, 29, v5
	v_sub_nc_u32_e32 v5, 30, v5
	s_delay_alu instid0(VALU_DEP_2) | instskip(NEXT) | instid1(VALU_DEP_2)
	v_lshlrev_b32_e32 v1, v6, v1
	v_cndmask_b32_e32 v5, v7, v5, vcc_lo
	s_delay_alu instid0(VALU_DEP_2) | instskip(NEXT) | instid1(VALU_DEP_1)
	v_and_b32_e32 v1, 3, v1
	v_cndmask_b32_e32 v1, v4, v1, vcc_lo
	s_delay_alu instid0(VALU_DEP_3) | instskip(NEXT) | instid1(VALU_DEP_2)
	v_lshl_add_u32 v4, v5, 23, 0x37800000
	v_lshlrev_b32_e32 v1, 21, v1
	s_delay_alu instid0(VALU_DEP_1) | instskip(NEXT) | instid1(VALU_DEP_1)
	v_or3_b32 v0, v0, v4, v1
	v_cvt_f64_f32_e32 v[44:45], v0
.LBB12_1415:
	s_or_b32 exec_lo, exec_lo, s4
	s_mov_b32 s3, 0
	s_branch .LBB12_1421
.LBB12_1416:
	s_mov_b32 s3, -1
                                        ; implicit-def: $vgpr44_vgpr45
	s_branch .LBB12_1427
.LBB12_1417:
	s_or_saveexec_b32 s5, s5
	v_mov_b64_e32 v[44:45], 0x7ff8000020000000
	s_xor_b32 exec_lo, exec_lo, s5
	s_cbranch_execz .LBB12_1401
.LBB12_1418:
	v_cmp_ne_u16_e32 vcc_lo, 0, v0
	v_mov_b64_e32 v[44:45], 0
	s_and_not1_b32 s4, s4, exec_lo
	s_and_b32 s6, vcc_lo, exec_lo
	s_delay_alu instid0(SALU_CYCLE_1)
	s_or_b32 s4, s4, s6
	s_or_b32 exec_lo, exec_lo, s5
	s_and_saveexec_b32 s5, s4
	s_cbranch_execnz .LBB12_1402
	s_branch .LBB12_1403
.LBB12_1419:
	s_mov_b32 s3, -1
                                        ; implicit-def: $vgpr44_vgpr45
	s_branch .LBB12_1424
.LBB12_1420:
	s_mov_b32 s3, -1
                                        ; implicit-def: $vgpr44_vgpr45
.LBB12_1421:
	s_delay_alu instid0(SALU_CYCLE_1)
	s_and_b32 vcc_lo, exec_lo, s3
	s_cbranch_vccz .LBB12_1423
; %bb.1422:
	global_load_u8 v0, v[2:3], off
	s_wait_loadcnt 0x0
	v_lshlrev_b32_e32 v0, 24, v0
	s_delay_alu instid0(VALU_DEP_1) | instskip(NEXT) | instid1(VALU_DEP_1)
	v_and_b32_e32 v1, 0x7f000000, v0
	v_clz_i32_u32_e32 v4, v1
	v_cmp_ne_u32_e32 vcc_lo, 0, v1
	v_add_nc_u32_e32 v6, 0x1000000, v1
	s_delay_alu instid0(VALU_DEP_3) | instskip(NEXT) | instid1(VALU_DEP_1)
	v_min_u32_e32 v4, 32, v4
	v_sub_nc_u32_e64 v4, v4, 4 clamp
	s_delay_alu instid0(VALU_DEP_1) | instskip(NEXT) | instid1(VALU_DEP_1)
	v_dual_lshlrev_b32 v5, v4, v1 :: v_dual_lshlrev_b32 v4, 23, v4
	v_lshrrev_b32_e32 v5, 4, v5
	s_delay_alu instid0(VALU_DEP_1) | instskip(NEXT) | instid1(VALU_DEP_1)
	v_dual_sub_nc_u32 v4, v5, v4 :: v_dual_ashrrev_i32 v5, 8, v6
	v_add_nc_u32_e32 v4, 0x3c000000, v4
	s_delay_alu instid0(VALU_DEP_1) | instskip(NEXT) | instid1(VALU_DEP_1)
	v_and_or_b32 v4, 0x7f800000, v5, v4
	v_cndmask_b32_e32 v1, 0, v4, vcc_lo
	s_delay_alu instid0(VALU_DEP_1) | instskip(NEXT) | instid1(VALU_DEP_1)
	v_and_or_b32 v0, 0x80000000, v0, v1
	v_cvt_f64_f32_e32 v[44:45], v0
.LBB12_1423:
	s_mov_b32 s3, 0
.LBB12_1424:
	s_delay_alu instid0(SALU_CYCLE_1)
	s_and_not1_b32 vcc_lo, exec_lo, s3
	s_cbranch_vccnz .LBB12_1426
; %bb.1425:
	global_load_u8 v0, v[2:3], off
	s_wait_loadcnt 0x0
	v_lshlrev_b32_e32 v1, 25, v0
	v_lshlrev_b16 v0, 8, v0
	s_delay_alu instid0(VALU_DEP_1) | instskip(SKIP_1) | instid1(VALU_DEP_2)
	v_and_or_b32 v5, 0x7f00, v0, 0.5
	v_bfe_i32 v0, v0, 0, 16
	v_add_f32_e32 v5, -0.5, v5
	v_lshrrev_b32_e32 v4, 4, v1
	v_cmp_gt_u32_e32 vcc_lo, 0x8000000, v1
	s_delay_alu instid0(VALU_DEP_2) | instskip(NEXT) | instid1(VALU_DEP_1)
	v_or_b32_e32 v4, 0x70000000, v4
	v_mul_f32_e32 v4, 0x7800000, v4
	s_delay_alu instid0(VALU_DEP_1) | instskip(NEXT) | instid1(VALU_DEP_1)
	v_cndmask_b32_e32 v1, v4, v5, vcc_lo
	v_and_or_b32 v0, 0x80000000, v0, v1
	s_delay_alu instid0(VALU_DEP_1)
	v_cvt_f64_f32_e32 v[44:45], v0
.LBB12_1426:
	s_mov_b32 s3, 0
	s_mov_b32 s4, -1
.LBB12_1427:
	s_and_not1_b32 vcc_lo, exec_lo, s3
	s_mov_b32 s3, 0
	s_cbranch_vccnz .LBB12_1438
; %bb.1428:
	s_cmp_gt_i32 s1, 14
	s_cbranch_scc0 .LBB12_1431
; %bb.1429:
	s_cmp_eq_u32 s1, 15
	s_cbranch_scc0 .LBB12_1434
; %bb.1430:
	global_load_u16 v0, v[2:3], off
	s_mov_b32 s2, 0
	s_mov_b32 s4, -1
	s_wait_loadcnt 0x0
	v_lshlrev_b32_e32 v0, 16, v0
	s_delay_alu instid0(VALU_DEP_1)
	v_cvt_f64_f32_e32 v[44:45], v0
	s_branch .LBB12_1436
.LBB12_1431:
	s_mov_b32 s3, -1
	s_branch .LBB12_1435
.LBB12_1432:
	s_or_saveexec_b32 s4, s4
	v_mov_b64_e32 v[44:45], 0x7ff8000020000000
	s_xor_b32 exec_lo, exec_lo, s4
	s_cbranch_execz .LBB12_1413
.LBB12_1433:
	v_cmp_ne_u16_e32 vcc_lo, 0, v0
	v_mov_b64_e32 v[44:45], 0
	s_and_not1_b32 s3, s3, exec_lo
	s_and_b32 s5, vcc_lo, exec_lo
	s_delay_alu instid0(SALU_CYCLE_1)
	s_or_b32 s3, s3, s5
	s_or_b32 exec_lo, exec_lo, s4
	s_and_saveexec_b32 s4, s3
	s_cbranch_execnz .LBB12_1414
	s_branch .LBB12_1415
.LBB12_1434:
	s_mov_b32 s2, -1
.LBB12_1435:
                                        ; implicit-def: $vgpr44_vgpr45
.LBB12_1436:
	s_and_b32 vcc_lo, exec_lo, s3
	s_mov_b32 s3, 0
	s_cbranch_vccz .LBB12_1438
; %bb.1437:
	s_cmp_lg_u32 s1, 11
	s_mov_b32 s3, -1
	s_cselect_b32 s1, -1, 0
	s_and_not1_b32 s2, s2, exec_lo
	s_and_b32 s1, s1, exec_lo
	s_delay_alu instid0(SALU_CYCLE_1)
	s_or_b32 s2, s2, s1
.LBB12_1438:
	s_mov_b32 s1, 0
.LBB12_1439:
	s_delay_alu instid0(SALU_CYCLE_1)
	s_and_b32 s5, s1, exec_lo
	s_and_not1_b32 s1, s74, exec_lo
	s_and_b32 s6, s2, exec_lo
	s_and_b32 s4, s4, exec_lo
	;; [unrolled: 1-line block ×3, first 2 shown]
	s_or_b32 s74, s1, s6
	s_wait_xcnt 0x0
	s_or_b32 exec_lo, exec_lo, s0
	s_and_saveexec_b32 s0, s74
	s_cbranch_execz .LBB12_1368
.LBB12_1440:
	s_or_b32 s38, s38, exec_lo
	s_and_not1_b32 s2, s2, exec_lo
	s_trap 2
	s_or_b32 exec_lo, exec_lo, s0
	s_and_saveexec_b32 s0, s2
	s_delay_alu instid0(SALU_CYCLE_1)
	s_xor_b32 s0, exec_lo, s0
	s_cbranch_execnz .LBB12_1369
.LBB12_1441:
	s_or_b32 exec_lo, exec_lo, s0
	s_and_saveexec_b32 s0, s5
	s_cbranch_execz .LBB12_1487
.LBB12_1442:
	s_sext_i32_i16 s1, s68
	s_delay_alu instid0(SALU_CYCLE_1)
	s_cmp_lt_i32 s1, 5
	s_cbranch_scc1 .LBB12_1447
; %bb.1443:
	s_cmp_lt_i32 s1, 8
	s_cbranch_scc1 .LBB12_1448
; %bb.1444:
	;; [unrolled: 3-line block ×3, first 2 shown]
	s_cmp_gt_i32 s1, 9
	s_cbranch_scc0 .LBB12_1450
; %bb.1446:
	s_wait_loadcnt 0x0
	global_load_b64 v[44:45], v[2:3], off
	s_mov_b32 s1, 0
	s_branch .LBB12_1451
.LBB12_1447:
                                        ; implicit-def: $vgpr44_vgpr45
	s_branch .LBB12_1468
.LBB12_1448:
                                        ; implicit-def: $vgpr44_vgpr45
	s_branch .LBB12_1457
.LBB12_1449:
	s_mov_b32 s1, -1
                                        ; implicit-def: $vgpr44_vgpr45
	s_branch .LBB12_1454
.LBB12_1450:
	s_mov_b32 s1, -1
                                        ; implicit-def: $vgpr44_vgpr45
.LBB12_1451:
	s_delay_alu instid0(SALU_CYCLE_1)
	s_and_not1_b32 vcc_lo, exec_lo, s1
	s_cbranch_vccnz .LBB12_1453
; %bb.1452:
	global_load_b32 v0, v[2:3], off
	s_wait_loadcnt 0x0
	v_cvt_f64_f32_e32 v[44:45], v0
.LBB12_1453:
	s_mov_b32 s1, 0
.LBB12_1454:
	s_delay_alu instid0(SALU_CYCLE_1)
	s_and_not1_b32 vcc_lo, exec_lo, s1
	s_cbranch_vccnz .LBB12_1456
; %bb.1455:
	global_load_b32 v0, v[2:3], off
	s_wait_loadcnt 0x0
	v_cvt_f32_f16_e32 v0, v0
	s_delay_alu instid0(VALU_DEP_1)
	v_cvt_f64_f32_e32 v[44:45], v0
.LBB12_1456:
	s_cbranch_execnz .LBB12_1467
.LBB12_1457:
	s_sext_i32_i16 s1, s68
	s_delay_alu instid0(SALU_CYCLE_1)
	s_cmp_lt_i32 s1, 6
	s_cbranch_scc1 .LBB12_1460
; %bb.1458:
	s_cmp_gt_i32 s1, 6
	s_cbranch_scc0 .LBB12_1461
; %bb.1459:
	s_wait_loadcnt 0x0
	global_load_b64 v[44:45], v[2:3], off
	s_mov_b32 s1, 0
	s_branch .LBB12_1462
.LBB12_1460:
	s_mov_b32 s1, -1
                                        ; implicit-def: $vgpr44_vgpr45
	s_branch .LBB12_1465
.LBB12_1461:
	s_mov_b32 s1, -1
                                        ; implicit-def: $vgpr44_vgpr45
.LBB12_1462:
	s_delay_alu instid0(SALU_CYCLE_1)
	s_and_not1_b32 vcc_lo, exec_lo, s1
	s_cbranch_vccnz .LBB12_1464
; %bb.1463:
	global_load_b32 v0, v[2:3], off
	s_wait_loadcnt 0x0
	v_cvt_f64_f32_e32 v[44:45], v0
.LBB12_1464:
	s_mov_b32 s1, 0
.LBB12_1465:
	s_delay_alu instid0(SALU_CYCLE_1)
	s_and_not1_b32 vcc_lo, exec_lo, s1
	s_cbranch_vccnz .LBB12_1467
; %bb.1466:
	global_load_u16 v0, v[2:3], off
	s_wait_loadcnt 0x0
	v_cvt_f32_f16_e32 v0, v0
	s_delay_alu instid0(VALU_DEP_1)
	v_cvt_f64_f32_e32 v[44:45], v0
.LBB12_1467:
	s_cbranch_execnz .LBB12_1486
.LBB12_1468:
	s_sext_i32_i16 s1, s68
	s_delay_alu instid0(SALU_CYCLE_1)
	s_cmp_lt_i32 s1, 2
	s_cbranch_scc1 .LBB12_1472
; %bb.1469:
	s_cmp_lt_i32 s1, 3
	s_cbranch_scc1 .LBB12_1473
; %bb.1470:
	s_cmp_gt_i32 s1, 3
	s_cbranch_scc0 .LBB12_1474
; %bb.1471:
	global_load_b64 v[0:1], v[2:3], off
	s_mov_b32 s1, 0
	s_wait_loadcnt 0x0
	v_cvt_f64_i32_e32 v[4:5], v1
	v_cvt_f64_u32_e32 v[0:1], v0
	s_delay_alu instid0(VALU_DEP_2) | instskip(NEXT) | instid1(VALU_DEP_1)
	v_ldexp_f64 v[4:5], v[4:5], 32
	v_add_f64_e32 v[44:45], v[4:5], v[0:1]
	s_branch .LBB12_1475
.LBB12_1472:
                                        ; implicit-def: $vgpr44_vgpr45
	s_branch .LBB12_1481
.LBB12_1473:
	s_mov_b32 s1, -1
                                        ; implicit-def: $vgpr44_vgpr45
	s_branch .LBB12_1478
.LBB12_1474:
	s_mov_b32 s1, -1
                                        ; implicit-def: $vgpr44_vgpr45
.LBB12_1475:
	s_delay_alu instid0(SALU_CYCLE_1)
	s_and_not1_b32 vcc_lo, exec_lo, s1
	s_cbranch_vccnz .LBB12_1477
; %bb.1476:
	global_load_b32 v0, v[2:3], off
	s_wait_loadcnt 0x0
	v_cvt_f64_i32_e32 v[44:45], v0
.LBB12_1477:
	s_mov_b32 s1, 0
.LBB12_1478:
	s_delay_alu instid0(SALU_CYCLE_1)
	s_and_not1_b32 vcc_lo, exec_lo, s1
	s_cbranch_vccnz .LBB12_1480
; %bb.1479:
	global_load_i16 v0, v[2:3], off
	s_wait_loadcnt 0x0
	v_cvt_f64_i32_e32 v[44:45], v0
.LBB12_1480:
	s_cbranch_execnz .LBB12_1486
.LBB12_1481:
	s_sext_i32_i16 s1, s68
	s_delay_alu instid0(SALU_CYCLE_1)
	s_cmp_gt_i32 s1, 0
	s_mov_b32 s1, 0
	s_cbranch_scc0 .LBB12_1483
; %bb.1482:
	global_load_i8 v0, v[2:3], off
	s_wait_loadcnt 0x0
	v_cvt_f64_i32_e32 v[44:45], v0
	s_branch .LBB12_1484
.LBB12_1483:
	s_mov_b32 s1, -1
                                        ; implicit-def: $vgpr44_vgpr45
.LBB12_1484:
	s_delay_alu instid0(SALU_CYCLE_1)
	s_and_not1_b32 vcc_lo, exec_lo, s1
	s_cbranch_vccnz .LBB12_1486
; %bb.1485:
	global_load_u8 v0, v[2:3], off
	s_wait_loadcnt 0x0
	v_cvt_f64_u32_e32 v[44:45], v0
.LBB12_1486:
	s_or_b32 s4, s4, exec_lo
.LBB12_1487:
	s_wait_xcnt 0x0
	s_or_b32 exec_lo, exec_lo, s0
	s_mov_b32 s0, 0
	s_mov_b32 s2, 0
                                        ; implicit-def: $sgpr1
                                        ; implicit-def: $vgpr4_vgpr5
                                        ; implicit-def: $vgpr0_vgpr1
	s_and_saveexec_b32 s39, s4
	s_cbranch_execz .LBB12_1490
; %bb.1488:
	s_and_not1_b32 vcc_lo, exec_lo, s45
	s_cbranch_vccnz .LBB12_1493
; %bb.1489:
	s_wait_loadcnt 0x0
	s_delay_alu instid0(VALU_DEP_1) | instskip(NEXT) | instid1(VALU_DEP_2)
	v_dual_mov_b32 v0, v42 :: v_dual_mov_b32 v1, v43
	v_dual_mov_b32 v2, v44 :: v_dual_mov_b32 v3, v45
	s_get_pc_i64 s[0:1]
	s_add_nc_u64 s[0:1], s[0:1], _ZN12_GLOBAL__N_111calc_igammaIdEET_S1_S1_@rel64+4
	s_delay_alu instid0(SALU_CYCLE_1)
	s_swap_pc_i64 s[30:31], s[0:1]
	s_cbranch_execz .LBB12_1494
	s_branch .LBB12_1495
.LBB12_1490:
	s_or_b32 exec_lo, exec_lo, s39
	s_and_saveexec_b32 s3, s58
	s_cbranch_execnz .LBB12_1572
.LBB12_1491:
	s_or_b32 exec_lo, exec_lo, s3
	s_and_saveexec_b32 s3, s0
	s_delay_alu instid0(SALU_CYCLE_1)
	s_xor_b32 s0, exec_lo, s3
	s_cbranch_execz .LBB12_1573
.LBB12_1492:
	v_cmp_neq_f64_e32 vcc_lo, 0, v[0:1]
	v_cndmask_b32_e64 v2, 0, 1, vcc_lo
	global_store_b8 v[4:5], v2, off
	s_wait_xcnt 0x0
	s_or_b32 exec_lo, exec_lo, s0
	s_and_saveexec_b32 s0, s2
	s_delay_alu instid0(SALU_CYCLE_1)
	s_xor_b32 s0, exec_lo, s0
	s_cbranch_execz .LBB12_1611
	s_branch .LBB12_1574
.LBB12_1493:
                                        ; implicit-def: $vgpr0_vgpr1
.LBB12_1494:
	s_wait_loadcnt 0x0
	s_delay_alu instid0(VALU_DEP_1) | instskip(NEXT) | instid1(VALU_DEP_2)
	v_dual_mov_b32 v0, v42 :: v_dual_mov_b32 v1, v43
	v_dual_mov_b32 v2, v44 :: v_dual_mov_b32 v3, v45
	s_get_pc_i64 s[0:1]
	s_add_nc_u64 s[0:1], s[0:1], _ZN12_GLOBAL__N_112calc_igammacIdEET_S1_S1_@rel64+4
	s_delay_alu instid0(SALU_CYCLE_1)
	s_swap_pc_i64 s[30:31], s[0:1]
.LBB12_1495:
	v_mov_b32_e32 v57, 0
	s_and_b32 s1, s67, 0xff
	s_delay_alu instid0(SALU_CYCLE_1) | instskip(NEXT) | instid1(VALU_DEP_1)
	s_cmp_lt_i32 s1, 11
	v_add_nc_u64_e32 v[4:5], s[36:37], v[56:57]
	s_cbranch_scc1 .LBB12_1502
; %bb.1496:
	s_and_b32 s2, 0xffff, s1
	s_mov_b32 s3, -1
	s_cmp_gt_i32 s2, 25
	s_mov_b32 s0, s58
	s_cbranch_scc0 .LBB12_1530
; %bb.1497:
	s_cmp_gt_i32 s2, 28
	s_mov_b32 s0, s58
	s_cbranch_scc0 .LBB12_1514
; %bb.1498:
	;; [unrolled: 4-line block ×4, first 2 shown]
	s_cmp_eq_u32 s2, 46
	s_mov_b32 s0, -1
	s_cbranch_scc0 .LBB12_1503
; %bb.1501:
	v_cvt_f32_f64_e32 v2, v[0:1]
	s_mov_b32 s0, 0
	s_mov_b32 s3, 0
	s_delay_alu instid0(VALU_DEP_1) | instskip(SKIP_1) | instid1(VALU_DEP_2)
	v_bfe_u32 v3, v2, 16, 1
	v_cmp_o_f32_e32 vcc_lo, v2, v2
	v_add3_u32 v3, v2, v3, 0x7fff
	s_delay_alu instid0(VALU_DEP_1) | instskip(NEXT) | instid1(VALU_DEP_1)
	v_lshrrev_b32_e32 v3, 16, v3
	v_cndmask_b32_e32 v2, 0x7fc0, v3, vcc_lo
	global_store_b32 v[4:5], v2, off
	s_branch .LBB12_1504
.LBB12_1502:
	s_mov_b32 s4, 0
	s_mov_b32 s3, -1
	s_mov_b32 s0, s58
	s_branch .LBB12_1571
.LBB12_1503:
	s_mov_b32 s3, 0
.LBB12_1504:
	s_delay_alu instid0(SALU_CYCLE_1)
	s_and_b32 vcc_lo, exec_lo, s3
	s_cbranch_vccz .LBB12_1509
; %bb.1505:
	s_cmp_eq_u32 s2, 44
	s_mov_b32 s0, -1
	s_cbranch_scc0 .LBB12_1509
; %bb.1506:
	s_wait_xcnt 0x0
	v_cvt_f32_f64_e32 v2, v[0:1]
	v_mov_b32_e32 v3, 0xff
	s_mov_b32 s3, exec_lo
	s_delay_alu instid0(VALU_DEP_2) | instskip(NEXT) | instid1(VALU_DEP_1)
	v_bfe_u32 v6, v2, 23, 8
	v_cmpx_ne_u32_e32 0xff, v6
	s_cbranch_execz .LBB12_1508
; %bb.1507:
	v_and_b32_e32 v3, 0x400000, v2
	v_and_or_b32 v6, 0x3fffff, v2, v6
	v_lshrrev_b32_e32 v2, 23, v2
	s_delay_alu instid0(VALU_DEP_3) | instskip(NEXT) | instid1(VALU_DEP_3)
	v_cmp_ne_u32_e32 vcc_lo, 0, v3
	v_cmp_ne_u32_e64 s0, 0, v6
	s_and_b32 s0, vcc_lo, s0
	s_delay_alu instid0(SALU_CYCLE_1) | instskip(NEXT) | instid1(VALU_DEP_1)
	v_cndmask_b32_e64 v3, 0, 1, s0
	v_add_nc_u32_e32 v3, v2, v3
.LBB12_1508:
	s_or_b32 exec_lo, exec_lo, s3
	s_mov_b32 s0, 0
	global_store_b8 v[4:5], v3, off
.LBB12_1509:
	s_mov_b32 s3, 0
.LBB12_1510:
	s_delay_alu instid0(SALU_CYCLE_1)
	s_and_b32 vcc_lo, exec_lo, s3
	s_cbranch_vccz .LBB12_1513
; %bb.1511:
	s_cmp_eq_u32 s2, 29
	s_mov_b32 s0, -1
	s_cbranch_scc0 .LBB12_1513
; %bb.1512:
	s_wait_xcnt 0x0
	v_trunc_f64_e32 v[2:3], v[0:1]
	s_mov_b32 s0, 0
	s_mov_b32 s3, 0
	s_delay_alu instid0(VALU_DEP_1) | instskip(NEXT) | instid1(VALU_DEP_1)
	v_ldexp_f64 v[6:7], v[2:3], 0xffffffe0
	v_floor_f64_e32 v[6:7], v[6:7]
	s_delay_alu instid0(VALU_DEP_1) | instskip(SKIP_1) | instid1(VALU_DEP_2)
	v_fmamk_f64 v[2:3], v[6:7], 0xc1f00000, v[2:3]
	v_cvt_u32_f64_e32 v7, v[6:7]
	v_cvt_u32_f64_e32 v6, v[2:3]
	global_store_b64 v[4:5], v[6:7], off
	s_branch .LBB12_1514
.LBB12_1513:
	s_mov_b32 s3, 0
.LBB12_1514:
	s_delay_alu instid0(SALU_CYCLE_1)
	s_and_b32 vcc_lo, exec_lo, s3
	s_cbranch_vccz .LBB12_1529
; %bb.1515:
	s_cmp_lt_i32 s2, 27
	s_mov_b32 s3, -1
	s_cbranch_scc1 .LBB12_1521
; %bb.1516:
	s_cmp_gt_i32 s2, 27
	s_cbranch_scc0 .LBB12_1518
; %bb.1517:
	s_wait_xcnt 0x0
	v_cvt_u32_f64_e32 v2, v[0:1]
	s_mov_b32 s3, 0
	global_store_b32 v[4:5], v2, off
.LBB12_1518:
	s_and_not1_b32 vcc_lo, exec_lo, s3
	s_cbranch_vccnz .LBB12_1520
; %bb.1519:
	s_wait_xcnt 0x0
	v_cvt_u32_f64_e32 v2, v[0:1]
	global_store_b16 v[4:5], v2, off
.LBB12_1520:
	s_mov_b32 s3, 0
.LBB12_1521:
	s_delay_alu instid0(SALU_CYCLE_1)
	s_and_not1_b32 vcc_lo, exec_lo, s3
	s_cbranch_vccnz .LBB12_1529
; %bb.1522:
	s_wait_xcnt 0x0
	v_cvt_f32_f64_e32 v2, v[0:1]
	v_mov_b32_e32 v6, 0x80
	s_mov_b32 s3, exec_lo
	s_delay_alu instid0(VALU_DEP_2) | instskip(NEXT) | instid1(VALU_DEP_1)
	v_and_b32_e32 v3, 0x7fffffff, v2
	v_cmpx_gt_u32_e32 0x43800000, v3
	s_cbranch_execz .LBB12_1528
; %bb.1523:
	v_cmp_lt_u32_e32 vcc_lo, 0x3bffffff, v3
	s_mov_b32 s4, 0
                                        ; implicit-def: $vgpr3
	s_and_saveexec_b32 s5, vcc_lo
	s_delay_alu instid0(SALU_CYCLE_1)
	s_xor_b32 s5, exec_lo, s5
	s_cbranch_execz .LBB12_1670
; %bb.1524:
	v_bfe_u32 v3, v2, 20, 1
	s_mov_b32 s4, exec_lo
	s_delay_alu instid0(VALU_DEP_1) | instskip(NEXT) | instid1(VALU_DEP_1)
	v_add3_u32 v3, v2, v3, 0x487ffff
	v_lshrrev_b32_e32 v3, 20, v3
	s_and_not1_saveexec_b32 s5, s5
	s_cbranch_execnz .LBB12_1671
.LBB12_1525:
	s_or_b32 exec_lo, exec_lo, s5
	v_mov_b32_e32 v6, 0
	s_and_saveexec_b32 s5, s4
.LBB12_1526:
	v_lshrrev_b32_e32 v2, 24, v2
	s_delay_alu instid0(VALU_DEP_1)
	v_and_or_b32 v6, 0x80, v2, v3
.LBB12_1527:
	s_or_b32 exec_lo, exec_lo, s5
.LBB12_1528:
	s_delay_alu instid0(SALU_CYCLE_1)
	s_or_b32 exec_lo, exec_lo, s3
	global_store_b8 v[4:5], v6, off
.LBB12_1529:
	s_mov_b32 s3, 0
.LBB12_1530:
	s_delay_alu instid0(SALU_CYCLE_1)
	s_and_b32 vcc_lo, exec_lo, s3
	s_mov_b32 s3, 0
	s_cbranch_vccz .LBB12_1570
; %bb.1531:
	s_cmp_gt_i32 s2, 22
	s_mov_b32 s4, -1
	s_cbranch_scc0 .LBB12_1563
; %bb.1532:
	s_cmp_lt_i32 s2, 24
	s_cbranch_scc1 .LBB12_1552
; %bb.1533:
	s_cmp_gt_i32 s2, 24
	s_cbranch_scc0 .LBB12_1541
; %bb.1534:
	s_wait_xcnt 0x0
	v_cvt_f32_f64_e32 v2, v[0:1]
	v_mov_b32_e32 v6, 0x80
	s_mov_b32 s4, exec_lo
	s_delay_alu instid0(VALU_DEP_2) | instskip(NEXT) | instid1(VALU_DEP_1)
	v_and_b32_e32 v3, 0x7fffffff, v2
	v_cmpx_gt_u32_e32 0x47800000, v3
	s_cbranch_execz .LBB12_1540
; %bb.1535:
	v_cmp_lt_u32_e32 vcc_lo, 0x37ffffff, v3
	s_mov_b32 s5, 0
                                        ; implicit-def: $vgpr3
	s_and_saveexec_b32 s6, vcc_lo
	s_delay_alu instid0(SALU_CYCLE_1)
	s_xor_b32 s6, exec_lo, s6
	s_cbranch_execz .LBB12_1796
; %bb.1536:
	v_bfe_u32 v3, v2, 21, 1
	s_mov_b32 s5, exec_lo
	s_delay_alu instid0(VALU_DEP_1) | instskip(NEXT) | instid1(VALU_DEP_1)
	v_add3_u32 v3, v2, v3, 0x88fffff
	v_lshrrev_b32_e32 v3, 21, v3
	s_and_not1_saveexec_b32 s6, s6
	s_cbranch_execnz .LBB12_1797
.LBB12_1537:
	s_or_b32 exec_lo, exec_lo, s6
	v_mov_b32_e32 v6, 0
	s_and_saveexec_b32 s6, s5
.LBB12_1538:
	v_lshrrev_b32_e32 v2, 24, v2
	s_delay_alu instid0(VALU_DEP_1)
	v_and_or_b32 v6, 0x80, v2, v3
.LBB12_1539:
	s_or_b32 exec_lo, exec_lo, s6
.LBB12_1540:
	s_delay_alu instid0(SALU_CYCLE_1)
	s_or_b32 exec_lo, exec_lo, s4
	s_mov_b32 s4, 0
	global_store_b8 v[4:5], v6, off
.LBB12_1541:
	s_and_b32 vcc_lo, exec_lo, s4
	s_cbranch_vccz .LBB12_1551
; %bb.1542:
	s_wait_xcnt 0x0
	v_cvt_f32_f64_e32 v2, v[0:1]
	s_mov_b32 s4, exec_lo
                                        ; implicit-def: $vgpr3
	s_delay_alu instid0(VALU_DEP_1) | instskip(NEXT) | instid1(VALU_DEP_1)
	v_and_b32_e32 v6, 0x7fffffff, v2
	v_cmpx_gt_u32_e32 0x43f00000, v6
	s_xor_b32 s4, exec_lo, s4
	s_cbranch_execz .LBB12_1548
; %bb.1543:
	s_mov_b32 s5, exec_lo
                                        ; implicit-def: $vgpr3
	v_cmpx_lt_u32_e32 0x3c7fffff, v6
	s_xor_b32 s5, exec_lo, s5
; %bb.1544:
	v_bfe_u32 v3, v2, 20, 1
	s_delay_alu instid0(VALU_DEP_1) | instskip(NEXT) | instid1(VALU_DEP_1)
	v_add3_u32 v3, v2, v3, 0x407ffff
	v_and_b32_e32 v6, 0xff00000, v3
	v_lshrrev_b32_e32 v3, 20, v3
	s_delay_alu instid0(VALU_DEP_2) | instskip(NEXT) | instid1(VALU_DEP_2)
	v_cmp_ne_u32_e32 vcc_lo, 0x7f00000, v6
	v_cndmask_b32_e32 v3, 0x7e, v3, vcc_lo
; %bb.1545:
	s_and_not1_saveexec_b32 s5, s5
; %bb.1546:
	v_add_f32_e64 v3, 0x46800000, |v2|
; %bb.1547:
	s_or_b32 exec_lo, exec_lo, s5
                                        ; implicit-def: $vgpr6
.LBB12_1548:
	s_and_not1_saveexec_b32 s4, s4
; %bb.1549:
	v_mov_b32_e32 v3, 0x7f
	v_cmp_lt_u32_e32 vcc_lo, 0x7f800000, v6
	s_delay_alu instid0(VALU_DEP_2)
	v_cndmask_b32_e32 v3, 0x7e, v3, vcc_lo
; %bb.1550:
	s_or_b32 exec_lo, exec_lo, s4
	v_lshrrev_b32_e32 v2, 24, v2
	s_delay_alu instid0(VALU_DEP_1)
	v_and_or_b32 v2, 0x80, v2, v3
	global_store_b8 v[4:5], v2, off
.LBB12_1551:
	s_mov_b32 s4, 0
.LBB12_1552:
	s_delay_alu instid0(SALU_CYCLE_1)
	s_and_not1_b32 vcc_lo, exec_lo, s4
	s_cbranch_vccnz .LBB12_1562
; %bb.1553:
	s_wait_xcnt 0x0
	v_cvt_f32_f64_e32 v2, v[0:1]
	s_mov_b32 s4, exec_lo
                                        ; implicit-def: $vgpr3
	s_delay_alu instid0(VALU_DEP_1) | instskip(NEXT) | instid1(VALU_DEP_1)
	v_and_b32_e32 v6, 0x7fffffff, v2
	v_cmpx_gt_u32_e32 0x47800000, v6
	s_xor_b32 s4, exec_lo, s4
	s_cbranch_execz .LBB12_1559
; %bb.1554:
	s_mov_b32 s5, exec_lo
                                        ; implicit-def: $vgpr3
	v_cmpx_lt_u32_e32 0x387fffff, v6
	s_xor_b32 s5, exec_lo, s5
; %bb.1555:
	v_bfe_u32 v3, v2, 21, 1
	s_delay_alu instid0(VALU_DEP_1) | instskip(NEXT) | instid1(VALU_DEP_1)
	v_add3_u32 v3, v2, v3, 0x80fffff
	v_lshrrev_b32_e32 v3, 21, v3
; %bb.1556:
	s_and_not1_saveexec_b32 s5, s5
; %bb.1557:
	v_add_f32_e64 v3, 0x43000000, |v2|
; %bb.1558:
	s_or_b32 exec_lo, exec_lo, s5
                                        ; implicit-def: $vgpr6
.LBB12_1559:
	s_and_not1_saveexec_b32 s4, s4
; %bb.1560:
	v_mov_b32_e32 v3, 0x7f
	v_cmp_lt_u32_e32 vcc_lo, 0x7f800000, v6
	s_delay_alu instid0(VALU_DEP_2)
	v_cndmask_b32_e32 v3, 0x7c, v3, vcc_lo
; %bb.1561:
	s_or_b32 exec_lo, exec_lo, s4
	v_lshrrev_b32_e32 v2, 24, v2
	s_delay_alu instid0(VALU_DEP_1)
	v_and_or_b32 v2, 0x80, v2, v3
	global_store_b8 v[4:5], v2, off
.LBB12_1562:
	s_mov_b32 s4, 0
.LBB12_1563:
	s_delay_alu instid0(SALU_CYCLE_1)
	s_and_not1_b32 vcc_lo, exec_lo, s4
	s_mov_b32 s4, 0
	s_cbranch_vccnz .LBB12_1571
; %bb.1564:
	s_cmp_gt_i32 s2, 14
	s_mov_b32 s4, -1
	s_cbranch_scc0 .LBB12_1568
; %bb.1565:
	s_cmp_eq_u32 s2, 15
	s_mov_b32 s0, -1
	s_cbranch_scc0 .LBB12_1567
; %bb.1566:
	s_wait_xcnt 0x0
	v_cvt_f32_f64_e32 v2, v[0:1]
	s_mov_b32 s0, 0
	s_delay_alu instid0(VALU_DEP_1) | instskip(SKIP_1) | instid1(VALU_DEP_2)
	v_bfe_u32 v3, v2, 16, 1
	v_cmp_o_f32_e32 vcc_lo, v2, v2
	v_add3_u32 v3, v2, v3, 0x7fff
	s_delay_alu instid0(VALU_DEP_1) | instskip(NEXT) | instid1(VALU_DEP_1)
	v_lshrrev_b32_e32 v3, 16, v3
	v_cndmask_b32_e32 v2, 0x7fc0, v3, vcc_lo
	global_store_b16 v[4:5], v2, off
.LBB12_1567:
	s_mov_b32 s4, 0
.LBB12_1568:
	s_delay_alu instid0(SALU_CYCLE_1)
	s_and_b32 vcc_lo, exec_lo, s4
	s_mov_b32 s4, 0
	s_cbranch_vccz .LBB12_1571
; %bb.1569:
	s_cmp_lg_u32 s2, 11
	s_mov_b32 s4, -1
	s_cselect_b32 s2, -1, 0
	s_and_not1_b32 s0, s0, exec_lo
	s_and_b32 s2, s2, exec_lo
	s_delay_alu instid0(SALU_CYCLE_1)
	s_or_b32 s0, s0, s2
	s_branch .LBB12_1571
.LBB12_1570:
	s_mov_b32 s4, 0
.LBB12_1571:
	s_and_b32 s2, s3, exec_lo
	s_and_not1_b32 s3, s58, exec_lo
	s_and_b32 s5, s0, exec_lo
	s_and_b32 s0, s4, exec_lo
	s_or_b32 s58, s3, s5
	s_wait_xcnt 0x0
	s_or_b32 exec_lo, exec_lo, s39
	s_and_saveexec_b32 s3, s58
	s_cbranch_execz .LBB12_1491
.LBB12_1572:
	s_or_b32 s38, s38, exec_lo
	s_and_not1_b32 s0, s0, exec_lo
	s_trap 2
	s_or_b32 exec_lo, exec_lo, s3
	s_and_saveexec_b32 s3, s0
	s_delay_alu instid0(SALU_CYCLE_1)
	s_xor_b32 s0, exec_lo, s3
	s_cbranch_execnz .LBB12_1492
.LBB12_1573:
	s_or_b32 exec_lo, exec_lo, s0
	s_and_saveexec_b32 s0, s2
	s_delay_alu instid0(SALU_CYCLE_1)
	s_xor_b32 s0, exec_lo, s0
	s_cbranch_execz .LBB12_1611
.LBB12_1574:
	s_sext_i32_i16 s3, s1
	s_mov_b32 s2, -1
	s_cmp_lt_i32 s3, 5
	s_cbranch_scc1 .LBB12_1595
; %bb.1575:
	s_cmp_lt_i32 s3, 8
	s_cbranch_scc1 .LBB12_1585
; %bb.1576:
	;; [unrolled: 3-line block ×3, first 2 shown]
	s_cmp_gt_i32 s3, 9
	s_cbranch_scc0 .LBB12_1579
; %bb.1578:
	v_mov_b32_e32 v2, 0
	s_mov_b32 s2, 0
	s_delay_alu instid0(VALU_DEP_1)
	v_mov_b32_e32 v3, v2
	global_store_b128 v[4:5], v[0:3], off
.LBB12_1579:
	s_and_not1_b32 vcc_lo, exec_lo, s2
	s_cbranch_vccnz .LBB12_1581
; %bb.1580:
	s_wait_xcnt 0x0
	v_cvt_f32_f64_e32 v2, v[0:1]
	v_mov_b32_e32 v3, 0
	global_store_b64 v[4:5], v[2:3], off
.LBB12_1581:
	s_mov_b32 s2, 0
.LBB12_1582:
	s_delay_alu instid0(SALU_CYCLE_1)
	s_and_not1_b32 vcc_lo, exec_lo, s2
	s_cbranch_vccnz .LBB12_1584
; %bb.1583:
	s_wait_xcnt 0x0
	v_and_or_b32 v2, 0x1ff, v1, v0
	v_lshrrev_b32_e32 v3, 8, v1
	v_bfe_u32 v6, v1, 20, 11
	s_delay_alu instid0(VALU_DEP_3) | instskip(NEXT) | instid1(VALU_DEP_2)
	v_cmp_ne_u32_e32 vcc_lo, 0, v2
	v_sub_nc_u32_e32 v7, 0x3f1, v6
	v_cndmask_b32_e64 v2, 0, 1, vcc_lo
	s_delay_alu instid0(VALU_DEP_1) | instskip(NEXT) | instid1(VALU_DEP_3)
	v_and_or_b32 v2, 0xffe, v3, v2
	v_med3_i32 v3, v7, 0, 13
	s_delay_alu instid0(VALU_DEP_2) | instskip(NEXT) | instid1(VALU_DEP_1)
	v_or_b32_e32 v7, 0x1000, v2
	v_lshrrev_b32_e32 v8, v3, v7
	s_delay_alu instid0(VALU_DEP_1) | instskip(NEXT) | instid1(VALU_DEP_1)
	v_lshlrev_b32_e32 v3, v3, v8
	v_cmp_ne_u32_e32 vcc_lo, v3, v7
	v_cndmask_b32_e64 v3, 0, 1, vcc_lo
	s_delay_alu instid0(VALU_DEP_1) | instskip(SKIP_1) | instid1(VALU_DEP_1)
	v_or_b32_e32 v3, v8, v3
	v_add_nc_u32_e32 v6, 0xfffffc10, v6
	v_lshl_or_b32 v7, v6, 12, v2
	v_cmp_gt_i32_e32 vcc_lo, 1, v6
	s_delay_alu instid0(VALU_DEP_2) | instskip(NEXT) | instid1(VALU_DEP_1)
	v_cndmask_b32_e32 v3, v7, v3, vcc_lo
	v_dual_lshrrev_b32 v3, 2, v3 :: v_dual_bitop2_b32 v7, 7, v3 bitop3:0x40
	s_delay_alu instid0(VALU_DEP_1) | instskip(SKIP_4) | instid1(VALU_DEP_2)
	v_cmp_lt_i32_e32 vcc_lo, 5, v7
	v_cndmask_b32_e64 v8, 0, 1, vcc_lo
	v_cmp_eq_u32_e32 vcc_lo, 3, v7
	v_cndmask_b32_e64 v7, 0, 1, vcc_lo
	v_cmp_ne_u32_e32 vcc_lo, 0, v2
	v_or_b32_e32 v7, v7, v8
	s_delay_alu instid0(VALU_DEP_1) | instskip(NEXT) | instid1(VALU_DEP_1)
	v_dual_mov_b32 v8, 0x7e00 :: v_dual_add_nc_u32 v3, v3, v7
	v_cndmask_b32_e32 v2, 0x7c00, v8, vcc_lo
	v_cmp_gt_i32_e32 vcc_lo, 31, v6
	v_lshrrev_b32_e32 v7, 16, v1
	s_delay_alu instid0(VALU_DEP_4) | instskip(SKIP_1) | instid1(VALU_DEP_2)
	v_cndmask_b32_e32 v3, 0x7c00, v3, vcc_lo
	v_cmp_eq_u32_e32 vcc_lo, 0x40f, v6
	v_cndmask_b32_e32 v2, v3, v2, vcc_lo
	s_delay_alu instid0(VALU_DEP_4) | instskip(NEXT) | instid1(VALU_DEP_1)
	v_and_b32_e32 v3, 0x8000, v7
	v_bitop3_b32 v2, v3, 0xffff, v2 bitop3:0xc8
	global_store_b32 v[4:5], v2, off
.LBB12_1584:
	s_mov_b32 s2, 0
.LBB12_1585:
	s_delay_alu instid0(SALU_CYCLE_1)
	s_and_not1_b32 vcc_lo, exec_lo, s2
	s_cbranch_vccnz .LBB12_1594
; %bb.1586:
	s_sext_i32_i16 s3, s1
	s_mov_b32 s2, -1
	s_cmp_lt_i32 s3, 6
	s_cbranch_scc1 .LBB12_1592
; %bb.1587:
	s_cmp_gt_i32 s3, 6
	s_cbranch_scc0 .LBB12_1589
; %bb.1588:
	s_mov_b32 s2, 0
	global_store_b64 v[4:5], v[0:1], off
.LBB12_1589:
	s_and_not1_b32 vcc_lo, exec_lo, s2
	s_cbranch_vccnz .LBB12_1591
; %bb.1590:
	s_wait_xcnt 0x0
	v_cvt_f32_f64_e32 v2, v[0:1]
	global_store_b32 v[4:5], v2, off
.LBB12_1591:
	s_mov_b32 s2, 0
.LBB12_1592:
	s_delay_alu instid0(SALU_CYCLE_1)
	s_and_not1_b32 vcc_lo, exec_lo, s2
	s_cbranch_vccnz .LBB12_1594
; %bb.1593:
	s_wait_xcnt 0x0
	v_and_or_b32 v2, 0x1ff, v1, v0
	v_lshrrev_b32_e32 v3, 8, v1
	v_bfe_u32 v6, v1, 20, 11
	s_delay_alu instid0(VALU_DEP_3) | instskip(NEXT) | instid1(VALU_DEP_2)
	v_cmp_ne_u32_e32 vcc_lo, 0, v2
	v_sub_nc_u32_e32 v7, 0x3f1, v6
	v_cndmask_b32_e64 v2, 0, 1, vcc_lo
	s_delay_alu instid0(VALU_DEP_1) | instskip(NEXT) | instid1(VALU_DEP_3)
	v_and_or_b32 v2, 0xffe, v3, v2
	v_med3_i32 v3, v7, 0, 13
	s_delay_alu instid0(VALU_DEP_2) | instskip(NEXT) | instid1(VALU_DEP_1)
	v_or_b32_e32 v7, 0x1000, v2
	v_lshrrev_b32_e32 v8, v3, v7
	s_delay_alu instid0(VALU_DEP_1) | instskip(NEXT) | instid1(VALU_DEP_1)
	v_lshlrev_b32_e32 v3, v3, v8
	v_cmp_ne_u32_e32 vcc_lo, v3, v7
	v_cndmask_b32_e64 v3, 0, 1, vcc_lo
	s_delay_alu instid0(VALU_DEP_1) | instskip(SKIP_1) | instid1(VALU_DEP_1)
	v_or_b32_e32 v3, v8, v3
	v_add_nc_u32_e32 v6, 0xfffffc10, v6
	v_lshl_or_b32 v7, v6, 12, v2
	v_cmp_gt_i32_e32 vcc_lo, 1, v6
	s_delay_alu instid0(VALU_DEP_2) | instskip(NEXT) | instid1(VALU_DEP_1)
	v_cndmask_b32_e32 v3, v7, v3, vcc_lo
	v_dual_lshrrev_b32 v3, 2, v3 :: v_dual_bitop2_b32 v7, 7, v3 bitop3:0x40
	s_delay_alu instid0(VALU_DEP_1) | instskip(SKIP_4) | instid1(VALU_DEP_2)
	v_cmp_lt_i32_e32 vcc_lo, 5, v7
	v_cndmask_b32_e64 v8, 0, 1, vcc_lo
	v_cmp_eq_u32_e32 vcc_lo, 3, v7
	v_cndmask_b32_e64 v7, 0, 1, vcc_lo
	v_cmp_ne_u32_e32 vcc_lo, 0, v2
	v_or_b32_e32 v7, v7, v8
	s_delay_alu instid0(VALU_DEP_1) | instskip(NEXT) | instid1(VALU_DEP_1)
	v_dual_mov_b32 v8, 0x7e00 :: v_dual_add_nc_u32 v3, v3, v7
	v_cndmask_b32_e32 v2, 0x7c00, v8, vcc_lo
	v_cmp_gt_i32_e32 vcc_lo, 31, v6
	s_delay_alu instid0(VALU_DEP_3) | instskip(SKIP_1) | instid1(VALU_DEP_2)
	v_cndmask_b32_e32 v3, 0x7c00, v3, vcc_lo
	v_cmp_eq_u32_e32 vcc_lo, 0x40f, v6
	v_dual_cndmask_b32 v2, v3, v2 :: v_dual_lshrrev_b32 v3, 16, v1
	s_delay_alu instid0(VALU_DEP_1)
	v_and_or_b32 v2, 0x8000, v3, v2
	global_store_b16 v[4:5], v2, off
.LBB12_1594:
	s_mov_b32 s2, 0
.LBB12_1595:
	s_delay_alu instid0(SALU_CYCLE_1)
	s_and_not1_b32 vcc_lo, exec_lo, s2
	s_cbranch_vccnz .LBB12_1611
; %bb.1596:
	s_sext_i32_i16 s3, s1
	s_mov_b32 s2, -1
	s_cmp_lt_i32 s3, 2
	s_cbranch_scc1 .LBB12_1606
; %bb.1597:
	s_cmp_lt_i32 s3, 3
	s_cbranch_scc1 .LBB12_1603
; %bb.1598:
	s_cmp_gt_i32 s3, 3
	s_cbranch_scc0 .LBB12_1600
; %bb.1599:
	s_wait_xcnt 0x0
	v_trunc_f64_e32 v[2:3], v[0:1]
	s_mov_b32 s2, 0
	s_delay_alu instid0(VALU_DEP_1) | instskip(NEXT) | instid1(VALU_DEP_1)
	v_ldexp_f64 v[6:7], v[2:3], 0xffffffe0
	v_floor_f64_e32 v[6:7], v[6:7]
	s_delay_alu instid0(VALU_DEP_1) | instskip(SKIP_1) | instid1(VALU_DEP_2)
	v_fmamk_f64 v[2:3], v[6:7], 0xc1f00000, v[2:3]
	v_cvt_i32_f64_e32 v7, v[6:7]
	v_cvt_u32_f64_e32 v6, v[2:3]
	global_store_b64 v[4:5], v[6:7], off
.LBB12_1600:
	s_and_not1_b32 vcc_lo, exec_lo, s2
	s_cbranch_vccnz .LBB12_1602
; %bb.1601:
	s_wait_xcnt 0x0
	v_cvt_i32_f64_e32 v2, v[0:1]
	global_store_b32 v[4:5], v2, off
.LBB12_1602:
	s_mov_b32 s2, 0
.LBB12_1603:
	s_delay_alu instid0(SALU_CYCLE_1)
	s_and_not1_b32 vcc_lo, exec_lo, s2
	s_cbranch_vccnz .LBB12_1605
; %bb.1604:
	s_wait_xcnt 0x0
	v_cvt_i32_f64_e32 v2, v[0:1]
	global_store_b16 v[4:5], v2, off
.LBB12_1605:
	s_mov_b32 s2, 0
.LBB12_1606:
	s_delay_alu instid0(SALU_CYCLE_1)
	s_and_not1_b32 vcc_lo, exec_lo, s2
	s_cbranch_vccnz .LBB12_1611
; %bb.1607:
	s_sext_i32_i16 s1, s1
	s_delay_alu instid0(SALU_CYCLE_1)
	s_cmp_gt_i32 s1, 0
	s_mov_b32 s1, -1
	s_cbranch_scc0 .LBB12_1609
; %bb.1608:
	s_wait_xcnt 0x0
	v_cvt_i32_f64_e32 v2, v[0:1]
	s_mov_b32 s1, 0
	global_store_b8 v[4:5], v2, off
.LBB12_1609:
	s_and_not1_b32 vcc_lo, exec_lo, s1
	s_cbranch_vccnz .LBB12_1611
; %bb.1610:
	s_wait_xcnt 0x0
	v_trunc_f64_e32 v[0:1], v[0:1]
	s_delay_alu instid0(VALU_DEP_1) | instskip(NEXT) | instid1(VALU_DEP_1)
	v_ldexp_f64 v[2:3], v[0:1], 0xffffffe0
	v_floor_f64_e32 v[2:3], v[2:3]
	s_delay_alu instid0(VALU_DEP_1) | instskip(NEXT) | instid1(VALU_DEP_1)
	v_fmamk_f64 v[0:1], v[2:3], 0xc1f00000, v[0:1]
	v_cvt_u32_f64_e32 v0, v[0:1]
	global_store_b8 v[4:5], v0, off
.LBB12_1611:
	s_wait_xcnt 0x0
	s_or_b32 exec_lo, exec_lo, s0
	s_delay_alu instid0(SALU_CYCLE_1)
	s_and_b32 s46, s38, exec_lo
                                        ; implicit-def: $vgpr3
                                        ; implicit-def: $vgpr46
.LBB12_1612:
	s_or_saveexec_b32 s47, s66
	s_mov_b32 s0, 0
                                        ; implicit-def: $vgpr4_vgpr5
                                        ; implicit-def: $sgpr1
                                        ; implicit-def: $vgpr0_vgpr1
	s_xor_b32 exec_lo, exec_lo, s47
	s_cbranch_execz .LBB12_2717
; %bb.1613:
	v_cndmask_b32_e64 v1, 0, 1, s65
	s_and_not1_b32 vcc_lo, exec_lo, s65
	s_cbranch_vccnz .LBB12_1619
; %bb.1614:
	s_cmp_lg_u32 s62, 0
	s_mov_b32 s2, 0
	s_cbranch_scc0 .LBB12_1623
; %bb.1615:
	s_min_u32 s3, s63, 15
	v_dual_mov_b32 v74, 0 :: v_dual_mov_b32 v4, v46
	v_dual_mov_b32 v2, 0 :: v_dual_mov_b32 v0, 0
	s_add_co_i32 s4, s3, 1
	s_mov_b64 s[0:1], 0xffffffffffffffe8
	s_and_b32 s4, s4, 30
	s_add_nc_u64 s[0:1], s[34:35], s[0:1]
.LBB12_1616:                            ; =>This Inner Loop Header: Depth=1
	s_clause 0x1
	s_load_b128 s[8:11], s[0:1], 0x1c
	s_load_b64 s[6:7], s[0:1], 0x2c
	s_add_co_i32 s4, s4, -2
	s_delay_alu instid0(SALU_CYCLE_1) | instskip(SKIP_2) | instid1(VALU_DEP_1)
	s_cmp_lg_u32 s4, 0
	s_wait_kmcnt 0x0
	v_mul_hi_u32 v5, s9, v4
	v_add_nc_u32_e32 v5, v4, v5
	s_delay_alu instid0(VALU_DEP_1) | instskip(NEXT) | instid1(VALU_DEP_1)
	v_lshrrev_b32_e32 v5, s10, v5
	v_mul_hi_u32 v6, s6, v5
	v_mul_lo_u32 v7, v5, s8
	s_clause 0x1
	s_load_b128 s[12:15], s[0:1], 0xdc
	s_load_b64 s[8:9], s[0:1], 0xec
	s_wait_xcnt 0x0
	s_add_nc_u64 s[0:1], s[0:1], 24
	s_delay_alu instid0(VALU_DEP_1) | instskip(NEXT) | instid1(VALU_DEP_1)
	v_dual_add_nc_u32 v6, v5, v6 :: v_dual_sub_nc_u32 v7, v4, v7
	v_lshrrev_b32_e32 v4, s7, v6
	s_wait_kmcnt 0x0
	s_delay_alu instid0(VALU_DEP_2) | instskip(NEXT) | instid1(VALU_DEP_2)
	v_mad_u32 v8, v7, s12, v74
	v_mul_lo_u32 v6, v4, s11
	v_mad_u32 v0, v7, s14, v0
	v_mad_u32 v2, v7, s13, v2
	s_delay_alu instid0(VALU_DEP_3) | instskip(NEXT) | instid1(VALU_DEP_1)
	v_sub_nc_u32_e32 v5, v5, v6
	v_mad_u32 v74, v5, s15, v8
	s_delay_alu instid0(VALU_DEP_4) | instskip(NEXT) | instid1(VALU_DEP_4)
	v_mad_u32 v0, v5, s9, v0
	v_mad_u32 v2, v5, s8, v2
	s_cbranch_scc1 .LBB12_1616
; %bb.1617:
	s_bitcmp1_b32 s3, 0
	s_cselect_b32 s3, -1, 0
	s_delay_alu instid0(SALU_CYCLE_1)
	s_and_b32 vcc_lo, exec_lo, s3
	s_cbranch_vccnz .LBB12_1620
; %bb.1618:
	s_clause 0x1
	s_load_b96 s[4:6], s[0:1], 0x1c
	s_load_b96 s[8:10], s[0:1], 0xdc
	s_wait_kmcnt 0x0
	v_mul_hi_u32 v5, s5, v4
	s_delay_alu instid0(VALU_DEP_1) | instskip(NEXT) | instid1(VALU_DEP_1)
	v_add_nc_u32_e32 v5, v4, v5
	v_lshrrev_b32_e32 v5, s6, v5
	s_delay_alu instid0(VALU_DEP_1) | instskip(NEXT) | instid1(VALU_DEP_1)
	v_mul_lo_u32 v5, v5, s4
	v_sub_nc_u32_e32 v4, v4, v5
	s_delay_alu instid0(VALU_DEP_1)
	v_mad_u32 v74, v4, s8, v74
	v_mad_u32 v2, v4, s9, v2
	;; [unrolled: 1-line block ×3, first 2 shown]
	s_and_not1_b32 vcc_lo, exec_lo, s2
	s_cbranch_vccz .LBB12_1621
	s_branch .LBB12_1624
.LBB12_1619:
	s_mov_b32 s2, -1
                                        ; implicit-def: $vgpr0
                                        ; implicit-def: $vgpr2
                                        ; implicit-def: $vgpr74
.LBB12_1620:
	s_delay_alu instid0(SALU_CYCLE_1)
	s_and_not1_b32 vcc_lo, exec_lo, s2
	s_cbranch_vccnz .LBB12_1624
.LBB12_1621:
	s_clause 0x1
	s_load_b96 s[0:2], s[34:35], 0x4
	s_load_b96 s[4:6], s[34:35], 0xc4
	s_cmp_lt_u32 s62, 2
	s_wait_kmcnt 0x0
	v_mul_hi_u32 v0, s1, v46
	s_delay_alu instid0(VALU_DEP_1) | instskip(NEXT) | instid1(VALU_DEP_1)
	v_add_nc_u32_e32 v0, v46, v0
	v_lshrrev_b32_e32 v4, s2, v0
	s_delay_alu instid0(VALU_DEP_1) | instskip(NEXT) | instid1(VALU_DEP_1)
	v_mul_lo_u32 v0, v4, s0
	v_sub_nc_u32_e32 v2, v46, v0
	s_delay_alu instid0(VALU_DEP_1)
	v_mul_lo_u32 v74, v2, s4
	v_mul_lo_u32 v0, v2, s6
	;; [unrolled: 1-line block ×3, first 2 shown]
	s_cbranch_scc1 .LBB12_1624
; %bb.1622:
	s_clause 0x1
	s_load_b96 s[0:2], s[34:35], 0x10
	s_load_b96 s[4:6], s[34:35], 0xd0
	s_wait_kmcnt 0x0
	v_mul_hi_u32 v5, s1, v4
	s_delay_alu instid0(VALU_DEP_1) | instskip(NEXT) | instid1(VALU_DEP_1)
	v_add_nc_u32_e32 v5, v4, v5
	v_lshrrev_b32_e32 v5, s2, v5
	s_delay_alu instid0(VALU_DEP_1) | instskip(NEXT) | instid1(VALU_DEP_1)
	v_mul_lo_u32 v5, v5, s0
	v_sub_nc_u32_e32 v4, v4, v5
	s_delay_alu instid0(VALU_DEP_1)
	v_mad_u32 v74, v4, s4, v74
	v_mad_u32 v2, v4, s5, v2
	;; [unrolled: 1-line block ×3, first 2 shown]
	s_branch .LBB12_1624
.LBB12_1623:
	v_dual_mov_b32 v0, 0 :: v_dual_mov_b32 v2, 0
	v_mov_b32_e32 v74, 0
	s_and_not1_b32 vcc_lo, exec_lo, s2
	s_cbranch_vccz .LBB12_1621
.LBB12_1624:
	v_cmp_ne_u32_e32 vcc_lo, 1, v1
	v_add_nc_u32_e32 v4, 0x80, v46
	s_cbranch_vccnz .LBB12_1630
; %bb.1625:
	s_cmp_lg_u32 s62, 0
	s_mov_b32 s2, 0
	s_cbranch_scc0 .LBB12_1634
; %bb.1626:
	s_min_u32 s3, s63, 15
	v_dual_mov_b32 v58, 0 :: v_dual_mov_b32 v5, v4
	v_dual_mov_b32 v90, 0 :: v_dual_mov_b32 v56, 0
	s_add_co_i32 s4, s3, 1
	s_mov_b64 s[0:1], 0xffffffffffffffe8
	s_and_b32 s4, s4, 30
	s_add_nc_u64 s[0:1], s[34:35], s[0:1]
.LBB12_1627:                            ; =>This Inner Loop Header: Depth=1
	s_clause 0x1
	s_load_b128 s[8:11], s[0:1], 0x1c
	s_load_b64 s[6:7], s[0:1], 0x2c
	s_add_co_i32 s4, s4, -2
	s_delay_alu instid0(SALU_CYCLE_1) | instskip(SKIP_2) | instid1(VALU_DEP_1)
	s_cmp_lg_u32 s4, 0
	s_wait_kmcnt 0x0
	v_mul_hi_u32 v6, s9, v5
	v_add_nc_u32_e32 v6, v5, v6
	s_delay_alu instid0(VALU_DEP_1) | instskip(NEXT) | instid1(VALU_DEP_1)
	v_lshrrev_b32_e32 v6, s10, v6
	v_mul_hi_u32 v7, s6, v6
	v_mul_lo_u32 v8, v6, s8
	s_clause 0x1
	s_load_b128 s[12:15], s[0:1], 0xdc
	s_load_b64 s[8:9], s[0:1], 0xec
	s_wait_xcnt 0x0
	s_add_nc_u64 s[0:1], s[0:1], 24
	s_delay_alu instid0(VALU_DEP_1) | instskip(NEXT) | instid1(VALU_DEP_1)
	v_dual_add_nc_u32 v7, v6, v7 :: v_dual_sub_nc_u32 v8, v5, v8
	v_lshrrev_b32_e32 v5, s7, v7
	s_wait_kmcnt 0x0
	s_delay_alu instid0(VALU_DEP_2) | instskip(NEXT) | instid1(VALU_DEP_2)
	v_mad_u32 v9, v8, s12, v58
	v_mul_lo_u32 v7, v5, s11
	v_mad_u32 v10, v8, s14, v56
	v_mad_u32 v8, v8, s13, v90
	s_delay_alu instid0(VALU_DEP_3) | instskip(NEXT) | instid1(VALU_DEP_1)
	v_sub_nc_u32_e32 v6, v6, v7
	v_mad_u32 v58, v6, s15, v9
	s_delay_alu instid0(VALU_DEP_4) | instskip(NEXT) | instid1(VALU_DEP_4)
	v_mad_u32 v56, v6, s9, v10
	v_mad_u32 v90, v6, s8, v8
	s_cbranch_scc1 .LBB12_1627
; %bb.1628:
	s_bitcmp1_b32 s3, 0
	s_cselect_b32 s3, -1, 0
	s_delay_alu instid0(SALU_CYCLE_1)
	s_and_b32 vcc_lo, exec_lo, s3
	s_cbranch_vccnz .LBB12_1631
; %bb.1629:
	s_clause 0x1
	s_load_b96 s[4:6], s[0:1], 0x1c
	s_load_b96 s[8:10], s[0:1], 0xdc
	s_wait_kmcnt 0x0
	v_mul_hi_u32 v6, s5, v5
	s_delay_alu instid0(VALU_DEP_1) | instskip(NEXT) | instid1(VALU_DEP_1)
	v_add_nc_u32_e32 v6, v5, v6
	v_lshrrev_b32_e32 v6, s6, v6
	s_delay_alu instid0(VALU_DEP_1) | instskip(NEXT) | instid1(VALU_DEP_1)
	v_mul_lo_u32 v6, v6, s4
	v_sub_nc_u32_e32 v5, v5, v6
	s_delay_alu instid0(VALU_DEP_1)
	v_mad_u32 v58, v5, s8, v58
	v_mad_u32 v90, v5, s9, v90
	;; [unrolled: 1-line block ×3, first 2 shown]
	s_and_not1_b32 vcc_lo, exec_lo, s2
	s_cbranch_vccz .LBB12_1632
	s_branch .LBB12_1635
.LBB12_1630:
	s_mov_b32 s2, -1
                                        ; implicit-def: $vgpr56
                                        ; implicit-def: $vgpr90
                                        ; implicit-def: $vgpr58
.LBB12_1631:
	s_delay_alu instid0(SALU_CYCLE_1)
	s_and_not1_b32 vcc_lo, exec_lo, s2
	s_cbranch_vccnz .LBB12_1635
.LBB12_1632:
	s_clause 0x1
	s_load_b96 s[0:2], s[34:35], 0x4
	s_load_b96 s[4:6], s[34:35], 0xc4
	s_cmp_lt_u32 s62, 2
	s_wait_kmcnt 0x0
	v_mul_hi_u32 v5, s1, v4
	s_delay_alu instid0(VALU_DEP_1) | instskip(NEXT) | instid1(VALU_DEP_1)
	v_add_nc_u32_e32 v5, v4, v5
	v_lshrrev_b32_e32 v5, s2, v5
	s_delay_alu instid0(VALU_DEP_1) | instskip(NEXT) | instid1(VALU_DEP_1)
	v_mul_lo_u32 v6, v5, s0
	v_sub_nc_u32_e32 v4, v4, v6
	s_delay_alu instid0(VALU_DEP_1)
	v_mul_lo_u32 v58, v4, s4
	v_mul_lo_u32 v56, v4, s6
	;; [unrolled: 1-line block ×3, first 2 shown]
	s_cbranch_scc1 .LBB12_1635
; %bb.1633:
	s_clause 0x1
	s_load_b96 s[0:2], s[34:35], 0x10
	s_load_b96 s[4:6], s[34:35], 0xd0
	s_wait_kmcnt 0x0
	v_mul_hi_u32 v4, s1, v5
	s_delay_alu instid0(VALU_DEP_1) | instskip(NEXT) | instid1(VALU_DEP_1)
	v_add_nc_u32_e32 v4, v5, v4
	v_lshrrev_b32_e32 v4, s2, v4
	s_delay_alu instid0(VALU_DEP_1) | instskip(NEXT) | instid1(VALU_DEP_1)
	v_mul_lo_u32 v4, v4, s0
	v_sub_nc_u32_e32 v4, v5, v4
	s_delay_alu instid0(VALU_DEP_1)
	v_mad_u32 v58, v4, s4, v58
	v_mad_u32 v90, v4, s5, v90
	;; [unrolled: 1-line block ×3, first 2 shown]
	s_branch .LBB12_1635
.LBB12_1634:
	v_dual_mov_b32 v56, 0 :: v_dual_mov_b32 v90, 0
	v_mov_b32_e32 v58, 0
	s_and_not1_b32 vcc_lo, exec_lo, s2
	s_cbranch_vccz .LBB12_1632
.LBB12_1635:
	v_cmp_ne_u32_e32 vcc_lo, 1, v1
	v_add_nc_u32_e32 v4, 0x100, v46
	s_cbranch_vccnz .LBB12_1641
; %bb.1636:
	s_cmp_lg_u32 s62, 0
	s_mov_b32 s2, 0
	s_cbranch_scc0 .LBB12_1645
; %bb.1637:
	s_min_u32 s3, s63, 15
	v_dual_mov_b32 v62, 0 :: v_dual_mov_b32 v5, v4
	v_dual_mov_b32 v88, 0 :: v_dual_mov_b32 v60, 0
	s_add_co_i32 s4, s3, 1
	s_mov_b64 s[0:1], 0xffffffffffffffe8
	s_and_b32 s4, s4, 30
	s_add_nc_u64 s[0:1], s[34:35], s[0:1]
.LBB12_1638:                            ; =>This Inner Loop Header: Depth=1
	s_clause 0x1
	s_load_b128 s[8:11], s[0:1], 0x1c
	s_load_b64 s[6:7], s[0:1], 0x2c
	s_add_co_i32 s4, s4, -2
	s_delay_alu instid0(SALU_CYCLE_1) | instskip(SKIP_2) | instid1(VALU_DEP_1)
	s_cmp_lg_u32 s4, 0
	s_wait_kmcnt 0x0
	v_mul_hi_u32 v6, s9, v5
	v_add_nc_u32_e32 v6, v5, v6
	s_delay_alu instid0(VALU_DEP_1) | instskip(NEXT) | instid1(VALU_DEP_1)
	v_lshrrev_b32_e32 v6, s10, v6
	v_mul_hi_u32 v7, s6, v6
	v_mul_lo_u32 v8, v6, s8
	s_clause 0x1
	s_load_b128 s[12:15], s[0:1], 0xdc
	s_load_b64 s[8:9], s[0:1], 0xec
	s_wait_xcnt 0x0
	s_add_nc_u64 s[0:1], s[0:1], 24
	s_delay_alu instid0(VALU_DEP_1) | instskip(NEXT) | instid1(VALU_DEP_1)
	v_dual_add_nc_u32 v7, v6, v7 :: v_dual_sub_nc_u32 v8, v5, v8
	v_lshrrev_b32_e32 v5, s7, v7
	s_wait_kmcnt 0x0
	s_delay_alu instid0(VALU_DEP_2) | instskip(NEXT) | instid1(VALU_DEP_2)
	v_mad_u32 v9, v8, s12, v62
	v_mul_lo_u32 v7, v5, s11
	v_mad_u32 v10, v8, s14, v60
	v_mad_u32 v8, v8, s13, v88
	s_delay_alu instid0(VALU_DEP_3) | instskip(NEXT) | instid1(VALU_DEP_1)
	v_sub_nc_u32_e32 v6, v6, v7
	v_mad_u32 v62, v6, s15, v9
	s_delay_alu instid0(VALU_DEP_4) | instskip(NEXT) | instid1(VALU_DEP_4)
	v_mad_u32 v60, v6, s9, v10
	v_mad_u32 v88, v6, s8, v8
	s_cbranch_scc1 .LBB12_1638
; %bb.1639:
	s_bitcmp1_b32 s3, 0
	s_cselect_b32 s3, -1, 0
	s_delay_alu instid0(SALU_CYCLE_1)
	s_and_b32 vcc_lo, exec_lo, s3
	s_cbranch_vccnz .LBB12_1642
; %bb.1640:
	s_clause 0x1
	s_load_b96 s[4:6], s[0:1], 0x1c
	s_load_b96 s[8:10], s[0:1], 0xdc
	s_wait_kmcnt 0x0
	v_mul_hi_u32 v6, s5, v5
	s_delay_alu instid0(VALU_DEP_1) | instskip(NEXT) | instid1(VALU_DEP_1)
	v_add_nc_u32_e32 v6, v5, v6
	v_lshrrev_b32_e32 v6, s6, v6
	s_delay_alu instid0(VALU_DEP_1) | instskip(NEXT) | instid1(VALU_DEP_1)
	v_mul_lo_u32 v6, v6, s4
	v_sub_nc_u32_e32 v5, v5, v6
	s_delay_alu instid0(VALU_DEP_1)
	v_mad_u32 v62, v5, s8, v62
	v_mad_u32 v88, v5, s9, v88
	;; [unrolled: 1-line block ×3, first 2 shown]
	s_and_not1_b32 vcc_lo, exec_lo, s2
	s_cbranch_vccz .LBB12_1643
	s_branch .LBB12_1646
.LBB12_1641:
	s_mov_b32 s2, -1
                                        ; implicit-def: $vgpr60
                                        ; implicit-def: $vgpr88
                                        ; implicit-def: $vgpr62
.LBB12_1642:
	s_delay_alu instid0(SALU_CYCLE_1)
	s_and_not1_b32 vcc_lo, exec_lo, s2
	s_cbranch_vccnz .LBB12_1646
.LBB12_1643:
	s_clause 0x1
	s_load_b96 s[0:2], s[34:35], 0x4
	s_load_b96 s[4:6], s[34:35], 0xc4
	s_cmp_lt_u32 s62, 2
	s_wait_kmcnt 0x0
	v_mul_hi_u32 v5, s1, v4
	s_delay_alu instid0(VALU_DEP_1) | instskip(NEXT) | instid1(VALU_DEP_1)
	v_add_nc_u32_e32 v5, v4, v5
	v_lshrrev_b32_e32 v5, s2, v5
	s_delay_alu instid0(VALU_DEP_1) | instskip(NEXT) | instid1(VALU_DEP_1)
	v_mul_lo_u32 v6, v5, s0
	v_sub_nc_u32_e32 v4, v4, v6
	s_delay_alu instid0(VALU_DEP_1)
	v_mul_lo_u32 v62, v4, s4
	v_mul_lo_u32 v60, v4, s6
	;; [unrolled: 1-line block ×3, first 2 shown]
	s_cbranch_scc1 .LBB12_1646
; %bb.1644:
	s_clause 0x1
	s_load_b96 s[0:2], s[34:35], 0x10
	s_load_b96 s[4:6], s[34:35], 0xd0
	s_wait_kmcnt 0x0
	v_mul_hi_u32 v4, s1, v5
	s_delay_alu instid0(VALU_DEP_1) | instskip(NEXT) | instid1(VALU_DEP_1)
	v_add_nc_u32_e32 v4, v5, v4
	v_lshrrev_b32_e32 v4, s2, v4
	s_delay_alu instid0(VALU_DEP_1) | instskip(NEXT) | instid1(VALU_DEP_1)
	v_mul_lo_u32 v4, v4, s0
	v_sub_nc_u32_e32 v4, v5, v4
	s_delay_alu instid0(VALU_DEP_1)
	v_mad_u32 v62, v4, s4, v62
	v_mad_u32 v88, v4, s5, v88
	v_mad_u32 v60, v4, s6, v60
	s_branch .LBB12_1646
.LBB12_1645:
	v_dual_mov_b32 v60, 0 :: v_dual_mov_b32 v88, 0
	v_mov_b32_e32 v62, 0
	s_and_not1_b32 vcc_lo, exec_lo, s2
	s_cbranch_vccz .LBB12_1643
.LBB12_1646:
	v_cmp_ne_u32_e32 vcc_lo, 1, v1
	s_cbranch_vccnz .LBB12_1652
; %bb.1647:
	s_cmp_lg_u32 s62, 0
	s_mov_b32 s2, 0
	s_cbranch_scc0 .LBB12_1656
; %bb.1648:
	s_min_u32 s3, s63, 15
	v_dual_mov_b32 v72, 0 :: v_dual_mov_b32 v1, v3
	v_dual_mov_b32 v78, 0 :: v_dual_mov_b32 v76, 0
	s_add_co_i32 s4, s3, 1
	s_mov_b64 s[0:1], 0xffffffffffffffe8
	s_and_b32 s4, s4, 30
	s_add_nc_u64 s[0:1], s[34:35], s[0:1]
.LBB12_1649:                            ; =>This Inner Loop Header: Depth=1
	s_clause 0x1
	s_load_b128 s[8:11], s[0:1], 0x1c
	s_load_b64 s[6:7], s[0:1], 0x2c
	s_add_co_i32 s4, s4, -2
	s_delay_alu instid0(SALU_CYCLE_1) | instskip(SKIP_2) | instid1(VALU_DEP_1)
	s_cmp_lg_u32 s4, 0
	s_wait_kmcnt 0x0
	v_mul_hi_u32 v4, s9, v1
	v_add_nc_u32_e32 v4, v1, v4
	s_delay_alu instid0(VALU_DEP_1) | instskip(NEXT) | instid1(VALU_DEP_1)
	v_lshrrev_b32_e32 v4, s10, v4
	v_mul_hi_u32 v5, s6, v4
	v_mul_lo_u32 v6, v4, s8
	s_clause 0x1
	s_load_b128 s[12:15], s[0:1], 0xdc
	s_load_b64 s[8:9], s[0:1], 0xec
	s_wait_xcnt 0x0
	s_add_nc_u64 s[0:1], s[0:1], 24
	s_delay_alu instid0(VALU_DEP_1) | instskip(NEXT) | instid1(VALU_DEP_1)
	v_dual_add_nc_u32 v5, v4, v5 :: v_dual_sub_nc_u32 v6, v1, v6
	v_lshrrev_b32_e32 v1, s7, v5
	s_wait_kmcnt 0x0
	s_delay_alu instid0(VALU_DEP_2) | instskip(NEXT) | instid1(VALU_DEP_2)
	v_mad_u32 v7, v6, s12, v72
	v_mul_lo_u32 v5, v1, s11
	v_mad_u32 v8, v6, s14, v76
	v_mad_u32 v6, v6, s13, v78
	s_delay_alu instid0(VALU_DEP_3) | instskip(NEXT) | instid1(VALU_DEP_1)
	v_sub_nc_u32_e32 v4, v4, v5
	v_mad_u32 v72, v4, s15, v7
	s_delay_alu instid0(VALU_DEP_4) | instskip(NEXT) | instid1(VALU_DEP_4)
	v_mad_u32 v76, v4, s9, v8
	v_mad_u32 v78, v4, s8, v6
	s_cbranch_scc1 .LBB12_1649
; %bb.1650:
	s_bitcmp1_b32 s3, 0
	s_cselect_b32 s3, -1, 0
	s_delay_alu instid0(SALU_CYCLE_1)
	s_and_b32 vcc_lo, exec_lo, s3
	s_cbranch_vccnz .LBB12_1653
; %bb.1651:
	s_clause 0x1
	s_load_b96 s[4:6], s[0:1], 0x1c
	s_load_b96 s[8:10], s[0:1], 0xdc
	s_wait_kmcnt 0x0
	v_mul_hi_u32 v4, s5, v1
	s_delay_alu instid0(VALU_DEP_1) | instskip(NEXT) | instid1(VALU_DEP_1)
	v_add_nc_u32_e32 v4, v1, v4
	v_lshrrev_b32_e32 v4, s6, v4
	s_delay_alu instid0(VALU_DEP_1) | instskip(NEXT) | instid1(VALU_DEP_1)
	v_mul_lo_u32 v4, v4, s4
	v_sub_nc_u32_e32 v1, v1, v4
	s_delay_alu instid0(VALU_DEP_1)
	v_mad_u32 v72, v1, s8, v72
	v_mad_u32 v78, v1, s9, v78
	;; [unrolled: 1-line block ×3, first 2 shown]
	s_and_not1_b32 vcc_lo, exec_lo, s2
	s_cbranch_vccz .LBB12_1654
	s_branch .LBB12_1657
.LBB12_1652:
	s_mov_b32 s2, -1
                                        ; implicit-def: $vgpr76
                                        ; implicit-def: $vgpr78
                                        ; implicit-def: $vgpr72
.LBB12_1653:
	s_delay_alu instid0(SALU_CYCLE_1)
	s_and_not1_b32 vcc_lo, exec_lo, s2
	s_cbranch_vccnz .LBB12_1657
.LBB12_1654:
	s_clause 0x1
	s_load_b96 s[0:2], s[34:35], 0x4
	s_load_b96 s[4:6], s[34:35], 0xc4
	s_cmp_lt_u32 s62, 2
	s_wait_kmcnt 0x0
	v_mul_hi_u32 v1, s1, v3
	s_delay_alu instid0(VALU_DEP_1) | instskip(NEXT) | instid1(VALU_DEP_1)
	v_add_nc_u32_e32 v1, v3, v1
	v_lshrrev_b32_e32 v1, s2, v1
	s_delay_alu instid0(VALU_DEP_1) | instskip(NEXT) | instid1(VALU_DEP_1)
	v_mul_lo_u32 v4, v1, s0
	v_sub_nc_u32_e32 v3, v3, v4
	s_delay_alu instid0(VALU_DEP_1)
	v_mul_lo_u32 v72, v3, s4
	v_mul_lo_u32 v76, v3, s6
	;; [unrolled: 1-line block ×3, first 2 shown]
	s_cbranch_scc1 .LBB12_1657
; %bb.1655:
	s_clause 0x1
	s_load_b96 s[0:2], s[34:35], 0x10
	s_load_b96 s[4:6], s[34:35], 0xd0
	s_wait_kmcnt 0x0
	v_mul_hi_u32 v3, s1, v1
	s_delay_alu instid0(VALU_DEP_1) | instskip(NEXT) | instid1(VALU_DEP_1)
	v_add_nc_u32_e32 v3, v1, v3
	v_lshrrev_b32_e32 v3, s2, v3
	s_delay_alu instid0(VALU_DEP_1) | instskip(NEXT) | instid1(VALU_DEP_1)
	v_mul_lo_u32 v3, v3, s0
	v_sub_nc_u32_e32 v1, v1, v3
	s_delay_alu instid0(VALU_DEP_1)
	v_mad_u32 v72, v1, s4, v72
	v_mad_u32 v78, v1, s5, v78
	;; [unrolled: 1-line block ×3, first 2 shown]
	s_branch .LBB12_1657
.LBB12_1656:
	v_dual_mov_b32 v76, 0 :: v_dual_mov_b32 v78, 0
	v_mov_b32_e32 v72, 0
	s_and_not1_b32 vcc_lo, exec_lo, s2
	s_cbranch_vccz .LBB12_1654
.LBB12_1657:
	v_mov_b32_e32 v3, 0
	s_load_b128 s[36:39], s[34:35], 0x188
	global_load_u8 v1, v3, s[34:35] offset:418
	s_wait_kmcnt 0x0
	v_add_nc_u64_e32 v[2:3], s[38:39], v[2:3]
	s_wait_loadcnt 0x0
	v_and_b32_e32 v4, 0xffff, v1
	v_readfirstlane_b32 s50, v1
	s_delay_alu instid0(VALU_DEP_2)
	v_cmp_gt_i32_e32 vcc_lo, 11, v4
	s_cbranch_vccnz .LBB12_1664
; %bb.1658:
	s_and_b32 s0, 0xffff, s50
	s_mov_b32 s2, 0
	s_cmp_gt_i32 s0, 25
	s_cbranch_scc0 .LBB12_1666
; %bb.1659:
	s_cmp_gt_i32 s0, 28
	s_cbranch_scc0 .LBB12_1667
; %bb.1660:
	;; [unrolled: 3-line block ×4, first 2 shown]
	s_cmp_eq_u32 s0, 46
	s_mov_b32 s4, 0
	s_cbranch_scc0 .LBB12_1672
; %bb.1663:
	global_load_b32 v1, v[2:3], off
	s_mov_b32 s1, 0
	s_mov_b32 s3, -1
	s_wait_loadcnt 0x0
	v_lshlrev_b32_e32 v1, 16, v1
	s_delay_alu instid0(VALU_DEP_1)
	v_cvt_f64_f32_e32 v[44:45], v1
	s_branch .LBB12_1674
.LBB12_1664:
	s_mov_b32 s3, 0
	s_mov_b32 s48, s46
                                        ; implicit-def: $vgpr44_vgpr45
	s_cbranch_execnz .LBB12_1737
.LBB12_1665:
	s_and_not1_b32 vcc_lo, exec_lo, s3
                                        ; implicit-def: $vgpr2_vgpr3
	s_cbranch_vccz .LBB12_1782
	s_branch .LBB12_2715
.LBB12_1666:
	s_mov_b32 s3, 0
	s_mov_b32 s1, 0
                                        ; implicit-def: $vgpr44_vgpr45
	s_cbranch_execnz .LBB12_1702
	s_branch .LBB12_1733
.LBB12_1667:
	s_mov_b32 s4, -1
	s_mov_b32 s3, 0
	s_mov_b32 s1, 0
                                        ; implicit-def: $vgpr44_vgpr45
	s_branch .LBB12_1683
.LBB12_1668:
	s_mov_b32 s3, 0
	s_mov_b32 s1, 0
                                        ; implicit-def: $vgpr44_vgpr45
	s_cbranch_execnz .LBB12_1679
	s_branch .LBB12_1682
.LBB12_1669:
	s_mov_b32 s4, -1
	s_mov_b32 s3, 0
	s_mov_b32 s1, 0
	s_branch .LBB12_1673
.LBB12_1670:
	s_and_not1_saveexec_b32 s5, s5
	s_cbranch_execz .LBB12_1525
.LBB12_1671:
	v_add_f32_e64 v3, 0x46000000, |v2|
	s_and_not1_b32 s4, s4, exec_lo
	s_delay_alu instid0(VALU_DEP_1) | instskip(NEXT) | instid1(VALU_DEP_1)
	v_and_b32_e32 v3, 0xff, v3
	v_cmp_ne_u32_e32 vcc_lo, 0, v3
	s_and_b32 s6, vcc_lo, exec_lo
	s_delay_alu instid0(SALU_CYCLE_1)
	s_or_b32 s4, s4, s6
	s_or_b32 exec_lo, exec_lo, s5
	v_mov_b32_e32 v6, 0
	s_and_saveexec_b32 s5, s4
	s_cbranch_execnz .LBB12_1526
	s_branch .LBB12_1527
.LBB12_1672:
	s_mov_b32 s1, -1
	s_mov_b32 s3, 0
.LBB12_1673:
                                        ; implicit-def: $vgpr44_vgpr45
.LBB12_1674:
	s_and_b32 vcc_lo, exec_lo, s4
	s_cbranch_vccz .LBB12_1677
; %bb.1675:
	s_cmp_eq_u32 s0, 44
	s_cbranch_scc0 .LBB12_1678
; %bb.1676:
	global_load_u8 v1, v[2:3], off
	s_mov_b32 s1, 0
	s_mov_b32 s3, -1
	s_wait_loadcnt 0x0
	v_lshlrev_b32_e32 v4, 23, v1
	v_cmp_ne_u32_e32 vcc_lo, 0xff, v1
	s_delay_alu instid0(VALU_DEP_2) | instskip(NEXT) | instid1(VALU_DEP_1)
	v_cvt_f64_f32_e32 v[4:5], v4
	v_cndmask_b32_e32 v4, 0x20000000, v4, vcc_lo
	s_delay_alu instid0(VALU_DEP_2) | instskip(SKIP_1) | instid1(VALU_DEP_2)
	v_cndmask_b32_e32 v5, 0x7ff80000, v5, vcc_lo
	v_cmp_ne_u32_e32 vcc_lo, 0, v1
	v_cndmask_b32_e32 v45, 0x38000000, v5, vcc_lo
	s_delay_alu instid0(VALU_DEP_4)
	v_cndmask_b32_e32 v44, 0, v4, vcc_lo
.LBB12_1677:
	s_branch .LBB12_1682
.LBB12_1678:
	s_mov_b32 s1, -1
                                        ; implicit-def: $vgpr44_vgpr45
	s_branch .LBB12_1682
.LBB12_1679:
	s_cmp_eq_u32 s0, 29
	s_cbranch_scc0 .LBB12_1681
; %bb.1680:
	global_load_b64 v[4:5], v[2:3], off
	s_mov_b32 s1, 0
	s_mov_b32 s3, -1
	s_mov_b32 s4, 0
	s_wait_loadcnt 0x0
	v_cvt_f64_u32_e32 v[6:7], v5
	v_cvt_f64_u32_e32 v[4:5], v4
	s_delay_alu instid0(VALU_DEP_2) | instskip(NEXT) | instid1(VALU_DEP_1)
	v_ldexp_f64 v[6:7], v[6:7], 32
	v_add_f64_e32 v[44:45], v[6:7], v[4:5]
	s_branch .LBB12_1683
.LBB12_1681:
	s_mov_b32 s1, -1
                                        ; implicit-def: $vgpr44_vgpr45
.LBB12_1682:
	s_mov_b32 s4, 0
.LBB12_1683:
	s_delay_alu instid0(SALU_CYCLE_1)
	s_and_b32 vcc_lo, exec_lo, s4
	s_cbranch_vccz .LBB12_1701
; %bb.1684:
	s_cmp_lt_i32 s0, 27
	s_cbranch_scc1 .LBB12_1687
; %bb.1685:
	s_cmp_gt_i32 s0, 27
	s_cbranch_scc0 .LBB12_1688
; %bb.1686:
	global_load_b32 v1, v[2:3], off
	s_mov_b32 s3, 0
	s_wait_loadcnt 0x0
	v_cvt_f64_u32_e32 v[44:45], v1
	s_branch .LBB12_1689
.LBB12_1687:
	s_mov_b32 s3, -1
                                        ; implicit-def: $vgpr44_vgpr45
	s_branch .LBB12_1692
.LBB12_1688:
	s_mov_b32 s3, -1
                                        ; implicit-def: $vgpr44_vgpr45
.LBB12_1689:
	s_delay_alu instid0(SALU_CYCLE_1)
	s_and_not1_b32 vcc_lo, exec_lo, s3
	s_cbranch_vccnz .LBB12_1691
; %bb.1690:
	global_load_u16 v1, v[2:3], off
	s_wait_loadcnt 0x0
	v_cvt_f64_u32_e32 v[44:45], v1
.LBB12_1691:
	s_mov_b32 s3, 0
.LBB12_1692:
	s_delay_alu instid0(SALU_CYCLE_1)
	s_and_not1_b32 vcc_lo, exec_lo, s3
	s_cbranch_vccnz .LBB12_1700
; %bb.1693:
	global_load_u8 v1, v[2:3], off
	s_mov_b32 s3, 0
	s_mov_b32 s4, exec_lo
	s_wait_loadcnt 0x0
	v_cmpx_lt_i16_e32 0x7f, v1
	s_xor_b32 s4, exec_lo, s4
	s_cbranch_execz .LBB12_1713
; %bb.1694:
	s_mov_b32 s3, -1
	s_mov_b32 s5, exec_lo
	v_cmpx_eq_u16_e32 0x80, v1
; %bb.1695:
	s_xor_b32 s3, exec_lo, -1
; %bb.1696:
	s_or_b32 exec_lo, exec_lo, s5
	s_delay_alu instid0(SALU_CYCLE_1)
	s_and_b32 s3, s3, exec_lo
	s_or_saveexec_b32 s4, s4
	v_mov_b64_e32 v[44:45], 0x7ff8000020000000
	s_xor_b32 exec_lo, exec_lo, s4
	s_cbranch_execnz .LBB12_1714
.LBB12_1697:
	s_or_b32 exec_lo, exec_lo, s4
	s_and_saveexec_b32 s4, s3
	s_cbranch_execz .LBB12_1699
.LBB12_1698:
	v_and_b32_e32 v4, 0xffff, v1
	s_delay_alu instid0(VALU_DEP_1) | instskip(SKIP_1) | instid1(VALU_DEP_2)
	v_and_b32_e32 v5, 7, v4
	v_bfe_u32 v8, v4, 3, 4
	v_clz_i32_u32_e32 v6, v5
	s_delay_alu instid0(VALU_DEP_2) | instskip(NEXT) | instid1(VALU_DEP_2)
	v_cmp_eq_u32_e32 vcc_lo, 0, v8
	v_min_u32_e32 v6, 32, v6
	s_delay_alu instid0(VALU_DEP_1) | instskip(NEXT) | instid1(VALU_DEP_1)
	v_subrev_nc_u32_e32 v7, 28, v6
	v_dual_lshlrev_b32 v4, v7, v4 :: v_dual_sub_nc_u32 v6, 29, v6
	s_delay_alu instid0(VALU_DEP_1) | instskip(NEXT) | instid1(VALU_DEP_1)
	v_dual_lshlrev_b32 v1, 24, v1 :: v_dual_bitop2_b32 v4, 7, v4 bitop3:0x40
	v_dual_cndmask_b32 v6, v8, v6, vcc_lo :: v_dual_cndmask_b32 v4, v5, v4, vcc_lo
	s_delay_alu instid0(VALU_DEP_2) | instskip(NEXT) | instid1(VALU_DEP_2)
	v_and_b32_e32 v1, 0x80000000, v1
	v_lshl_add_u32 v5, v6, 23, 0x3b800000
	s_delay_alu instid0(VALU_DEP_3) | instskip(NEXT) | instid1(VALU_DEP_1)
	v_lshlrev_b32_e32 v4, 20, v4
	v_or3_b32 v1, v1, v5, v4
	s_delay_alu instid0(VALU_DEP_1)
	v_cvt_f64_f32_e32 v[44:45], v1
.LBB12_1699:
	s_or_b32 exec_lo, exec_lo, s4
.LBB12_1700:
	s_mov_b32 s3, -1
.LBB12_1701:
	s_branch .LBB12_1733
.LBB12_1702:
	s_cmp_gt_i32 s0, 22
	s_cbranch_scc0 .LBB12_1712
; %bb.1703:
	s_cmp_lt_i32 s0, 24
	s_cbranch_scc1 .LBB12_1715
; %bb.1704:
	s_cmp_gt_i32 s0, 24
	s_cbranch_scc0 .LBB12_1716
; %bb.1705:
	global_load_u8 v1, v[2:3], off
	s_mov_b32 s3, exec_lo
	s_wait_loadcnt 0x0
	v_cmpx_lt_i16_e32 0x7f, v1
	s_xor_b32 s3, exec_lo, s3
	s_cbranch_execz .LBB12_1727
; %bb.1706:
	s_mov_b32 s2, -1
	s_mov_b32 s4, exec_lo
	v_cmpx_eq_u16_e32 0x80, v1
; %bb.1707:
	s_xor_b32 s2, exec_lo, -1
; %bb.1708:
	s_or_b32 exec_lo, exec_lo, s4
	s_delay_alu instid0(SALU_CYCLE_1)
	s_and_b32 s2, s2, exec_lo
	s_or_saveexec_b32 s3, s3
	v_mov_b64_e32 v[44:45], 0x7ff8000020000000
	s_xor_b32 exec_lo, exec_lo, s3
	s_cbranch_execnz .LBB12_1728
.LBB12_1709:
	s_or_b32 exec_lo, exec_lo, s3
	s_and_saveexec_b32 s3, s2
	s_cbranch_execz .LBB12_1711
.LBB12_1710:
	v_and_b32_e32 v4, 0xffff, v1
	s_delay_alu instid0(VALU_DEP_1) | instskip(SKIP_1) | instid1(VALU_DEP_2)
	v_and_b32_e32 v5, 3, v4
	v_bfe_u32 v8, v4, 2, 5
	v_clz_i32_u32_e32 v6, v5
	s_delay_alu instid0(VALU_DEP_2) | instskip(NEXT) | instid1(VALU_DEP_2)
	v_cmp_eq_u32_e32 vcc_lo, 0, v8
	v_min_u32_e32 v6, 32, v6
	s_delay_alu instid0(VALU_DEP_1) | instskip(NEXT) | instid1(VALU_DEP_1)
	v_subrev_nc_u32_e32 v7, 29, v6
	v_dual_lshlrev_b32 v4, v7, v4 :: v_dual_sub_nc_u32 v6, 30, v6
	s_delay_alu instid0(VALU_DEP_1) | instskip(NEXT) | instid1(VALU_DEP_1)
	v_dual_lshlrev_b32 v1, 24, v1 :: v_dual_bitop2_b32 v4, 3, v4 bitop3:0x40
	v_dual_cndmask_b32 v6, v8, v6, vcc_lo :: v_dual_cndmask_b32 v4, v5, v4, vcc_lo
	s_delay_alu instid0(VALU_DEP_2) | instskip(NEXT) | instid1(VALU_DEP_2)
	v_and_b32_e32 v1, 0x80000000, v1
	v_lshl_add_u32 v5, v6, 23, 0x37800000
	s_delay_alu instid0(VALU_DEP_3) | instskip(NEXT) | instid1(VALU_DEP_1)
	v_lshlrev_b32_e32 v4, 21, v4
	v_or3_b32 v1, v1, v5, v4
	s_delay_alu instid0(VALU_DEP_1)
	v_cvt_f64_f32_e32 v[44:45], v1
.LBB12_1711:
	s_or_b32 exec_lo, exec_lo, s3
	s_mov_b32 s2, 0
	s_branch .LBB12_1717
.LBB12_1712:
                                        ; implicit-def: $vgpr44_vgpr45
	s_mov_b32 s2, 0
	s_branch .LBB12_1723
.LBB12_1713:
	s_or_saveexec_b32 s4, s4
	v_mov_b64_e32 v[44:45], 0x7ff8000020000000
	s_xor_b32 exec_lo, exec_lo, s4
	s_cbranch_execz .LBB12_1697
.LBB12_1714:
	v_cmp_ne_u16_e32 vcc_lo, 0, v1
	v_mov_b64_e32 v[44:45], 0
	s_and_not1_b32 s3, s3, exec_lo
	s_and_b32 s5, vcc_lo, exec_lo
	s_delay_alu instid0(SALU_CYCLE_1)
	s_or_b32 s3, s3, s5
	s_or_b32 exec_lo, exec_lo, s4
	s_and_saveexec_b32 s4, s3
	s_cbranch_execnz .LBB12_1698
	s_branch .LBB12_1699
.LBB12_1715:
	s_mov_b32 s2, -1
                                        ; implicit-def: $vgpr44_vgpr45
	s_branch .LBB12_1720
.LBB12_1716:
	s_mov_b32 s2, -1
                                        ; implicit-def: $vgpr44_vgpr45
.LBB12_1717:
	s_delay_alu instid0(SALU_CYCLE_1)
	s_and_b32 vcc_lo, exec_lo, s2
	s_cbranch_vccz .LBB12_1719
; %bb.1718:
	global_load_u8 v1, v[2:3], off
	s_wait_loadcnt 0x0
	v_lshlrev_b32_e32 v1, 24, v1
	s_delay_alu instid0(VALU_DEP_1) | instskip(NEXT) | instid1(VALU_DEP_1)
	v_and_b32_e32 v4, 0x7f000000, v1
	v_clz_i32_u32_e32 v5, v4
	v_cmp_ne_u32_e32 vcc_lo, 0, v4
	v_add_nc_u32_e32 v7, 0x1000000, v4
	s_delay_alu instid0(VALU_DEP_3) | instskip(NEXT) | instid1(VALU_DEP_1)
	v_min_u32_e32 v5, 32, v5
	v_sub_nc_u32_e64 v5, v5, 4 clamp
	s_delay_alu instid0(VALU_DEP_1) | instskip(NEXT) | instid1(VALU_DEP_1)
	v_dual_lshlrev_b32 v6, v5, v4 :: v_dual_lshlrev_b32 v5, 23, v5
	v_lshrrev_b32_e32 v6, 4, v6
	s_delay_alu instid0(VALU_DEP_1) | instskip(NEXT) | instid1(VALU_DEP_1)
	v_dual_sub_nc_u32 v5, v6, v5 :: v_dual_ashrrev_i32 v6, 8, v7
	v_add_nc_u32_e32 v5, 0x3c000000, v5
	s_delay_alu instid0(VALU_DEP_1) | instskip(NEXT) | instid1(VALU_DEP_1)
	v_and_or_b32 v5, 0x7f800000, v6, v5
	v_cndmask_b32_e32 v4, 0, v5, vcc_lo
	s_delay_alu instid0(VALU_DEP_1) | instskip(NEXT) | instid1(VALU_DEP_1)
	v_and_or_b32 v1, 0x80000000, v1, v4
	v_cvt_f64_f32_e32 v[44:45], v1
.LBB12_1719:
	s_mov_b32 s2, 0
.LBB12_1720:
	s_delay_alu instid0(SALU_CYCLE_1)
	s_and_not1_b32 vcc_lo, exec_lo, s2
	s_cbranch_vccnz .LBB12_1722
; %bb.1721:
	global_load_u8 v1, v[2:3], off
	s_wait_loadcnt 0x0
	v_lshlrev_b32_e32 v4, 25, v1
	v_lshlrev_b16 v1, 8, v1
	s_delay_alu instid0(VALU_DEP_1) | instskip(SKIP_1) | instid1(VALU_DEP_2)
	v_and_or_b32 v6, 0x7f00, v1, 0.5
	v_bfe_i32 v1, v1, 0, 16
	v_dual_add_f32 v6, -0.5, v6 :: v_dual_lshrrev_b32 v5, 4, v4
	v_cmp_gt_u32_e32 vcc_lo, 0x8000000, v4
	s_delay_alu instid0(VALU_DEP_2) | instskip(NEXT) | instid1(VALU_DEP_1)
	v_or_b32_e32 v5, 0x70000000, v5
	v_mul_f32_e32 v5, 0x7800000, v5
	s_delay_alu instid0(VALU_DEP_1) | instskip(NEXT) | instid1(VALU_DEP_1)
	v_cndmask_b32_e32 v4, v5, v6, vcc_lo
	v_and_or_b32 v1, 0x80000000, v1, v4
	s_delay_alu instid0(VALU_DEP_1)
	v_cvt_f64_f32_e32 v[44:45], v1
.LBB12_1722:
	s_mov_b32 s3, -1
	s_mov_b32 s2, 0
	s_cbranch_execnz .LBB12_1733
.LBB12_1723:
	s_cmp_gt_i32 s0, 14
	s_cbranch_scc0 .LBB12_1726
; %bb.1724:
	s_cmp_eq_u32 s0, 15
	s_cbranch_scc0 .LBB12_1729
; %bb.1725:
	global_load_u16 v1, v[2:3], off
	s_mov_b32 s1, 0
	s_mov_b32 s3, -1
	s_wait_loadcnt 0x0
	v_lshlrev_b32_e32 v1, 16, v1
	s_delay_alu instid0(VALU_DEP_1)
	v_cvt_f64_f32_e32 v[44:45], v1
	s_branch .LBB12_1731
.LBB12_1726:
	s_mov_b32 s2, -1
	s_branch .LBB12_1730
.LBB12_1727:
	s_or_saveexec_b32 s3, s3
	v_mov_b64_e32 v[44:45], 0x7ff8000020000000
	s_xor_b32 exec_lo, exec_lo, s3
	s_cbranch_execz .LBB12_1709
.LBB12_1728:
	v_cmp_ne_u16_e32 vcc_lo, 0, v1
	v_mov_b64_e32 v[44:45], 0
	s_and_not1_b32 s2, s2, exec_lo
	s_and_b32 s4, vcc_lo, exec_lo
	s_delay_alu instid0(SALU_CYCLE_1)
	s_or_b32 s2, s2, s4
	s_or_b32 exec_lo, exec_lo, s3
	s_and_saveexec_b32 s3, s2
	s_cbranch_execnz .LBB12_1710
	s_branch .LBB12_1711
.LBB12_1729:
	s_mov_b32 s1, -1
.LBB12_1730:
                                        ; implicit-def: $vgpr44_vgpr45
.LBB12_1731:
	s_and_b32 vcc_lo, exec_lo, s2
	s_mov_b32 s2, 0
	s_cbranch_vccz .LBB12_1733
; %bb.1732:
	s_cmp_lg_u32 s0, 11
	s_mov_b32 s2, -1
	s_cselect_b32 s1, -1, 0
.LBB12_1733:
	s_delay_alu instid0(SALU_CYCLE_1)
	s_and_b32 vcc_lo, exec_lo, s1
	s_mov_b32 s48, s46
	s_cbranch_vccnz .LBB12_1794
; %bb.1734:
	s_and_not1_b32 vcc_lo, exec_lo, s2
	s_cbranch_vccnz .LBB12_1736
.LBB12_1735:
	global_load_u8 v1, v[2:3], off
	v_mov_b32_e32 v44, 0
	s_mov_b32 s3, -1
	s_wait_loadcnt 0x0
	v_cmp_ne_u16_e32 vcc_lo, 0, v1
	v_cndmask_b32_e64 v45, 0, 0x3ff00000, vcc_lo
.LBB12_1736:
	s_branch .LBB12_1665
.LBB12_1737:
	s_and_b32 s0, 0xffff, s50
	s_delay_alu instid0(SALU_CYCLE_1)
	s_cmp_lt_i32 s0, 5
	s_cbranch_scc1 .LBB12_1742
; %bb.1738:
	s_cmp_lt_i32 s0, 8
	s_cbranch_scc1 .LBB12_1743
; %bb.1739:
	s_cmp_lt_i32 s0, 9
	s_cbranch_scc1 .LBB12_1744
; %bb.1740:
	s_cmp_gt_i32 s0, 9
	s_cbranch_scc0 .LBB12_1745
; %bb.1741:
	global_load_b64 v[44:45], v[2:3], off
	s_mov_b32 s1, 0
	s_branch .LBB12_1746
.LBB12_1742:
                                        ; implicit-def: $vgpr44_vgpr45
	s_branch .LBB12_1763
.LBB12_1743:
                                        ; implicit-def: $vgpr44_vgpr45
	s_branch .LBB12_1752
.LBB12_1744:
	s_mov_b32 s1, -1
                                        ; implicit-def: $vgpr44_vgpr45
	s_branch .LBB12_1749
.LBB12_1745:
	s_mov_b32 s1, -1
                                        ; implicit-def: $vgpr44_vgpr45
.LBB12_1746:
	s_delay_alu instid0(SALU_CYCLE_1)
	s_and_not1_b32 vcc_lo, exec_lo, s1
	s_cbranch_vccnz .LBB12_1748
; %bb.1747:
	global_load_b32 v1, v[2:3], off
	s_wait_loadcnt 0x0
	v_cvt_f64_f32_e32 v[44:45], v1
.LBB12_1748:
	s_mov_b32 s1, 0
.LBB12_1749:
	s_delay_alu instid0(SALU_CYCLE_1)
	s_and_not1_b32 vcc_lo, exec_lo, s1
	s_cbranch_vccnz .LBB12_1751
; %bb.1750:
	global_load_b32 v1, v[2:3], off
	s_wait_loadcnt 0x0
	v_cvt_f32_f16_e32 v1, v1
	s_delay_alu instid0(VALU_DEP_1)
	v_cvt_f64_f32_e32 v[44:45], v1
.LBB12_1751:
	s_cbranch_execnz .LBB12_1762
.LBB12_1752:
	s_cmp_lt_i32 s0, 6
	s_cbranch_scc1 .LBB12_1755
; %bb.1753:
	s_cmp_gt_i32 s0, 6
	s_cbranch_scc0 .LBB12_1756
; %bb.1754:
	s_wait_loadcnt 0x0
	global_load_b64 v[44:45], v[2:3], off
	s_mov_b32 s1, 0
	s_branch .LBB12_1757
.LBB12_1755:
	s_mov_b32 s1, -1
                                        ; implicit-def: $vgpr44_vgpr45
	s_branch .LBB12_1760
.LBB12_1756:
	s_mov_b32 s1, -1
                                        ; implicit-def: $vgpr44_vgpr45
.LBB12_1757:
	s_delay_alu instid0(SALU_CYCLE_1)
	s_and_not1_b32 vcc_lo, exec_lo, s1
	s_cbranch_vccnz .LBB12_1759
; %bb.1758:
	global_load_b32 v1, v[2:3], off
	s_wait_loadcnt 0x0
	v_cvt_f64_f32_e32 v[44:45], v1
.LBB12_1759:
	s_mov_b32 s1, 0
.LBB12_1760:
	s_delay_alu instid0(SALU_CYCLE_1)
	s_and_not1_b32 vcc_lo, exec_lo, s1
	s_cbranch_vccnz .LBB12_1762
; %bb.1761:
	global_load_u16 v1, v[2:3], off
	s_wait_loadcnt 0x0
	v_cvt_f32_f16_e32 v1, v1
	s_delay_alu instid0(VALU_DEP_1)
	v_cvt_f64_f32_e32 v[44:45], v1
.LBB12_1762:
	s_cbranch_execnz .LBB12_1781
.LBB12_1763:
	s_cmp_lt_i32 s0, 2
	s_cbranch_scc1 .LBB12_1767
; %bb.1764:
	s_cmp_lt_i32 s0, 3
	s_cbranch_scc1 .LBB12_1768
; %bb.1765:
	s_cmp_gt_i32 s0, 3
	s_cbranch_scc0 .LBB12_1769
; %bb.1766:
	global_load_b64 v[4:5], v[2:3], off
	s_mov_b32 s1, 0
	s_wait_loadcnt 0x0
	v_cvt_f64_i32_e32 v[6:7], v5
	v_cvt_f64_u32_e32 v[4:5], v4
	s_delay_alu instid0(VALU_DEP_2) | instskip(NEXT) | instid1(VALU_DEP_1)
	v_ldexp_f64 v[6:7], v[6:7], 32
	v_add_f64_e32 v[44:45], v[6:7], v[4:5]
	s_branch .LBB12_1770
.LBB12_1767:
                                        ; implicit-def: $vgpr44_vgpr45
	s_branch .LBB12_1776
.LBB12_1768:
	s_mov_b32 s1, -1
                                        ; implicit-def: $vgpr44_vgpr45
	s_branch .LBB12_1773
.LBB12_1769:
	s_mov_b32 s1, -1
                                        ; implicit-def: $vgpr44_vgpr45
.LBB12_1770:
	s_delay_alu instid0(SALU_CYCLE_1)
	s_and_not1_b32 vcc_lo, exec_lo, s1
	s_cbranch_vccnz .LBB12_1772
; %bb.1771:
	global_load_b32 v1, v[2:3], off
	s_wait_loadcnt 0x0
	v_cvt_f64_i32_e32 v[44:45], v1
.LBB12_1772:
	s_mov_b32 s1, 0
.LBB12_1773:
	s_delay_alu instid0(SALU_CYCLE_1)
	s_and_not1_b32 vcc_lo, exec_lo, s1
	s_cbranch_vccnz .LBB12_1775
; %bb.1774:
	global_load_i16 v1, v[2:3], off
	s_wait_loadcnt 0x0
	v_cvt_f64_i32_e32 v[44:45], v1
.LBB12_1775:
	s_cbranch_execnz .LBB12_1781
.LBB12_1776:
	s_cmp_gt_i32 s0, 0
	s_mov_b32 s0, 0
	s_cbranch_scc0 .LBB12_1778
; %bb.1777:
	global_load_i8 v1, v[2:3], off
	s_wait_loadcnt 0x0
	v_cvt_f64_i32_e32 v[44:45], v1
	s_branch .LBB12_1779
.LBB12_1778:
	s_mov_b32 s0, -1
                                        ; implicit-def: $vgpr44_vgpr45
.LBB12_1779:
	s_delay_alu instid0(SALU_CYCLE_1)
	s_and_not1_b32 vcc_lo, exec_lo, s0
	s_cbranch_vccnz .LBB12_1781
; %bb.1780:
	global_load_u8 v1, v[2:3], off
	s_wait_loadcnt 0x0
	v_cvt_f64_u32_e32 v[44:45], v1
.LBB12_1781:
                                        ; implicit-def: $vgpr2_vgpr3
.LBB12_1782:
	v_mov_b32_e32 v1, 0
	s_load_b64 s[44:45], s[34:35], 0x198
	global_load_u8 v2, v1, s[34:35] offset:419
	s_wait_kmcnt 0x0
	v_add_nc_u64_e32 v[0:1], s[44:45], v[0:1]
	s_wait_loadcnt 0x0
	v_and_b32_e32 v3, 0xffff, v2
	v_readfirstlane_b32 s51, v2
	s_delay_alu instid0(VALU_DEP_2)
	v_cmp_gt_i32_e32 vcc_lo, 11, v3
	s_cbranch_vccnz .LBB12_1789
; %bb.1783:
	s_and_b32 s0, 0xffff, s51
	s_mov_b32 s2, 0
	s_cmp_gt_i32 s0, 25
	s_cbranch_scc0 .LBB12_1791
; %bb.1784:
	s_cmp_gt_i32 s0, 28
	s_cbranch_scc0 .LBB12_1792
; %bb.1785:
	;; [unrolled: 3-line block ×4, first 2 shown]
	s_cmp_eq_u32 s0, 46
	s_mov_b32 s4, 0
	s_cbranch_scc0 .LBB12_1798
; %bb.1788:
	global_load_b32 v2, v[0:1], off
	s_mov_b32 s1, 0
	s_mov_b32 s3, -1
	s_wait_loadcnt 0x0
	v_lshlrev_b32_e32 v2, 16, v2
	s_delay_alu instid0(VALU_DEP_1)
	v_cvt_f64_f32_e32 v[46:47], v2
	s_branch .LBB12_1800
.LBB12_1789:
	s_mov_b32 s3, 0
                                        ; implicit-def: $vgpr46_vgpr47
	s_cbranch_execnz .LBB12_1865
.LBB12_1790:
	s_and_not1_b32 vcc_lo, exec_lo, s3
	s_cbranch_vccnz .LBB12_2715
	s_branch .LBB12_1912
.LBB12_1791:
	s_mov_b32 s3, 0
	s_mov_b32 s1, 0
                                        ; implicit-def: $vgpr46_vgpr47
	s_cbranch_execnz .LBB12_1829
	s_branch .LBB12_1861
.LBB12_1792:
	s_mov_b32 s4, -1
	s_mov_b32 s3, 0
	s_mov_b32 s1, 0
                                        ; implicit-def: $vgpr46_vgpr47
	s_branch .LBB12_1810
.LBB12_1793:
	s_mov_b32 s4, -1
	s_mov_b32 s3, 0
	s_mov_b32 s1, 0
                                        ; implicit-def: $vgpr46_vgpr47
	s_branch .LBB12_1805
.LBB12_1794:
	s_or_b32 s48, s46, exec_lo
	s_trap 2
	s_cbranch_execz .LBB12_1735
	s_branch .LBB12_1736
.LBB12_1795:
	s_mov_b32 s4, -1
	s_mov_b32 s3, 0
	s_mov_b32 s1, 0
	s_branch .LBB12_1799
.LBB12_1796:
	s_and_not1_saveexec_b32 s6, s6
	s_cbranch_execz .LBB12_1537
.LBB12_1797:
	v_add_f32_e64 v3, 0x42800000, |v2|
	s_and_not1_b32 s5, s5, exec_lo
	s_delay_alu instid0(VALU_DEP_1) | instskip(NEXT) | instid1(VALU_DEP_1)
	v_and_b32_e32 v3, 0xff, v3
	v_cmp_ne_u32_e32 vcc_lo, 0, v3
	s_and_b32 s7, vcc_lo, exec_lo
	s_delay_alu instid0(SALU_CYCLE_1)
	s_or_b32 s5, s5, s7
	s_or_b32 exec_lo, exec_lo, s6
	v_mov_b32_e32 v6, 0
	s_and_saveexec_b32 s6, s5
	s_cbranch_execnz .LBB12_1538
	s_branch .LBB12_1539
.LBB12_1798:
	s_mov_b32 s1, -1
	s_mov_b32 s3, 0
.LBB12_1799:
                                        ; implicit-def: $vgpr46_vgpr47
.LBB12_1800:
	s_and_b32 vcc_lo, exec_lo, s4
	s_cbranch_vccz .LBB12_1804
; %bb.1801:
	s_cmp_eq_u32 s0, 44
	s_cbranch_scc0 .LBB12_1803
; %bb.1802:
	global_load_u8 v4, v[0:1], off
	s_mov_b32 s1, 0
	s_mov_b32 s3, -1
	s_wait_loadcnt 0x0
	v_cmp_ne_u32_e32 vcc_lo, 0xff, v4
	v_lshlrev_b32_e32 v2, 23, v4
	s_delay_alu instid0(VALU_DEP_1) | instskip(NEXT) | instid1(VALU_DEP_1)
	v_cvt_f64_f32_e32 v[2:3], v2
	v_cndmask_b32_e32 v2, 0x20000000, v2, vcc_lo
	s_delay_alu instid0(VALU_DEP_2) | instskip(SKIP_1) | instid1(VALU_DEP_2)
	v_cndmask_b32_e32 v3, 0x7ff80000, v3, vcc_lo
	v_cmp_ne_u32_e32 vcc_lo, 0, v4
	v_cndmask_b32_e32 v47, 0x38000000, v3, vcc_lo
	s_delay_alu instid0(VALU_DEP_4)
	v_cndmask_b32_e32 v46, 0, v2, vcc_lo
	s_branch .LBB12_1804
.LBB12_1803:
	s_mov_b32 s1, -1
                                        ; implicit-def: $vgpr46_vgpr47
.LBB12_1804:
	s_mov_b32 s4, 0
.LBB12_1805:
	s_delay_alu instid0(SALU_CYCLE_1)
	s_and_b32 vcc_lo, exec_lo, s4
	s_cbranch_vccz .LBB12_1809
; %bb.1806:
	s_cmp_eq_u32 s0, 29
	s_cbranch_scc0 .LBB12_1808
; %bb.1807:
	global_load_b64 v[2:3], v[0:1], off
	s_mov_b32 s1, 0
	s_mov_b32 s3, -1
	s_mov_b32 s4, 0
	s_wait_loadcnt 0x0
	v_cvt_f64_u32_e32 v[4:5], v3
	v_cvt_f64_u32_e32 v[2:3], v2
	s_delay_alu instid0(VALU_DEP_2) | instskip(NEXT) | instid1(VALU_DEP_1)
	v_ldexp_f64 v[4:5], v[4:5], 32
	v_add_f64_e32 v[46:47], v[4:5], v[2:3]
	s_branch .LBB12_1810
.LBB12_1808:
	s_mov_b32 s1, -1
                                        ; implicit-def: $vgpr46_vgpr47
.LBB12_1809:
	s_mov_b32 s4, 0
.LBB12_1810:
	s_delay_alu instid0(SALU_CYCLE_1)
	s_and_b32 vcc_lo, exec_lo, s4
	s_cbranch_vccz .LBB12_1828
; %bb.1811:
	s_cmp_lt_i32 s0, 27
	s_cbranch_scc1 .LBB12_1814
; %bb.1812:
	s_cmp_gt_i32 s0, 27
	s_cbranch_scc0 .LBB12_1815
; %bb.1813:
	global_load_b32 v2, v[0:1], off
	s_mov_b32 s3, 0
	s_wait_loadcnt 0x0
	v_cvt_f64_u32_e32 v[46:47], v2
	s_branch .LBB12_1816
.LBB12_1814:
	s_mov_b32 s3, -1
                                        ; implicit-def: $vgpr46_vgpr47
	s_branch .LBB12_1819
.LBB12_1815:
	s_mov_b32 s3, -1
                                        ; implicit-def: $vgpr46_vgpr47
.LBB12_1816:
	s_delay_alu instid0(SALU_CYCLE_1)
	s_and_not1_b32 vcc_lo, exec_lo, s3
	s_cbranch_vccnz .LBB12_1818
; %bb.1817:
	global_load_u16 v2, v[0:1], off
	s_wait_loadcnt 0x0
	v_cvt_f64_u32_e32 v[46:47], v2
.LBB12_1818:
	s_mov_b32 s3, 0
.LBB12_1819:
	s_delay_alu instid0(SALU_CYCLE_1)
	s_and_not1_b32 vcc_lo, exec_lo, s3
	s_cbranch_vccnz .LBB12_1827
; %bb.1820:
	global_load_u8 v2, v[0:1], off
	s_mov_b32 s3, 0
	s_mov_b32 s4, exec_lo
	s_wait_loadcnt 0x0
	v_cmpx_lt_i16_e32 0x7f, v2
	s_xor_b32 s4, exec_lo, s4
	s_cbranch_execz .LBB12_1840
; %bb.1821:
	s_mov_b32 s3, -1
	s_mov_b32 s5, exec_lo
	v_cmpx_eq_u16_e32 0x80, v2
; %bb.1822:
	s_xor_b32 s3, exec_lo, -1
; %bb.1823:
	s_or_b32 exec_lo, exec_lo, s5
	s_delay_alu instid0(SALU_CYCLE_1)
	s_and_b32 s3, s3, exec_lo
	s_or_saveexec_b32 s4, s4
	v_mov_b64_e32 v[46:47], 0x7ff8000020000000
	s_xor_b32 exec_lo, exec_lo, s4
	s_cbranch_execnz .LBB12_1841
.LBB12_1824:
	s_or_b32 exec_lo, exec_lo, s4
	s_and_saveexec_b32 s4, s3
	s_cbranch_execz .LBB12_1826
.LBB12_1825:
	v_and_b32_e32 v3, 0xffff, v2
	s_delay_alu instid0(VALU_DEP_1) | instskip(SKIP_1) | instid1(VALU_DEP_2)
	v_and_b32_e32 v4, 7, v3
	v_bfe_u32 v7, v3, 3, 4
	v_clz_i32_u32_e32 v5, v4
	s_delay_alu instid0(VALU_DEP_2) | instskip(NEXT) | instid1(VALU_DEP_2)
	v_cmp_eq_u32_e32 vcc_lo, 0, v7
	v_min_u32_e32 v5, 32, v5
	s_delay_alu instid0(VALU_DEP_1) | instskip(NEXT) | instid1(VALU_DEP_1)
	v_subrev_nc_u32_e32 v6, 28, v5
	v_dual_lshlrev_b32 v3, v6, v3 :: v_dual_sub_nc_u32 v5, 29, v5
	s_delay_alu instid0(VALU_DEP_1) | instskip(NEXT) | instid1(VALU_DEP_1)
	v_dual_lshlrev_b32 v2, 24, v2 :: v_dual_bitop2_b32 v3, 7, v3 bitop3:0x40
	v_dual_cndmask_b32 v5, v7, v5, vcc_lo :: v_dual_cndmask_b32 v3, v4, v3, vcc_lo
	s_delay_alu instid0(VALU_DEP_2) | instskip(NEXT) | instid1(VALU_DEP_2)
	v_and_b32_e32 v2, 0x80000000, v2
	v_lshl_add_u32 v4, v5, 23, 0x3b800000
	s_delay_alu instid0(VALU_DEP_3) | instskip(NEXT) | instid1(VALU_DEP_1)
	v_lshlrev_b32_e32 v3, 20, v3
	v_or3_b32 v2, v2, v4, v3
	s_delay_alu instid0(VALU_DEP_1)
	v_cvt_f64_f32_e32 v[46:47], v2
.LBB12_1826:
	s_or_b32 exec_lo, exec_lo, s4
.LBB12_1827:
	s_mov_b32 s3, -1
.LBB12_1828:
	s_branch .LBB12_1861
.LBB12_1829:
	s_cmp_gt_i32 s0, 22
	s_cbranch_scc0 .LBB12_1839
; %bb.1830:
	s_cmp_lt_i32 s0, 24
	s_cbranch_scc1 .LBB12_1842
; %bb.1831:
	s_cmp_gt_i32 s0, 24
	s_cbranch_scc0 .LBB12_1843
; %bb.1832:
	global_load_u8 v2, v[0:1], off
	s_mov_b32 s3, exec_lo
	s_wait_loadcnt 0x0
	v_cmpx_lt_i16_e32 0x7f, v2
	s_xor_b32 s3, exec_lo, s3
	s_cbranch_execz .LBB12_1855
; %bb.1833:
	s_mov_b32 s2, -1
	s_mov_b32 s4, exec_lo
	v_cmpx_eq_u16_e32 0x80, v2
; %bb.1834:
	s_xor_b32 s2, exec_lo, -1
; %bb.1835:
	s_or_b32 exec_lo, exec_lo, s4
	s_delay_alu instid0(SALU_CYCLE_1)
	s_and_b32 s2, s2, exec_lo
	s_or_saveexec_b32 s3, s3
	v_mov_b64_e32 v[46:47], 0x7ff8000020000000
	s_xor_b32 exec_lo, exec_lo, s3
	s_cbranch_execnz .LBB12_1856
.LBB12_1836:
	s_or_b32 exec_lo, exec_lo, s3
	s_and_saveexec_b32 s3, s2
	s_cbranch_execz .LBB12_1838
.LBB12_1837:
	v_and_b32_e32 v3, 0xffff, v2
	s_delay_alu instid0(VALU_DEP_1) | instskip(SKIP_1) | instid1(VALU_DEP_2)
	v_and_b32_e32 v4, 3, v3
	v_bfe_u32 v7, v3, 2, 5
	v_clz_i32_u32_e32 v5, v4
	s_delay_alu instid0(VALU_DEP_2) | instskip(NEXT) | instid1(VALU_DEP_2)
	v_cmp_eq_u32_e32 vcc_lo, 0, v7
	v_min_u32_e32 v5, 32, v5
	s_delay_alu instid0(VALU_DEP_1) | instskip(NEXT) | instid1(VALU_DEP_1)
	v_subrev_nc_u32_e32 v6, 29, v5
	v_dual_lshlrev_b32 v3, v6, v3 :: v_dual_sub_nc_u32 v5, 30, v5
	s_delay_alu instid0(VALU_DEP_1) | instskip(NEXT) | instid1(VALU_DEP_1)
	v_dual_lshlrev_b32 v2, 24, v2 :: v_dual_bitop2_b32 v3, 3, v3 bitop3:0x40
	v_dual_cndmask_b32 v5, v7, v5, vcc_lo :: v_dual_cndmask_b32 v3, v4, v3, vcc_lo
	s_delay_alu instid0(VALU_DEP_2) | instskip(NEXT) | instid1(VALU_DEP_2)
	v_and_b32_e32 v2, 0x80000000, v2
	v_lshl_add_u32 v4, v5, 23, 0x37800000
	s_delay_alu instid0(VALU_DEP_3) | instskip(NEXT) | instid1(VALU_DEP_1)
	v_lshlrev_b32_e32 v3, 21, v3
	v_or3_b32 v2, v2, v4, v3
	s_delay_alu instid0(VALU_DEP_1)
	v_cvt_f64_f32_e32 v[46:47], v2
.LBB12_1838:
	s_or_b32 exec_lo, exec_lo, s3
	s_mov_b32 s2, 0
	s_branch .LBB12_1844
.LBB12_1839:
	s_mov_b32 s2, -1
                                        ; implicit-def: $vgpr46_vgpr47
	s_branch .LBB12_1850
.LBB12_1840:
	s_or_saveexec_b32 s4, s4
	v_mov_b64_e32 v[46:47], 0x7ff8000020000000
	s_xor_b32 exec_lo, exec_lo, s4
	s_cbranch_execz .LBB12_1824
.LBB12_1841:
	v_cmp_ne_u16_e32 vcc_lo, 0, v2
	v_mov_b64_e32 v[46:47], 0
	s_and_not1_b32 s3, s3, exec_lo
	s_and_b32 s5, vcc_lo, exec_lo
	s_delay_alu instid0(SALU_CYCLE_1)
	s_or_b32 s3, s3, s5
	s_or_b32 exec_lo, exec_lo, s4
	s_and_saveexec_b32 s4, s3
	s_cbranch_execnz .LBB12_1825
	s_branch .LBB12_1826
.LBB12_1842:
	s_mov_b32 s2, -1
                                        ; implicit-def: $vgpr46_vgpr47
	s_branch .LBB12_1847
.LBB12_1843:
	s_mov_b32 s2, -1
                                        ; implicit-def: $vgpr46_vgpr47
.LBB12_1844:
	s_delay_alu instid0(SALU_CYCLE_1)
	s_and_b32 vcc_lo, exec_lo, s2
	s_cbranch_vccz .LBB12_1846
; %bb.1845:
	global_load_u8 v2, v[0:1], off
	s_wait_loadcnt 0x0
	v_lshlrev_b32_e32 v2, 24, v2
	s_delay_alu instid0(VALU_DEP_1) | instskip(NEXT) | instid1(VALU_DEP_1)
	v_and_b32_e32 v3, 0x7f000000, v2
	v_clz_i32_u32_e32 v4, v3
	v_cmp_ne_u32_e32 vcc_lo, 0, v3
	v_add_nc_u32_e32 v6, 0x1000000, v3
	s_delay_alu instid0(VALU_DEP_3) | instskip(NEXT) | instid1(VALU_DEP_1)
	v_min_u32_e32 v4, 32, v4
	v_sub_nc_u32_e64 v4, v4, 4 clamp
	s_delay_alu instid0(VALU_DEP_1) | instskip(NEXT) | instid1(VALU_DEP_1)
	v_dual_lshlrev_b32 v5, v4, v3 :: v_dual_lshlrev_b32 v4, 23, v4
	v_lshrrev_b32_e32 v5, 4, v5
	s_delay_alu instid0(VALU_DEP_1) | instskip(NEXT) | instid1(VALU_DEP_1)
	v_dual_sub_nc_u32 v4, v5, v4 :: v_dual_ashrrev_i32 v5, 8, v6
	v_add_nc_u32_e32 v4, 0x3c000000, v4
	s_delay_alu instid0(VALU_DEP_1) | instskip(NEXT) | instid1(VALU_DEP_1)
	v_and_or_b32 v4, 0x7f800000, v5, v4
	v_cndmask_b32_e32 v3, 0, v4, vcc_lo
	s_delay_alu instid0(VALU_DEP_1) | instskip(NEXT) | instid1(VALU_DEP_1)
	v_and_or_b32 v2, 0x80000000, v2, v3
	v_cvt_f64_f32_e32 v[46:47], v2
.LBB12_1846:
	s_mov_b32 s2, 0
.LBB12_1847:
	s_delay_alu instid0(SALU_CYCLE_1)
	s_and_not1_b32 vcc_lo, exec_lo, s2
	s_cbranch_vccnz .LBB12_1849
; %bb.1848:
	global_load_u8 v2, v[0:1], off
	s_wait_loadcnt 0x0
	v_lshlrev_b32_e32 v3, 25, v2
	v_lshlrev_b16 v2, 8, v2
	s_delay_alu instid0(VALU_DEP_1) | instskip(SKIP_1) | instid1(VALU_DEP_2)
	v_and_or_b32 v5, 0x7f00, v2, 0.5
	v_bfe_i32 v2, v2, 0, 16
	v_dual_add_f32 v5, -0.5, v5 :: v_dual_lshrrev_b32 v4, 4, v3
	v_cmp_gt_u32_e32 vcc_lo, 0x8000000, v3
	s_delay_alu instid0(VALU_DEP_2) | instskip(NEXT) | instid1(VALU_DEP_1)
	v_or_b32_e32 v4, 0x70000000, v4
	v_mul_f32_e32 v4, 0x7800000, v4
	s_delay_alu instid0(VALU_DEP_1) | instskip(NEXT) | instid1(VALU_DEP_1)
	v_cndmask_b32_e32 v3, v4, v5, vcc_lo
	v_and_or_b32 v2, 0x80000000, v2, v3
	s_delay_alu instid0(VALU_DEP_1)
	v_cvt_f64_f32_e32 v[46:47], v2
.LBB12_1849:
	s_mov_b32 s2, 0
	s_mov_b32 s3, -1
.LBB12_1850:
	s_and_not1_b32 vcc_lo, exec_lo, s2
	s_mov_b32 s2, 0
	s_cbranch_vccnz .LBB12_1861
; %bb.1851:
	s_cmp_gt_i32 s0, 14
	s_cbranch_scc0 .LBB12_1854
; %bb.1852:
	s_cmp_eq_u32 s0, 15
	s_cbranch_scc0 .LBB12_1857
; %bb.1853:
	global_load_u16 v2, v[0:1], off
	s_mov_b32 s1, 0
	s_mov_b32 s3, -1
	s_wait_loadcnt 0x0
	v_lshlrev_b32_e32 v2, 16, v2
	s_delay_alu instid0(VALU_DEP_1)
	v_cvt_f64_f32_e32 v[46:47], v2
	s_branch .LBB12_1859
.LBB12_1854:
	s_mov_b32 s2, -1
	s_branch .LBB12_1858
.LBB12_1855:
	s_or_saveexec_b32 s3, s3
	v_mov_b64_e32 v[46:47], 0x7ff8000020000000
	s_xor_b32 exec_lo, exec_lo, s3
	s_cbranch_execz .LBB12_1836
.LBB12_1856:
	v_cmp_ne_u16_e32 vcc_lo, 0, v2
	v_mov_b64_e32 v[46:47], 0
	s_and_not1_b32 s2, s2, exec_lo
	s_and_b32 s4, vcc_lo, exec_lo
	s_delay_alu instid0(SALU_CYCLE_1)
	s_or_b32 s2, s2, s4
	s_or_b32 exec_lo, exec_lo, s3
	s_and_saveexec_b32 s3, s2
	s_cbranch_execnz .LBB12_1837
	s_branch .LBB12_1838
.LBB12_1857:
	s_mov_b32 s1, -1
.LBB12_1858:
                                        ; implicit-def: $vgpr46_vgpr47
.LBB12_1859:
	s_and_b32 vcc_lo, exec_lo, s2
	s_mov_b32 s2, 0
	s_cbranch_vccz .LBB12_1861
; %bb.1860:
	s_cmp_lg_u32 s0, 11
	s_mov_b32 s2, -1
	s_cselect_b32 s1, -1, 0
.LBB12_1861:
	s_delay_alu instid0(SALU_CYCLE_1)
	s_and_b32 vcc_lo, exec_lo, s1
	s_cbranch_vccnz .LBB12_1928
; %bb.1862:
	s_and_not1_b32 vcc_lo, exec_lo, s2
	s_cbranch_vccnz .LBB12_1864
.LBB12_1863:
	global_load_u8 v2, v[0:1], off
	v_mov_b32_e32 v46, 0
	s_mov_b32 s3, -1
	s_wait_loadcnt 0x0
	v_cmp_ne_u16_e32 vcc_lo, 0, v2
	v_cndmask_b32_e64 v47, 0, 0x3ff00000, vcc_lo
.LBB12_1864:
	s_branch .LBB12_1790
.LBB12_1865:
	s_and_b32 s0, 0xffff, s51
	s_delay_alu instid0(SALU_CYCLE_1)
	s_cmp_lt_i32 s0, 5
	s_cbranch_scc1 .LBB12_1870
; %bb.1866:
	s_cmp_lt_i32 s0, 8
	s_cbranch_scc1 .LBB12_1871
; %bb.1867:
	;; [unrolled: 3-line block ×3, first 2 shown]
	s_cmp_gt_i32 s0, 9
	s_cbranch_scc0 .LBB12_1873
; %bb.1869:
	global_load_b64 v[46:47], v[0:1], off
	s_mov_b32 s1, 0
	s_branch .LBB12_1874
.LBB12_1870:
                                        ; implicit-def: $vgpr46_vgpr47
	s_branch .LBB12_1892
.LBB12_1871:
	s_mov_b32 s1, -1
                                        ; implicit-def: $vgpr46_vgpr47
	s_branch .LBB12_1880
.LBB12_1872:
	s_mov_b32 s1, -1
                                        ; implicit-def: $vgpr46_vgpr47
	s_branch .LBB12_1877
.LBB12_1873:
	s_mov_b32 s1, -1
                                        ; implicit-def: $vgpr46_vgpr47
.LBB12_1874:
	s_delay_alu instid0(SALU_CYCLE_1)
	s_and_not1_b32 vcc_lo, exec_lo, s1
	s_cbranch_vccnz .LBB12_1876
; %bb.1875:
	global_load_b32 v2, v[0:1], off
	s_wait_loadcnt 0x0
	v_cvt_f64_f32_e32 v[46:47], v2
.LBB12_1876:
	s_mov_b32 s1, 0
.LBB12_1877:
	s_delay_alu instid0(SALU_CYCLE_1)
	s_and_not1_b32 vcc_lo, exec_lo, s1
	s_cbranch_vccnz .LBB12_1879
; %bb.1878:
	global_load_b32 v2, v[0:1], off
	s_wait_loadcnt 0x0
	v_cvt_f32_f16_e32 v2, v2
	s_delay_alu instid0(VALU_DEP_1)
	v_cvt_f64_f32_e32 v[46:47], v2
.LBB12_1879:
	s_mov_b32 s1, 0
.LBB12_1880:
	s_delay_alu instid0(SALU_CYCLE_1)
	s_and_not1_b32 vcc_lo, exec_lo, s1
	s_cbranch_vccnz .LBB12_1891
; %bb.1881:
	s_cmp_lt_i32 s0, 6
	s_cbranch_scc1 .LBB12_1884
; %bb.1882:
	s_cmp_gt_i32 s0, 6
	s_cbranch_scc0 .LBB12_1885
; %bb.1883:
	s_wait_loadcnt 0x0
	global_load_b64 v[46:47], v[0:1], off
	s_mov_b32 s1, 0
	s_branch .LBB12_1886
.LBB12_1884:
	s_mov_b32 s1, -1
                                        ; implicit-def: $vgpr46_vgpr47
	s_branch .LBB12_1889
.LBB12_1885:
	s_mov_b32 s1, -1
                                        ; implicit-def: $vgpr46_vgpr47
.LBB12_1886:
	s_delay_alu instid0(SALU_CYCLE_1)
	s_and_not1_b32 vcc_lo, exec_lo, s1
	s_cbranch_vccnz .LBB12_1888
; %bb.1887:
	global_load_b32 v2, v[0:1], off
	s_wait_loadcnt 0x0
	v_cvt_f64_f32_e32 v[46:47], v2
.LBB12_1888:
	s_mov_b32 s1, 0
.LBB12_1889:
	s_delay_alu instid0(SALU_CYCLE_1)
	s_and_not1_b32 vcc_lo, exec_lo, s1
	s_cbranch_vccnz .LBB12_1891
; %bb.1890:
	global_load_u16 v2, v[0:1], off
	s_wait_loadcnt 0x0
	v_cvt_f32_f16_e32 v2, v2
	s_delay_alu instid0(VALU_DEP_1)
	v_cvt_f64_f32_e32 v[46:47], v2
.LBB12_1891:
	s_cbranch_execnz .LBB12_1911
.LBB12_1892:
	s_cmp_lt_i32 s0, 2
	s_cbranch_scc1 .LBB12_1896
; %bb.1893:
	s_cmp_lt_i32 s0, 3
	s_cbranch_scc1 .LBB12_1897
; %bb.1894:
	s_cmp_gt_i32 s0, 3
	s_cbranch_scc0 .LBB12_1898
; %bb.1895:
	global_load_b64 v[2:3], v[0:1], off
	s_mov_b32 s1, 0
	s_wait_loadcnt 0x0
	v_cvt_f64_i32_e32 v[4:5], v3
	v_cvt_f64_u32_e32 v[2:3], v2
	s_delay_alu instid0(VALU_DEP_2) | instskip(NEXT) | instid1(VALU_DEP_1)
	v_ldexp_f64 v[4:5], v[4:5], 32
	v_add_f64_e32 v[46:47], v[4:5], v[2:3]
	s_branch .LBB12_1899
.LBB12_1896:
	s_mov_b32 s1, -1
                                        ; implicit-def: $vgpr46_vgpr47
	s_branch .LBB12_1905
.LBB12_1897:
	s_mov_b32 s1, -1
                                        ; implicit-def: $vgpr46_vgpr47
	s_branch .LBB12_1902
.LBB12_1898:
	s_mov_b32 s1, -1
                                        ; implicit-def: $vgpr46_vgpr47
.LBB12_1899:
	s_delay_alu instid0(SALU_CYCLE_1)
	s_and_not1_b32 vcc_lo, exec_lo, s1
	s_cbranch_vccnz .LBB12_1901
; %bb.1900:
	global_load_b32 v2, v[0:1], off
	s_wait_loadcnt 0x0
	v_cvt_f64_i32_e32 v[46:47], v2
.LBB12_1901:
	s_mov_b32 s1, 0
.LBB12_1902:
	s_delay_alu instid0(SALU_CYCLE_1)
	s_and_not1_b32 vcc_lo, exec_lo, s1
	s_cbranch_vccnz .LBB12_1904
; %bb.1903:
	global_load_i16 v2, v[0:1], off
	s_wait_loadcnt 0x0
	v_cvt_f64_i32_e32 v[46:47], v2
.LBB12_1904:
	s_mov_b32 s1, 0
.LBB12_1905:
	s_delay_alu instid0(SALU_CYCLE_1)
	s_and_not1_b32 vcc_lo, exec_lo, s1
	s_cbranch_vccnz .LBB12_1911
; %bb.1906:
	s_cmp_gt_i32 s0, 0
	s_mov_b32 s0, 0
	s_cbranch_scc0 .LBB12_1908
; %bb.1907:
	global_load_i8 v2, v[0:1], off
	s_wait_loadcnt 0x0
	v_cvt_f64_i32_e32 v[46:47], v2
	s_branch .LBB12_1909
.LBB12_1908:
	s_mov_b32 s0, -1
                                        ; implicit-def: $vgpr46_vgpr47
.LBB12_1909:
	s_delay_alu instid0(SALU_CYCLE_1)
	s_and_not1_b32 vcc_lo, exec_lo, s0
	s_cbranch_vccnz .LBB12_1911
; %bb.1910:
	global_load_u8 v0, v[0:1], off
	s_wait_loadcnt 0x0
	v_cvt_f64_u32_e32 v[46:47], v0
.LBB12_1911:
.LBB12_1912:
	s_load_b32 s0, s[34:35], 0x1a0
                                        ; implicit-def: $vgpr42_vgpr43
	s_wait_kmcnt 0x0
	s_bitcmp1_b32 s0, 0
	s_cselect_b32 s0, -1, 0
	s_delay_alu instid0(SALU_CYCLE_1)
	s_xor_b32 s49, s0, -1
	s_mov_b32 s0, -1
	s_and_b32 vcc_lo, exec_lo, s49
	s_cbranch_vccz .LBB12_1914
; %bb.1913:
	v_dual_mov_b32 v0, v44 :: v_dual_mov_b32 v1, v45
	s_wait_loadcnt 0x0
	s_delay_alu instid0(VALU_DEP_2) | instskip(SKIP_2) | instid1(SALU_CYCLE_1)
	v_dual_mov_b32 v2, v46 :: v_dual_mov_b32 v3, v47
	s_get_pc_i64 s[0:1]
	s_add_nc_u64 s[0:1], s[0:1], _ZN12_GLOBAL__N_111calc_igammaIdEET_S1_S1_@rel64+4
	s_swap_pc_i64 s[30:31], s[0:1]
	v_dual_mov_b32 v42, v0 :: v_dual_mov_b32 v43, v1
	s_mov_b32 s0, 0
.LBB12_1914:
	s_delay_alu instid0(SALU_CYCLE_1)
	s_and_not1_b32 vcc_lo, exec_lo, s0
	s_cbranch_vccnz .LBB12_1916
; %bb.1915:
	v_dual_mov_b32 v0, v44 :: v_dual_mov_b32 v1, v45
	s_wait_loadcnt 0x0
	s_delay_alu instid0(VALU_DEP_2) | instskip(SKIP_2) | instid1(SALU_CYCLE_1)
	v_dual_mov_b32 v2, v46 :: v_dual_mov_b32 v3, v47
	s_get_pc_i64 s[0:1]
	s_add_nc_u64 s[0:1], s[0:1], _ZN12_GLOBAL__N_112calc_igammacIdEET_S1_S1_@rel64+4
	s_swap_pc_i64 s[30:31], s[0:1]
	v_dual_mov_b32 v42, v0 :: v_dual_mov_b32 v43, v1
.LBB12_1916:
	v_mov_b32_e32 v91, 0
	s_and_b32 s50, 0xffff, s50
	s_delay_alu instid0(SALU_CYCLE_1) | instskip(NEXT) | instid1(VALU_DEP_1)
	s_cmp_lt_i32 s50, 11
	v_add_nc_u64_e32 v[0:1], s[38:39], v[90:91]
	s_cbranch_scc1 .LBB12_1923
; %bb.1917:
	s_cmp_gt_i32 s50, 25
	s_mov_b32 s1, 0
	s_cbranch_scc0 .LBB12_1925
; %bb.1918:
	s_cmp_gt_i32 s50, 28
	s_cbranch_scc0 .LBB12_1926
; %bb.1919:
	s_cmp_gt_i32 s50, 43
	;; [unrolled: 3-line block ×3, first 2 shown]
	s_cbranch_scc0 .LBB12_1929
; %bb.1921:
	s_cmp_eq_u32 s50, 46
	s_mov_b32 s3, 0
	s_cbranch_scc0 .LBB12_1930
; %bb.1922:
	global_load_b32 v2, v[0:1], off
	s_mov_b32 s0, 0
	s_mov_b32 s2, -1
	s_wait_loadcnt 0x0
	v_lshlrev_b32_e32 v2, 16, v2
	s_delay_alu instid0(VALU_DEP_1)
	v_cvt_f64_f32_e32 v[44:45], v2
	s_branch .LBB12_1932
.LBB12_1923:
	s_mov_b32 s2, 0
                                        ; implicit-def: $vgpr44_vgpr45
	s_cbranch_execnz .LBB12_1998
.LBB12_1924:
	s_and_not1_b32 vcc_lo, exec_lo, s2
	s_cbranch_vccnz .LBB12_2715
	s_branch .LBB12_2046
.LBB12_1925:
	s_mov_b32 s3, -1
	s_mov_b32 s2, 0
	s_mov_b32 s0, 0
                                        ; implicit-def: $vgpr44_vgpr45
	s_branch .LBB12_1961
.LBB12_1926:
	s_mov_b32 s3, -1
	s_mov_b32 s2, 0
	s_mov_b32 s0, 0
                                        ; implicit-def: $vgpr44_vgpr45
	s_branch .LBB12_1942
.LBB12_1927:
	s_mov_b32 s3, -1
	s_mov_b32 s2, 0
	s_mov_b32 s0, 0
                                        ; implicit-def: $vgpr44_vgpr45
	s_branch .LBB12_1937
.LBB12_1928:
	s_or_b32 s48, s48, exec_lo
	s_trap 2
	s_cbranch_execz .LBB12_1863
	s_branch .LBB12_1864
.LBB12_1929:
	s_mov_b32 s3, -1
	s_mov_b32 s2, 0
	s_mov_b32 s0, 0
	s_branch .LBB12_1931
.LBB12_1930:
	s_mov_b32 s0, -1
	s_mov_b32 s2, 0
.LBB12_1931:
                                        ; implicit-def: $vgpr44_vgpr45
.LBB12_1932:
	s_and_b32 vcc_lo, exec_lo, s3
	s_cbranch_vccz .LBB12_1936
; %bb.1933:
	s_cmp_eq_u32 s50, 44
	s_cbranch_scc0 .LBB12_1935
; %bb.1934:
	global_load_u8 v4, v[0:1], off
	s_mov_b32 s0, 0
	s_mov_b32 s2, -1
	s_wait_loadcnt 0x0
	v_cmp_ne_u32_e32 vcc_lo, 0xff, v4
	v_lshlrev_b32_e32 v2, 23, v4
	s_delay_alu instid0(VALU_DEP_1) | instskip(NEXT) | instid1(VALU_DEP_1)
	v_cvt_f64_f32_e32 v[2:3], v2
	v_cndmask_b32_e32 v2, 0x20000000, v2, vcc_lo
	s_delay_alu instid0(VALU_DEP_2) | instskip(SKIP_1) | instid1(VALU_DEP_2)
	v_cndmask_b32_e32 v3, 0x7ff80000, v3, vcc_lo
	v_cmp_ne_u32_e32 vcc_lo, 0, v4
	v_cndmask_b32_e32 v45, 0x38000000, v3, vcc_lo
	s_delay_alu instid0(VALU_DEP_4)
	v_cndmask_b32_e32 v44, 0, v2, vcc_lo
	s_branch .LBB12_1936
.LBB12_1935:
	s_mov_b32 s0, -1
                                        ; implicit-def: $vgpr44_vgpr45
.LBB12_1936:
	s_mov_b32 s3, 0
.LBB12_1937:
	s_delay_alu instid0(SALU_CYCLE_1)
	s_and_b32 vcc_lo, exec_lo, s3
	s_cbranch_vccz .LBB12_1941
; %bb.1938:
	s_cmp_eq_u32 s50, 29
	s_cbranch_scc0 .LBB12_1940
; %bb.1939:
	global_load_b64 v[2:3], v[0:1], off
	s_mov_b32 s0, 0
	s_mov_b32 s2, -1
	s_mov_b32 s3, 0
	s_wait_loadcnt 0x0
	v_cvt_f64_u32_e32 v[4:5], v3
	v_cvt_f64_u32_e32 v[2:3], v2
	s_delay_alu instid0(VALU_DEP_2) | instskip(NEXT) | instid1(VALU_DEP_1)
	v_ldexp_f64 v[4:5], v[4:5], 32
	v_add_f64_e32 v[44:45], v[4:5], v[2:3]
	s_branch .LBB12_1942
.LBB12_1940:
	s_mov_b32 s0, -1
                                        ; implicit-def: $vgpr44_vgpr45
.LBB12_1941:
	s_mov_b32 s3, 0
.LBB12_1942:
	s_delay_alu instid0(SALU_CYCLE_1)
	s_and_b32 vcc_lo, exec_lo, s3
	s_cbranch_vccz .LBB12_1960
; %bb.1943:
	s_cmp_lt_i32 s50, 27
	s_cbranch_scc1 .LBB12_1946
; %bb.1944:
	s_cmp_gt_i32 s50, 27
	s_cbranch_scc0 .LBB12_1947
; %bb.1945:
	global_load_b32 v2, v[0:1], off
	s_mov_b32 s2, 0
	s_wait_loadcnt 0x0
	v_cvt_f64_u32_e32 v[44:45], v2
	s_branch .LBB12_1948
.LBB12_1946:
	s_mov_b32 s2, -1
                                        ; implicit-def: $vgpr44_vgpr45
	s_branch .LBB12_1951
.LBB12_1947:
	s_mov_b32 s2, -1
                                        ; implicit-def: $vgpr44_vgpr45
.LBB12_1948:
	s_delay_alu instid0(SALU_CYCLE_1)
	s_and_not1_b32 vcc_lo, exec_lo, s2
	s_cbranch_vccnz .LBB12_1950
; %bb.1949:
	global_load_u16 v2, v[0:1], off
	s_wait_loadcnt 0x0
	v_cvt_f64_u32_e32 v[44:45], v2
.LBB12_1950:
	s_mov_b32 s2, 0
.LBB12_1951:
	s_delay_alu instid0(SALU_CYCLE_1)
	s_and_not1_b32 vcc_lo, exec_lo, s2
	s_cbranch_vccnz .LBB12_1959
; %bb.1952:
	global_load_u8 v2, v[0:1], off
	s_mov_b32 s2, 0
	s_mov_b32 s3, exec_lo
	s_wait_loadcnt 0x0
	v_cmpx_lt_i16_e32 0x7f, v2
	s_xor_b32 s3, exec_lo, s3
	s_cbranch_execz .LBB12_1973
; %bb.1953:
	s_mov_b32 s2, -1
	s_mov_b32 s4, exec_lo
	v_cmpx_eq_u16_e32 0x80, v2
; %bb.1954:
	s_xor_b32 s2, exec_lo, -1
; %bb.1955:
	s_or_b32 exec_lo, exec_lo, s4
	s_delay_alu instid0(SALU_CYCLE_1)
	s_and_b32 s2, s2, exec_lo
	s_or_saveexec_b32 s3, s3
	v_mov_b64_e32 v[44:45], 0x7ff8000020000000
	s_xor_b32 exec_lo, exec_lo, s3
	s_cbranch_execnz .LBB12_1974
.LBB12_1956:
	s_or_b32 exec_lo, exec_lo, s3
	s_and_saveexec_b32 s3, s2
	s_cbranch_execz .LBB12_1958
.LBB12_1957:
	v_and_b32_e32 v3, 0xffff, v2
	s_delay_alu instid0(VALU_DEP_1) | instskip(SKIP_1) | instid1(VALU_DEP_2)
	v_and_b32_e32 v4, 7, v3
	v_bfe_u32 v7, v3, 3, 4
	v_clz_i32_u32_e32 v5, v4
	s_delay_alu instid0(VALU_DEP_2) | instskip(NEXT) | instid1(VALU_DEP_2)
	v_cmp_eq_u32_e32 vcc_lo, 0, v7
	v_min_u32_e32 v5, 32, v5
	s_delay_alu instid0(VALU_DEP_1) | instskip(NEXT) | instid1(VALU_DEP_1)
	v_subrev_nc_u32_e32 v6, 28, v5
	v_dual_lshlrev_b32 v3, v6, v3 :: v_dual_sub_nc_u32 v5, 29, v5
	s_delay_alu instid0(VALU_DEP_1) | instskip(NEXT) | instid1(VALU_DEP_1)
	v_dual_lshlrev_b32 v2, 24, v2 :: v_dual_bitop2_b32 v3, 7, v3 bitop3:0x40
	v_dual_cndmask_b32 v5, v7, v5, vcc_lo :: v_dual_cndmask_b32 v3, v4, v3, vcc_lo
	s_delay_alu instid0(VALU_DEP_2) | instskip(NEXT) | instid1(VALU_DEP_2)
	v_and_b32_e32 v2, 0x80000000, v2
	v_lshl_add_u32 v4, v5, 23, 0x3b800000
	s_delay_alu instid0(VALU_DEP_3) | instskip(NEXT) | instid1(VALU_DEP_1)
	v_lshlrev_b32_e32 v3, 20, v3
	v_or3_b32 v2, v2, v4, v3
	s_delay_alu instid0(VALU_DEP_1)
	v_cvt_f64_f32_e32 v[44:45], v2
.LBB12_1958:
	s_or_b32 exec_lo, exec_lo, s3
.LBB12_1959:
	s_mov_b32 s2, -1
.LBB12_1960:
	s_mov_b32 s3, 0
.LBB12_1961:
	s_delay_alu instid0(SALU_CYCLE_1)
	s_and_b32 vcc_lo, exec_lo, s3
	s_cbranch_vccz .LBB12_1994
; %bb.1962:
	s_cmp_gt_i32 s50, 22
	s_cbranch_scc0 .LBB12_1972
; %bb.1963:
	s_cmp_lt_i32 s50, 24
	s_cbranch_scc1 .LBB12_1975
; %bb.1964:
	s_cmp_gt_i32 s50, 24
	s_cbranch_scc0 .LBB12_1976
; %bb.1965:
	global_load_u8 v2, v[0:1], off
	s_mov_b32 s2, exec_lo
	s_wait_loadcnt 0x0
	v_cmpx_lt_i16_e32 0x7f, v2
	s_xor_b32 s2, exec_lo, s2
	s_cbranch_execz .LBB12_1988
; %bb.1966:
	s_mov_b32 s1, -1
	s_mov_b32 s3, exec_lo
	v_cmpx_eq_u16_e32 0x80, v2
; %bb.1967:
	s_xor_b32 s1, exec_lo, -1
; %bb.1968:
	s_or_b32 exec_lo, exec_lo, s3
	s_delay_alu instid0(SALU_CYCLE_1)
	s_and_b32 s1, s1, exec_lo
	s_or_saveexec_b32 s2, s2
	v_mov_b64_e32 v[44:45], 0x7ff8000020000000
	s_xor_b32 exec_lo, exec_lo, s2
	s_cbranch_execnz .LBB12_1989
.LBB12_1969:
	s_or_b32 exec_lo, exec_lo, s2
	s_and_saveexec_b32 s2, s1
	s_cbranch_execz .LBB12_1971
.LBB12_1970:
	v_and_b32_e32 v3, 0xffff, v2
	s_delay_alu instid0(VALU_DEP_1) | instskip(SKIP_1) | instid1(VALU_DEP_2)
	v_and_b32_e32 v4, 3, v3
	v_bfe_u32 v7, v3, 2, 5
	v_clz_i32_u32_e32 v5, v4
	s_delay_alu instid0(VALU_DEP_2) | instskip(NEXT) | instid1(VALU_DEP_2)
	v_cmp_eq_u32_e32 vcc_lo, 0, v7
	v_min_u32_e32 v5, 32, v5
	s_delay_alu instid0(VALU_DEP_1) | instskip(NEXT) | instid1(VALU_DEP_1)
	v_subrev_nc_u32_e32 v6, 29, v5
	v_dual_lshlrev_b32 v3, v6, v3 :: v_dual_sub_nc_u32 v5, 30, v5
	s_delay_alu instid0(VALU_DEP_1) | instskip(NEXT) | instid1(VALU_DEP_1)
	v_dual_lshlrev_b32 v2, 24, v2 :: v_dual_bitop2_b32 v3, 3, v3 bitop3:0x40
	v_dual_cndmask_b32 v5, v7, v5, vcc_lo :: v_dual_cndmask_b32 v3, v4, v3, vcc_lo
	s_delay_alu instid0(VALU_DEP_2) | instskip(NEXT) | instid1(VALU_DEP_2)
	v_and_b32_e32 v2, 0x80000000, v2
	v_lshl_add_u32 v4, v5, 23, 0x37800000
	s_delay_alu instid0(VALU_DEP_3) | instskip(NEXT) | instid1(VALU_DEP_1)
	v_lshlrev_b32_e32 v3, 21, v3
	v_or3_b32 v2, v2, v4, v3
	s_delay_alu instid0(VALU_DEP_1)
	v_cvt_f64_f32_e32 v[44:45], v2
.LBB12_1971:
	s_or_b32 exec_lo, exec_lo, s2
	s_mov_b32 s1, 0
	s_branch .LBB12_1977
.LBB12_1972:
	s_mov_b32 s1, -1
                                        ; implicit-def: $vgpr44_vgpr45
	s_branch .LBB12_1983
.LBB12_1973:
	s_or_saveexec_b32 s3, s3
	v_mov_b64_e32 v[44:45], 0x7ff8000020000000
	s_xor_b32 exec_lo, exec_lo, s3
	s_cbranch_execz .LBB12_1956
.LBB12_1974:
	v_cmp_ne_u16_e32 vcc_lo, 0, v2
	v_mov_b64_e32 v[44:45], 0
	s_and_not1_b32 s2, s2, exec_lo
	s_and_b32 s4, vcc_lo, exec_lo
	s_delay_alu instid0(SALU_CYCLE_1)
	s_or_b32 s2, s2, s4
	s_or_b32 exec_lo, exec_lo, s3
	s_and_saveexec_b32 s3, s2
	s_cbranch_execnz .LBB12_1957
	s_branch .LBB12_1958
.LBB12_1975:
	s_mov_b32 s1, -1
                                        ; implicit-def: $vgpr44_vgpr45
	s_branch .LBB12_1980
.LBB12_1976:
	s_mov_b32 s1, -1
                                        ; implicit-def: $vgpr44_vgpr45
.LBB12_1977:
	s_delay_alu instid0(SALU_CYCLE_1)
	s_and_b32 vcc_lo, exec_lo, s1
	s_cbranch_vccz .LBB12_1979
; %bb.1978:
	global_load_u8 v2, v[0:1], off
	s_wait_loadcnt 0x0
	v_lshlrev_b32_e32 v2, 24, v2
	s_delay_alu instid0(VALU_DEP_1) | instskip(NEXT) | instid1(VALU_DEP_1)
	v_and_b32_e32 v3, 0x7f000000, v2
	v_clz_i32_u32_e32 v4, v3
	v_cmp_ne_u32_e32 vcc_lo, 0, v3
	v_add_nc_u32_e32 v6, 0x1000000, v3
	s_delay_alu instid0(VALU_DEP_3) | instskip(NEXT) | instid1(VALU_DEP_1)
	v_min_u32_e32 v4, 32, v4
	v_sub_nc_u32_e64 v4, v4, 4 clamp
	s_delay_alu instid0(VALU_DEP_1) | instskip(NEXT) | instid1(VALU_DEP_1)
	v_dual_lshlrev_b32 v5, v4, v3 :: v_dual_lshlrev_b32 v4, 23, v4
	v_lshrrev_b32_e32 v5, 4, v5
	s_delay_alu instid0(VALU_DEP_1) | instskip(NEXT) | instid1(VALU_DEP_1)
	v_dual_sub_nc_u32 v4, v5, v4 :: v_dual_ashrrev_i32 v5, 8, v6
	v_add_nc_u32_e32 v4, 0x3c000000, v4
	s_delay_alu instid0(VALU_DEP_1) | instskip(NEXT) | instid1(VALU_DEP_1)
	v_and_or_b32 v4, 0x7f800000, v5, v4
	v_cndmask_b32_e32 v3, 0, v4, vcc_lo
	s_delay_alu instid0(VALU_DEP_1) | instskip(NEXT) | instid1(VALU_DEP_1)
	v_and_or_b32 v2, 0x80000000, v2, v3
	v_cvt_f64_f32_e32 v[44:45], v2
.LBB12_1979:
	s_mov_b32 s1, 0
.LBB12_1980:
	s_delay_alu instid0(SALU_CYCLE_1)
	s_and_not1_b32 vcc_lo, exec_lo, s1
	s_cbranch_vccnz .LBB12_1982
; %bb.1981:
	global_load_u8 v2, v[0:1], off
	s_wait_loadcnt 0x0
	v_lshlrev_b32_e32 v3, 25, v2
	v_lshlrev_b16 v2, 8, v2
	s_delay_alu instid0(VALU_DEP_1) | instskip(SKIP_1) | instid1(VALU_DEP_2)
	v_and_or_b32 v5, 0x7f00, v2, 0.5
	v_bfe_i32 v2, v2, 0, 16
	v_dual_add_f32 v5, -0.5, v5 :: v_dual_lshrrev_b32 v4, 4, v3
	v_cmp_gt_u32_e32 vcc_lo, 0x8000000, v3
	s_delay_alu instid0(VALU_DEP_2) | instskip(NEXT) | instid1(VALU_DEP_1)
	v_or_b32_e32 v4, 0x70000000, v4
	v_mul_f32_e32 v4, 0x7800000, v4
	s_delay_alu instid0(VALU_DEP_1) | instskip(NEXT) | instid1(VALU_DEP_1)
	v_cndmask_b32_e32 v3, v4, v5, vcc_lo
	v_and_or_b32 v2, 0x80000000, v2, v3
	s_delay_alu instid0(VALU_DEP_1)
	v_cvt_f64_f32_e32 v[44:45], v2
.LBB12_1982:
	s_mov_b32 s1, 0
	s_mov_b32 s2, -1
.LBB12_1983:
	s_and_not1_b32 vcc_lo, exec_lo, s1
	s_mov_b32 s1, 0
	s_cbranch_vccnz .LBB12_1994
; %bb.1984:
	s_cmp_gt_i32 s50, 14
	s_cbranch_scc0 .LBB12_1987
; %bb.1985:
	s_cmp_eq_u32 s50, 15
	s_cbranch_scc0 .LBB12_1990
; %bb.1986:
	global_load_u16 v2, v[0:1], off
	s_mov_b32 s0, 0
	s_mov_b32 s2, -1
	s_wait_loadcnt 0x0
	v_lshlrev_b32_e32 v2, 16, v2
	s_delay_alu instid0(VALU_DEP_1)
	v_cvt_f64_f32_e32 v[44:45], v2
	s_branch .LBB12_1992
.LBB12_1987:
	s_mov_b32 s1, -1
	s_branch .LBB12_1991
.LBB12_1988:
	s_or_saveexec_b32 s2, s2
	v_mov_b64_e32 v[44:45], 0x7ff8000020000000
	s_xor_b32 exec_lo, exec_lo, s2
	s_cbranch_execz .LBB12_1969
.LBB12_1989:
	v_cmp_ne_u16_e32 vcc_lo, 0, v2
	v_mov_b64_e32 v[44:45], 0
	s_and_not1_b32 s1, s1, exec_lo
	s_and_b32 s3, vcc_lo, exec_lo
	s_delay_alu instid0(SALU_CYCLE_1)
	s_or_b32 s1, s1, s3
	s_or_b32 exec_lo, exec_lo, s2
	s_and_saveexec_b32 s2, s1
	s_cbranch_execnz .LBB12_1970
	s_branch .LBB12_1971
.LBB12_1990:
	s_mov_b32 s0, -1
.LBB12_1991:
                                        ; implicit-def: $vgpr44_vgpr45
.LBB12_1992:
	s_and_b32 vcc_lo, exec_lo, s1
	s_mov_b32 s1, 0
	s_cbranch_vccz .LBB12_1994
; %bb.1993:
	s_cmp_lg_u32 s50, 11
	s_mov_b32 s1, -1
	s_cselect_b32 s0, -1, 0
.LBB12_1994:
	s_delay_alu instid0(SALU_CYCLE_1)
	s_and_b32 vcc_lo, exec_lo, s0
	s_cbranch_vccnz .LBB12_2057
; %bb.1995:
	s_and_not1_b32 vcc_lo, exec_lo, s1
	s_cbranch_vccnz .LBB12_1997
.LBB12_1996:
	global_load_u8 v2, v[0:1], off
	v_mov_b32_e32 v44, 0
	s_mov_b32 s2, -1
	s_wait_loadcnt 0x0
	v_cmp_ne_u16_e32 vcc_lo, 0, v2
	v_cndmask_b32_e64 v45, 0, 0x3ff00000, vcc_lo
.LBB12_1997:
	s_branch .LBB12_1924
.LBB12_1998:
	s_cmp_lt_i32 s50, 5
	s_cbranch_scc1 .LBB12_2003
; %bb.1999:
	s_cmp_lt_i32 s50, 8
	s_cbranch_scc1 .LBB12_2004
; %bb.2000:
	;; [unrolled: 3-line block ×3, first 2 shown]
	s_cmp_gt_i32 s50, 9
	s_cbranch_scc0 .LBB12_2006
; %bb.2002:
	global_load_b64 v[44:45], v[0:1], off
	s_mov_b32 s0, 0
	s_branch .LBB12_2007
.LBB12_2003:
	s_mov_b32 s0, -1
                                        ; implicit-def: $vgpr44_vgpr45
	s_branch .LBB12_2025
.LBB12_2004:
	s_mov_b32 s0, -1
                                        ; implicit-def: $vgpr44_vgpr45
	s_branch .LBB12_2013
.LBB12_2005:
	s_mov_b32 s0, -1
                                        ; implicit-def: $vgpr44_vgpr45
	s_branch .LBB12_2010
.LBB12_2006:
	s_mov_b32 s0, -1
                                        ; implicit-def: $vgpr44_vgpr45
.LBB12_2007:
	s_delay_alu instid0(SALU_CYCLE_1)
	s_and_not1_b32 vcc_lo, exec_lo, s0
	s_cbranch_vccnz .LBB12_2009
; %bb.2008:
	global_load_b32 v2, v[0:1], off
	s_wait_loadcnt 0x0
	v_cvt_f64_f32_e32 v[44:45], v2
.LBB12_2009:
	s_mov_b32 s0, 0
.LBB12_2010:
	s_delay_alu instid0(SALU_CYCLE_1)
	s_and_not1_b32 vcc_lo, exec_lo, s0
	s_cbranch_vccnz .LBB12_2012
; %bb.2011:
	global_load_b32 v2, v[0:1], off
	s_wait_loadcnt 0x0
	v_cvt_f32_f16_e32 v2, v2
	s_delay_alu instid0(VALU_DEP_1)
	v_cvt_f64_f32_e32 v[44:45], v2
.LBB12_2012:
	s_mov_b32 s0, 0
.LBB12_2013:
	s_delay_alu instid0(SALU_CYCLE_1)
	s_and_not1_b32 vcc_lo, exec_lo, s0
	s_cbranch_vccnz .LBB12_2024
; %bb.2014:
	s_cmp_lt_i32 s50, 6
	s_cbranch_scc1 .LBB12_2017
; %bb.2015:
	s_cmp_gt_i32 s50, 6
	s_cbranch_scc0 .LBB12_2018
; %bb.2016:
	s_wait_loadcnt 0x0
	global_load_b64 v[44:45], v[0:1], off
	s_mov_b32 s0, 0
	s_branch .LBB12_2019
.LBB12_2017:
	s_mov_b32 s0, -1
                                        ; implicit-def: $vgpr44_vgpr45
	s_branch .LBB12_2022
.LBB12_2018:
	s_mov_b32 s0, -1
                                        ; implicit-def: $vgpr44_vgpr45
.LBB12_2019:
	s_delay_alu instid0(SALU_CYCLE_1)
	s_and_not1_b32 vcc_lo, exec_lo, s0
	s_cbranch_vccnz .LBB12_2021
; %bb.2020:
	global_load_b32 v2, v[0:1], off
	s_wait_loadcnt 0x0
	v_cvt_f64_f32_e32 v[44:45], v2
.LBB12_2021:
	s_mov_b32 s0, 0
.LBB12_2022:
	s_delay_alu instid0(SALU_CYCLE_1)
	s_and_not1_b32 vcc_lo, exec_lo, s0
	s_cbranch_vccnz .LBB12_2024
; %bb.2023:
	global_load_u16 v2, v[0:1], off
	s_wait_loadcnt 0x0
	v_cvt_f32_f16_e32 v2, v2
	s_delay_alu instid0(VALU_DEP_1)
	v_cvt_f64_f32_e32 v[44:45], v2
.LBB12_2024:
	s_mov_b32 s0, 0
.LBB12_2025:
	s_delay_alu instid0(SALU_CYCLE_1)
	s_and_not1_b32 vcc_lo, exec_lo, s0
	s_cbranch_vccnz .LBB12_2045
; %bb.2026:
	s_cmp_lt_i32 s50, 2
	s_cbranch_scc1 .LBB12_2030
; %bb.2027:
	s_cmp_lt_i32 s50, 3
	s_cbranch_scc1 .LBB12_2031
; %bb.2028:
	s_cmp_gt_i32 s50, 3
	s_cbranch_scc0 .LBB12_2032
; %bb.2029:
	global_load_b64 v[2:3], v[0:1], off
	s_mov_b32 s0, 0
	s_wait_loadcnt 0x0
	v_cvt_f64_i32_e32 v[4:5], v3
	v_cvt_f64_u32_e32 v[2:3], v2
	s_delay_alu instid0(VALU_DEP_2) | instskip(NEXT) | instid1(VALU_DEP_1)
	v_ldexp_f64 v[4:5], v[4:5], 32
	v_add_f64_e32 v[44:45], v[4:5], v[2:3]
	s_branch .LBB12_2033
.LBB12_2030:
	s_mov_b32 s0, -1
                                        ; implicit-def: $vgpr44_vgpr45
	s_branch .LBB12_2039
.LBB12_2031:
	s_mov_b32 s0, -1
                                        ; implicit-def: $vgpr44_vgpr45
	s_branch .LBB12_2036
.LBB12_2032:
	s_mov_b32 s0, -1
                                        ; implicit-def: $vgpr44_vgpr45
.LBB12_2033:
	s_delay_alu instid0(SALU_CYCLE_1)
	s_and_not1_b32 vcc_lo, exec_lo, s0
	s_cbranch_vccnz .LBB12_2035
; %bb.2034:
	global_load_b32 v2, v[0:1], off
	s_wait_loadcnt 0x0
	v_cvt_f64_i32_e32 v[44:45], v2
.LBB12_2035:
	s_mov_b32 s0, 0
.LBB12_2036:
	s_delay_alu instid0(SALU_CYCLE_1)
	s_and_not1_b32 vcc_lo, exec_lo, s0
	s_cbranch_vccnz .LBB12_2038
; %bb.2037:
	global_load_i16 v2, v[0:1], off
	s_wait_loadcnt 0x0
	v_cvt_f64_i32_e32 v[44:45], v2
.LBB12_2038:
	s_mov_b32 s0, 0
.LBB12_2039:
	s_delay_alu instid0(SALU_CYCLE_1)
	s_and_not1_b32 vcc_lo, exec_lo, s0
	s_cbranch_vccnz .LBB12_2045
; %bb.2040:
	s_cmp_gt_i32 s50, 0
	s_mov_b32 s0, 0
	s_cbranch_scc0 .LBB12_2042
; %bb.2041:
	global_load_i8 v2, v[0:1], off
	s_wait_loadcnt 0x0
	v_cvt_f64_i32_e32 v[44:45], v2
	s_branch .LBB12_2043
.LBB12_2042:
	s_mov_b32 s0, -1
                                        ; implicit-def: $vgpr44_vgpr45
.LBB12_2043:
	s_delay_alu instid0(SALU_CYCLE_1)
	s_and_not1_b32 vcc_lo, exec_lo, s0
	s_cbranch_vccnz .LBB12_2045
; %bb.2044:
	global_load_u8 v0, v[0:1], off
	s_wait_loadcnt 0x0
	v_cvt_f64_u32_e32 v[44:45], v0
.LBB12_2045:
.LBB12_2046:
	v_mov_b32_e32 v57, 0
	s_and_b32 s51, 0xffff, s51
	s_delay_alu instid0(SALU_CYCLE_1) | instskip(SKIP_1) | instid1(VALU_DEP_1)
	s_cmp_lt_i32 s51, 11
	s_wait_xcnt 0x0
	v_add_nc_u64_e32 v[0:1], s[44:45], v[56:57]
	s_cbranch_scc1 .LBB12_2053
; %bb.2047:
	s_cmp_gt_i32 s51, 25
	s_mov_b32 s1, 0
	s_cbranch_scc0 .LBB12_2054
; %bb.2048:
	s_cmp_gt_i32 s51, 28
	s_cbranch_scc0 .LBB12_2055
; %bb.2049:
	s_cmp_gt_i32 s51, 43
	;; [unrolled: 3-line block ×3, first 2 shown]
	s_cbranch_scc0 .LBB12_2058
; %bb.2051:
	s_cmp_eq_u32 s51, 46
	s_mov_b32 s3, 0
	s_cbranch_scc0 .LBB12_2059
; %bb.2052:
	global_load_b32 v2, v[0:1], off
	s_mov_b32 s0, 0
	s_mov_b32 s2, -1
	s_wait_loadcnt 0x0
	v_lshlrev_b32_e32 v2, 16, v2
	s_delay_alu instid0(VALU_DEP_1)
	v_cvt_f64_f32_e32 v[46:47], v2
	s_branch .LBB12_2061
.LBB12_2053:
	s_mov_b32 s0, -1
	s_mov_b32 s2, 0
                                        ; implicit-def: $vgpr46_vgpr47
	s_branch .LBB12_2127
.LBB12_2054:
	s_mov_b32 s3, -1
	s_mov_b32 s2, 0
	s_mov_b32 s0, 0
                                        ; implicit-def: $vgpr46_vgpr47
	s_branch .LBB12_2090
.LBB12_2055:
	s_mov_b32 s3, -1
	s_mov_b32 s2, 0
	s_mov_b32 s0, 0
                                        ; implicit-def: $vgpr46_vgpr47
	s_branch .LBB12_2071
.LBB12_2056:
	s_mov_b32 s3, -1
	s_mov_b32 s2, 0
	s_mov_b32 s0, 0
                                        ; implicit-def: $vgpr46_vgpr47
	s_branch .LBB12_2066
.LBB12_2057:
	s_or_b32 s48, s48, exec_lo
	s_trap 2
	s_cbranch_execz .LBB12_1996
	s_branch .LBB12_1997
.LBB12_2058:
	s_mov_b32 s3, -1
	s_mov_b32 s2, 0
	s_mov_b32 s0, 0
	s_branch .LBB12_2060
.LBB12_2059:
	s_mov_b32 s0, -1
	s_mov_b32 s2, 0
.LBB12_2060:
                                        ; implicit-def: $vgpr46_vgpr47
.LBB12_2061:
	s_and_b32 vcc_lo, exec_lo, s3
	s_cbranch_vccz .LBB12_2065
; %bb.2062:
	s_cmp_eq_u32 s51, 44
	s_cbranch_scc0 .LBB12_2064
; %bb.2063:
	global_load_u8 v4, v[0:1], off
	s_mov_b32 s0, 0
	s_mov_b32 s2, -1
	s_wait_loadcnt 0x0
	v_cmp_ne_u32_e32 vcc_lo, 0xff, v4
	v_lshlrev_b32_e32 v2, 23, v4
	s_delay_alu instid0(VALU_DEP_1) | instskip(NEXT) | instid1(VALU_DEP_1)
	v_cvt_f64_f32_e32 v[2:3], v2
	v_cndmask_b32_e32 v2, 0x20000000, v2, vcc_lo
	s_delay_alu instid0(VALU_DEP_2) | instskip(SKIP_1) | instid1(VALU_DEP_2)
	v_cndmask_b32_e32 v3, 0x7ff80000, v3, vcc_lo
	v_cmp_ne_u32_e32 vcc_lo, 0, v4
	v_cndmask_b32_e32 v47, 0x38000000, v3, vcc_lo
	s_delay_alu instid0(VALU_DEP_4)
	v_cndmask_b32_e32 v46, 0, v2, vcc_lo
	s_branch .LBB12_2065
.LBB12_2064:
	s_mov_b32 s0, -1
                                        ; implicit-def: $vgpr46_vgpr47
.LBB12_2065:
	s_mov_b32 s3, 0
.LBB12_2066:
	s_delay_alu instid0(SALU_CYCLE_1)
	s_and_b32 vcc_lo, exec_lo, s3
	s_cbranch_vccz .LBB12_2070
; %bb.2067:
	s_cmp_eq_u32 s51, 29
	s_cbranch_scc0 .LBB12_2069
; %bb.2068:
	global_load_b64 v[2:3], v[0:1], off
	s_mov_b32 s0, 0
	s_mov_b32 s2, -1
	s_mov_b32 s3, 0
	s_wait_loadcnt 0x0
	v_cvt_f64_u32_e32 v[4:5], v3
	v_cvt_f64_u32_e32 v[2:3], v2
	s_delay_alu instid0(VALU_DEP_2) | instskip(NEXT) | instid1(VALU_DEP_1)
	v_ldexp_f64 v[4:5], v[4:5], 32
	v_add_f64_e32 v[46:47], v[4:5], v[2:3]
	s_branch .LBB12_2071
.LBB12_2069:
	s_mov_b32 s0, -1
                                        ; implicit-def: $vgpr46_vgpr47
.LBB12_2070:
	s_mov_b32 s3, 0
.LBB12_2071:
	s_delay_alu instid0(SALU_CYCLE_1)
	s_and_b32 vcc_lo, exec_lo, s3
	s_cbranch_vccz .LBB12_2089
; %bb.2072:
	s_cmp_lt_i32 s51, 27
	s_cbranch_scc1 .LBB12_2075
; %bb.2073:
	s_cmp_gt_i32 s51, 27
	s_cbranch_scc0 .LBB12_2076
; %bb.2074:
	global_load_b32 v2, v[0:1], off
	s_mov_b32 s2, 0
	s_wait_loadcnt 0x0
	v_cvt_f64_u32_e32 v[46:47], v2
	s_branch .LBB12_2077
.LBB12_2075:
	s_mov_b32 s2, -1
                                        ; implicit-def: $vgpr46_vgpr47
	s_branch .LBB12_2080
.LBB12_2076:
	s_mov_b32 s2, -1
                                        ; implicit-def: $vgpr46_vgpr47
.LBB12_2077:
	s_delay_alu instid0(SALU_CYCLE_1)
	s_and_not1_b32 vcc_lo, exec_lo, s2
	s_cbranch_vccnz .LBB12_2079
; %bb.2078:
	global_load_u16 v2, v[0:1], off
	s_wait_loadcnt 0x0
	v_cvt_f64_u32_e32 v[46:47], v2
.LBB12_2079:
	s_mov_b32 s2, 0
.LBB12_2080:
	s_delay_alu instid0(SALU_CYCLE_1)
	s_and_not1_b32 vcc_lo, exec_lo, s2
	s_cbranch_vccnz .LBB12_2088
; %bb.2081:
	global_load_u8 v2, v[0:1], off
	s_mov_b32 s2, 0
	s_mov_b32 s3, exec_lo
	s_wait_loadcnt 0x0
	v_cmpx_lt_i16_e32 0x7f, v2
	s_xor_b32 s3, exec_lo, s3
	s_cbranch_execz .LBB12_2102
; %bb.2082:
	s_mov_b32 s2, -1
	s_mov_b32 s4, exec_lo
	v_cmpx_eq_u16_e32 0x80, v2
; %bb.2083:
	s_xor_b32 s2, exec_lo, -1
; %bb.2084:
	s_or_b32 exec_lo, exec_lo, s4
	s_delay_alu instid0(SALU_CYCLE_1)
	s_and_b32 s2, s2, exec_lo
	s_or_saveexec_b32 s3, s3
	v_mov_b64_e32 v[46:47], 0x7ff8000020000000
	s_xor_b32 exec_lo, exec_lo, s3
	s_cbranch_execnz .LBB12_2103
.LBB12_2085:
	s_or_b32 exec_lo, exec_lo, s3
	s_and_saveexec_b32 s3, s2
	s_cbranch_execz .LBB12_2087
.LBB12_2086:
	v_and_b32_e32 v3, 0xffff, v2
	s_delay_alu instid0(VALU_DEP_1) | instskip(SKIP_1) | instid1(VALU_DEP_2)
	v_and_b32_e32 v4, 7, v3
	v_bfe_u32 v7, v3, 3, 4
	v_clz_i32_u32_e32 v5, v4
	s_delay_alu instid0(VALU_DEP_2) | instskip(NEXT) | instid1(VALU_DEP_2)
	v_cmp_eq_u32_e32 vcc_lo, 0, v7
	v_min_u32_e32 v5, 32, v5
	s_delay_alu instid0(VALU_DEP_1) | instskip(NEXT) | instid1(VALU_DEP_1)
	v_subrev_nc_u32_e32 v6, 28, v5
	v_dual_lshlrev_b32 v3, v6, v3 :: v_dual_sub_nc_u32 v5, 29, v5
	s_delay_alu instid0(VALU_DEP_1) | instskip(NEXT) | instid1(VALU_DEP_1)
	v_dual_lshlrev_b32 v2, 24, v2 :: v_dual_bitop2_b32 v3, 7, v3 bitop3:0x40
	v_dual_cndmask_b32 v5, v7, v5, vcc_lo :: v_dual_cndmask_b32 v3, v4, v3, vcc_lo
	s_delay_alu instid0(VALU_DEP_2) | instskip(NEXT) | instid1(VALU_DEP_2)
	v_and_b32_e32 v2, 0x80000000, v2
	v_lshl_add_u32 v4, v5, 23, 0x3b800000
	s_delay_alu instid0(VALU_DEP_3) | instskip(NEXT) | instid1(VALU_DEP_1)
	v_lshlrev_b32_e32 v3, 20, v3
	v_or3_b32 v2, v2, v4, v3
	s_delay_alu instid0(VALU_DEP_1)
	v_cvt_f64_f32_e32 v[46:47], v2
.LBB12_2087:
	s_or_b32 exec_lo, exec_lo, s3
.LBB12_2088:
	s_mov_b32 s2, -1
.LBB12_2089:
	s_mov_b32 s3, 0
.LBB12_2090:
	s_delay_alu instid0(SALU_CYCLE_1)
	s_and_b32 vcc_lo, exec_lo, s3
	s_cbranch_vccz .LBB12_2123
; %bb.2091:
	s_cmp_gt_i32 s51, 22
	s_cbranch_scc0 .LBB12_2101
; %bb.2092:
	s_cmp_lt_i32 s51, 24
	s_cbranch_scc1 .LBB12_2104
; %bb.2093:
	s_cmp_gt_i32 s51, 24
	s_cbranch_scc0 .LBB12_2105
; %bb.2094:
	global_load_u8 v2, v[0:1], off
	s_mov_b32 s2, exec_lo
	s_wait_loadcnt 0x0
	v_cmpx_lt_i16_e32 0x7f, v2
	s_xor_b32 s2, exec_lo, s2
	s_cbranch_execz .LBB12_2117
; %bb.2095:
	s_mov_b32 s1, -1
	s_mov_b32 s3, exec_lo
	v_cmpx_eq_u16_e32 0x80, v2
; %bb.2096:
	s_xor_b32 s1, exec_lo, -1
; %bb.2097:
	s_or_b32 exec_lo, exec_lo, s3
	s_delay_alu instid0(SALU_CYCLE_1)
	s_and_b32 s1, s1, exec_lo
	s_or_saveexec_b32 s2, s2
	v_mov_b64_e32 v[46:47], 0x7ff8000020000000
	s_xor_b32 exec_lo, exec_lo, s2
	s_cbranch_execnz .LBB12_2118
.LBB12_2098:
	s_or_b32 exec_lo, exec_lo, s2
	s_and_saveexec_b32 s2, s1
	s_cbranch_execz .LBB12_2100
.LBB12_2099:
	v_and_b32_e32 v3, 0xffff, v2
	s_delay_alu instid0(VALU_DEP_1) | instskip(SKIP_1) | instid1(VALU_DEP_2)
	v_and_b32_e32 v4, 3, v3
	v_bfe_u32 v7, v3, 2, 5
	v_clz_i32_u32_e32 v5, v4
	s_delay_alu instid0(VALU_DEP_2) | instskip(NEXT) | instid1(VALU_DEP_2)
	v_cmp_eq_u32_e32 vcc_lo, 0, v7
	v_min_u32_e32 v5, 32, v5
	s_delay_alu instid0(VALU_DEP_1) | instskip(NEXT) | instid1(VALU_DEP_1)
	v_subrev_nc_u32_e32 v6, 29, v5
	v_dual_lshlrev_b32 v3, v6, v3 :: v_dual_sub_nc_u32 v5, 30, v5
	s_delay_alu instid0(VALU_DEP_1) | instskip(NEXT) | instid1(VALU_DEP_1)
	v_dual_lshlrev_b32 v2, 24, v2 :: v_dual_bitop2_b32 v3, 3, v3 bitop3:0x40
	v_dual_cndmask_b32 v5, v7, v5, vcc_lo :: v_dual_cndmask_b32 v3, v4, v3, vcc_lo
	s_delay_alu instid0(VALU_DEP_2) | instskip(NEXT) | instid1(VALU_DEP_2)
	v_and_b32_e32 v2, 0x80000000, v2
	v_lshl_add_u32 v4, v5, 23, 0x37800000
	s_delay_alu instid0(VALU_DEP_3) | instskip(NEXT) | instid1(VALU_DEP_1)
	v_lshlrev_b32_e32 v3, 21, v3
	v_or3_b32 v2, v2, v4, v3
	s_delay_alu instid0(VALU_DEP_1)
	v_cvt_f64_f32_e32 v[46:47], v2
.LBB12_2100:
	s_or_b32 exec_lo, exec_lo, s2
	s_mov_b32 s1, 0
	s_branch .LBB12_2106
.LBB12_2101:
	s_mov_b32 s1, -1
                                        ; implicit-def: $vgpr46_vgpr47
	s_branch .LBB12_2112
.LBB12_2102:
	s_or_saveexec_b32 s3, s3
	v_mov_b64_e32 v[46:47], 0x7ff8000020000000
	s_xor_b32 exec_lo, exec_lo, s3
	s_cbranch_execz .LBB12_2085
.LBB12_2103:
	v_cmp_ne_u16_e32 vcc_lo, 0, v2
	v_mov_b64_e32 v[46:47], 0
	s_and_not1_b32 s2, s2, exec_lo
	s_and_b32 s4, vcc_lo, exec_lo
	s_delay_alu instid0(SALU_CYCLE_1)
	s_or_b32 s2, s2, s4
	s_or_b32 exec_lo, exec_lo, s3
	s_and_saveexec_b32 s3, s2
	s_cbranch_execnz .LBB12_2086
	s_branch .LBB12_2087
.LBB12_2104:
	s_mov_b32 s1, -1
                                        ; implicit-def: $vgpr46_vgpr47
	s_branch .LBB12_2109
.LBB12_2105:
	s_mov_b32 s1, -1
                                        ; implicit-def: $vgpr46_vgpr47
.LBB12_2106:
	s_delay_alu instid0(SALU_CYCLE_1)
	s_and_b32 vcc_lo, exec_lo, s1
	s_cbranch_vccz .LBB12_2108
; %bb.2107:
	global_load_u8 v2, v[0:1], off
	s_wait_loadcnt 0x0
	v_lshlrev_b32_e32 v2, 24, v2
	s_delay_alu instid0(VALU_DEP_1) | instskip(NEXT) | instid1(VALU_DEP_1)
	v_and_b32_e32 v3, 0x7f000000, v2
	v_clz_i32_u32_e32 v4, v3
	v_cmp_ne_u32_e32 vcc_lo, 0, v3
	v_add_nc_u32_e32 v6, 0x1000000, v3
	s_delay_alu instid0(VALU_DEP_3) | instskip(NEXT) | instid1(VALU_DEP_1)
	v_min_u32_e32 v4, 32, v4
	v_sub_nc_u32_e64 v4, v4, 4 clamp
	s_delay_alu instid0(VALU_DEP_1) | instskip(NEXT) | instid1(VALU_DEP_1)
	v_dual_lshlrev_b32 v5, v4, v3 :: v_dual_lshlrev_b32 v4, 23, v4
	v_lshrrev_b32_e32 v5, 4, v5
	s_delay_alu instid0(VALU_DEP_1) | instskip(NEXT) | instid1(VALU_DEP_1)
	v_dual_sub_nc_u32 v4, v5, v4 :: v_dual_ashrrev_i32 v5, 8, v6
	v_add_nc_u32_e32 v4, 0x3c000000, v4
	s_delay_alu instid0(VALU_DEP_1) | instskip(NEXT) | instid1(VALU_DEP_1)
	v_and_or_b32 v4, 0x7f800000, v5, v4
	v_cndmask_b32_e32 v3, 0, v4, vcc_lo
	s_delay_alu instid0(VALU_DEP_1) | instskip(NEXT) | instid1(VALU_DEP_1)
	v_and_or_b32 v2, 0x80000000, v2, v3
	v_cvt_f64_f32_e32 v[46:47], v2
.LBB12_2108:
	s_mov_b32 s1, 0
.LBB12_2109:
	s_delay_alu instid0(SALU_CYCLE_1)
	s_and_not1_b32 vcc_lo, exec_lo, s1
	s_cbranch_vccnz .LBB12_2111
; %bb.2110:
	global_load_u8 v2, v[0:1], off
	s_wait_loadcnt 0x0
	v_lshlrev_b32_e32 v3, 25, v2
	v_lshlrev_b16 v2, 8, v2
	s_delay_alu instid0(VALU_DEP_1) | instskip(SKIP_1) | instid1(VALU_DEP_2)
	v_and_or_b32 v5, 0x7f00, v2, 0.5
	v_bfe_i32 v2, v2, 0, 16
	v_dual_add_f32 v5, -0.5, v5 :: v_dual_lshrrev_b32 v4, 4, v3
	v_cmp_gt_u32_e32 vcc_lo, 0x8000000, v3
	s_delay_alu instid0(VALU_DEP_2) | instskip(NEXT) | instid1(VALU_DEP_1)
	v_or_b32_e32 v4, 0x70000000, v4
	v_mul_f32_e32 v4, 0x7800000, v4
	s_delay_alu instid0(VALU_DEP_1) | instskip(NEXT) | instid1(VALU_DEP_1)
	v_cndmask_b32_e32 v3, v4, v5, vcc_lo
	v_and_or_b32 v2, 0x80000000, v2, v3
	s_delay_alu instid0(VALU_DEP_1)
	v_cvt_f64_f32_e32 v[46:47], v2
.LBB12_2111:
	s_mov_b32 s1, 0
	s_mov_b32 s2, -1
.LBB12_2112:
	s_and_not1_b32 vcc_lo, exec_lo, s1
	s_mov_b32 s1, 0
	s_cbranch_vccnz .LBB12_2123
; %bb.2113:
	s_cmp_gt_i32 s51, 14
	s_cbranch_scc0 .LBB12_2116
; %bb.2114:
	s_cmp_eq_u32 s51, 15
	s_cbranch_scc0 .LBB12_2119
; %bb.2115:
	global_load_u16 v2, v[0:1], off
	s_mov_b32 s0, 0
	s_mov_b32 s2, -1
	s_wait_loadcnt 0x0
	v_lshlrev_b32_e32 v2, 16, v2
	s_delay_alu instid0(VALU_DEP_1)
	v_cvt_f64_f32_e32 v[46:47], v2
	s_branch .LBB12_2121
.LBB12_2116:
	s_mov_b32 s1, -1
	s_branch .LBB12_2120
.LBB12_2117:
	s_or_saveexec_b32 s2, s2
	v_mov_b64_e32 v[46:47], 0x7ff8000020000000
	s_xor_b32 exec_lo, exec_lo, s2
	s_cbranch_execz .LBB12_2098
.LBB12_2118:
	v_cmp_ne_u16_e32 vcc_lo, 0, v2
	v_mov_b64_e32 v[46:47], 0
	s_and_not1_b32 s1, s1, exec_lo
	s_and_b32 s3, vcc_lo, exec_lo
	s_delay_alu instid0(SALU_CYCLE_1)
	s_or_b32 s1, s1, s3
	s_or_b32 exec_lo, exec_lo, s2
	s_and_saveexec_b32 s2, s1
	s_cbranch_execnz .LBB12_2099
	s_branch .LBB12_2100
.LBB12_2119:
	s_mov_b32 s0, -1
.LBB12_2120:
                                        ; implicit-def: $vgpr46_vgpr47
.LBB12_2121:
	s_and_b32 vcc_lo, exec_lo, s1
	s_mov_b32 s1, 0
	s_cbranch_vccz .LBB12_2123
; %bb.2122:
	s_cmp_lg_u32 s51, 11
	s_mov_b32 s1, -1
	s_cselect_b32 s0, -1, 0
.LBB12_2123:
	s_delay_alu instid0(SALU_CYCLE_1)
	s_and_b32 vcc_lo, exec_lo, s0
	s_cbranch_vccnz .LBB12_2193
; %bb.2124:
	s_and_not1_b32 vcc_lo, exec_lo, s1
	s_cbranch_vccnz .LBB12_2126
.LBB12_2125:
	global_load_u8 v2, v[0:1], off
	s_wait_loadcnt 0x1
	v_mov_b32_e32 v46, 0
	s_mov_b32 s2, -1
	s_wait_loadcnt 0x0
	v_cmp_ne_u16_e32 vcc_lo, 0, v2
	v_cndmask_b32_e64 v47, 0, 0x3ff00000, vcc_lo
.LBB12_2126:
	s_mov_b32 s0, 0
.LBB12_2127:
	s_delay_alu instid0(SALU_CYCLE_1)
	s_and_b32 vcc_lo, exec_lo, s0
	s_cbranch_vccz .LBB12_2176
; %bb.2128:
	s_cmp_lt_i32 s51, 5
	s_cbranch_scc1 .LBB12_2133
; %bb.2129:
	s_cmp_lt_i32 s51, 8
	s_cbranch_scc1 .LBB12_2134
	;; [unrolled: 3-line block ×3, first 2 shown]
; %bb.2131:
	s_cmp_gt_i32 s51, 9
	s_cbranch_scc0 .LBB12_2136
; %bb.2132:
	s_wait_loadcnt 0x0
	global_load_b64 v[46:47], v[0:1], off
	s_mov_b32 s0, 0
	s_branch .LBB12_2137
.LBB12_2133:
	s_mov_b32 s0, -1
                                        ; implicit-def: $vgpr46_vgpr47
	s_branch .LBB12_2155
.LBB12_2134:
	s_mov_b32 s0, -1
                                        ; implicit-def: $vgpr46_vgpr47
	s_branch .LBB12_2143
.LBB12_2135:
	s_mov_b32 s0, -1
                                        ; implicit-def: $vgpr46_vgpr47
	s_branch .LBB12_2140
.LBB12_2136:
	s_mov_b32 s0, -1
                                        ; implicit-def: $vgpr46_vgpr47
.LBB12_2137:
	s_delay_alu instid0(SALU_CYCLE_1)
	s_and_not1_b32 vcc_lo, exec_lo, s0
	s_cbranch_vccnz .LBB12_2139
; %bb.2138:
	global_load_b32 v2, v[0:1], off
	s_wait_loadcnt 0x0
	v_cvt_f64_f32_e32 v[46:47], v2
.LBB12_2139:
	s_mov_b32 s0, 0
.LBB12_2140:
	s_delay_alu instid0(SALU_CYCLE_1)
	s_and_not1_b32 vcc_lo, exec_lo, s0
	s_cbranch_vccnz .LBB12_2142
; %bb.2141:
	global_load_b32 v2, v[0:1], off
	s_wait_loadcnt 0x0
	v_cvt_f32_f16_e32 v2, v2
	s_delay_alu instid0(VALU_DEP_1)
	v_cvt_f64_f32_e32 v[46:47], v2
.LBB12_2142:
	s_mov_b32 s0, 0
.LBB12_2143:
	s_delay_alu instid0(SALU_CYCLE_1)
	s_and_not1_b32 vcc_lo, exec_lo, s0
	s_cbranch_vccnz .LBB12_2154
; %bb.2144:
	s_cmp_lt_i32 s51, 6
	s_cbranch_scc1 .LBB12_2147
; %bb.2145:
	s_cmp_gt_i32 s51, 6
	s_cbranch_scc0 .LBB12_2148
; %bb.2146:
	s_wait_loadcnt 0x0
	global_load_b64 v[46:47], v[0:1], off
	s_mov_b32 s0, 0
	s_branch .LBB12_2149
.LBB12_2147:
	s_mov_b32 s0, -1
                                        ; implicit-def: $vgpr46_vgpr47
	s_branch .LBB12_2152
.LBB12_2148:
	s_mov_b32 s0, -1
                                        ; implicit-def: $vgpr46_vgpr47
.LBB12_2149:
	s_delay_alu instid0(SALU_CYCLE_1)
	s_and_not1_b32 vcc_lo, exec_lo, s0
	s_cbranch_vccnz .LBB12_2151
; %bb.2150:
	global_load_b32 v2, v[0:1], off
	s_wait_loadcnt 0x0
	v_cvt_f64_f32_e32 v[46:47], v2
.LBB12_2151:
	s_mov_b32 s0, 0
.LBB12_2152:
	s_delay_alu instid0(SALU_CYCLE_1)
	s_and_not1_b32 vcc_lo, exec_lo, s0
	s_cbranch_vccnz .LBB12_2154
; %bb.2153:
	global_load_u16 v2, v[0:1], off
	s_wait_loadcnt 0x0
	v_cvt_f32_f16_e32 v2, v2
	s_delay_alu instid0(VALU_DEP_1)
	v_cvt_f64_f32_e32 v[46:47], v2
.LBB12_2154:
	s_mov_b32 s0, 0
.LBB12_2155:
	s_delay_alu instid0(SALU_CYCLE_1)
	s_and_not1_b32 vcc_lo, exec_lo, s0
	s_cbranch_vccnz .LBB12_2175
; %bb.2156:
	s_cmp_lt_i32 s51, 2
	s_cbranch_scc1 .LBB12_2160
; %bb.2157:
	s_cmp_lt_i32 s51, 3
	s_cbranch_scc1 .LBB12_2161
; %bb.2158:
	s_cmp_gt_i32 s51, 3
	s_cbranch_scc0 .LBB12_2162
; %bb.2159:
	global_load_b64 v[2:3], v[0:1], off
	s_mov_b32 s0, 0
	s_wait_loadcnt 0x0
	v_cvt_f64_i32_e32 v[4:5], v3
	v_cvt_f64_u32_e32 v[2:3], v2
	s_delay_alu instid0(VALU_DEP_2) | instskip(NEXT) | instid1(VALU_DEP_1)
	v_ldexp_f64 v[4:5], v[4:5], 32
	v_add_f64_e32 v[46:47], v[4:5], v[2:3]
	s_branch .LBB12_2163
.LBB12_2160:
	s_mov_b32 s0, -1
                                        ; implicit-def: $vgpr46_vgpr47
	s_branch .LBB12_2169
.LBB12_2161:
	s_mov_b32 s0, -1
                                        ; implicit-def: $vgpr46_vgpr47
	s_branch .LBB12_2166
.LBB12_2162:
	s_mov_b32 s0, -1
                                        ; implicit-def: $vgpr46_vgpr47
.LBB12_2163:
	s_delay_alu instid0(SALU_CYCLE_1)
	s_and_not1_b32 vcc_lo, exec_lo, s0
	s_cbranch_vccnz .LBB12_2165
; %bb.2164:
	global_load_b32 v2, v[0:1], off
	s_wait_loadcnt 0x0
	v_cvt_f64_i32_e32 v[46:47], v2
.LBB12_2165:
	s_mov_b32 s0, 0
.LBB12_2166:
	s_delay_alu instid0(SALU_CYCLE_1)
	s_and_not1_b32 vcc_lo, exec_lo, s0
	s_cbranch_vccnz .LBB12_2168
; %bb.2167:
	global_load_i16 v2, v[0:1], off
	s_wait_loadcnt 0x0
	v_cvt_f64_i32_e32 v[46:47], v2
.LBB12_2168:
	s_mov_b32 s0, 0
.LBB12_2169:
	s_delay_alu instid0(SALU_CYCLE_1)
	s_and_not1_b32 vcc_lo, exec_lo, s0
	s_cbranch_vccnz .LBB12_2175
; %bb.2170:
	s_cmp_gt_i32 s51, 0
	s_mov_b32 s0, 0
	s_cbranch_scc0 .LBB12_2172
; %bb.2171:
	global_load_i8 v2, v[0:1], off
	s_wait_loadcnt 0x0
	v_cvt_f64_i32_e32 v[46:47], v2
	s_branch .LBB12_2173
.LBB12_2172:
	s_mov_b32 s0, -1
                                        ; implicit-def: $vgpr46_vgpr47
.LBB12_2173:
	s_delay_alu instid0(SALU_CYCLE_1)
	s_and_not1_b32 vcc_lo, exec_lo, s0
	s_cbranch_vccnz .LBB12_2175
; %bb.2174:
	global_load_u8 v0, v[0:1], off
	s_wait_loadcnt 0x0
	v_cvt_f64_u32_e32 v[46:47], v0
.LBB12_2175:
	s_mov_b32 s2, -1
.LBB12_2176:
	s_delay_alu instid0(SALU_CYCLE_1)
	s_and_not1_b32 vcc_lo, exec_lo, s2
	s_cbranch_vccnz .LBB12_2715
; %bb.2177:
	s_and_b32 vcc_lo, exec_lo, s49
	s_cbranch_vccz .LBB12_2179
; %bb.2178:
	s_wait_loadcnt 0x0
	s_delay_alu instid0(VALU_DEP_3) | instskip(NEXT) | instid1(VALU_DEP_2)
	v_dual_mov_b32 v0, v44 :: v_dual_mov_b32 v1, v45
	v_dual_mov_b32 v2, v46 :: v_dual_mov_b32 v3, v47
	s_get_pc_i64 s[0:1]
	s_add_nc_u64 s[0:1], s[0:1], _ZN12_GLOBAL__N_111calc_igammaIdEET_S1_S1_@rel64+4
	s_delay_alu instid0(SALU_CYCLE_1)
	s_swap_pc_i64 s[30:31], s[0:1]
	v_dual_mov_b32 v56, v0 :: v_dual_mov_b32 v57, v1
	s_mov_b32 s0, 0
	s_branch .LBB12_2180
.LBB12_2179:
	s_mov_b32 s0, -1
                                        ; implicit-def: $vgpr56_vgpr57
.LBB12_2180:
	s_delay_alu instid0(SALU_CYCLE_1)
	s_and_not1_b32 vcc_lo, exec_lo, s0
	s_cbranch_vccnz .LBB12_2182
; %bb.2181:
	s_wait_loadcnt 0x0
	s_delay_alu instid0(VALU_DEP_3) | instskip(NEXT) | instid1(VALU_DEP_2)
	v_dual_mov_b32 v0, v44 :: v_dual_mov_b32 v1, v45
	v_dual_mov_b32 v2, v46 :: v_dual_mov_b32 v3, v47
	s_get_pc_i64 s[0:1]
	s_add_nc_u64 s[0:1], s[0:1], _ZN12_GLOBAL__N_112calc_igammacIdEET_S1_S1_@rel64+4
	s_delay_alu instid0(SALU_CYCLE_1)
	s_swap_pc_i64 s[30:31], s[0:1]
	v_dual_mov_b32 v56, v0 :: v_dual_mov_b32 v57, v1
.LBB12_2182:
	v_mov_b32_e32 v89, 0
	s_cmp_lt_i32 s50, 11
	s_wait_xcnt 0x0
	s_delay_alu instid0(VALU_DEP_1)
	v_add_nc_u64_e32 v[0:1], s[38:39], v[88:89]
	s_cbranch_scc1 .LBB12_2189
; %bb.2183:
	s_cmp_gt_i32 s50, 25
	s_mov_b32 s1, 0
	s_cbranch_scc0 .LBB12_2190
; %bb.2184:
	s_cmp_gt_i32 s50, 28
	s_cbranch_scc0 .LBB12_2191
; %bb.2185:
	s_cmp_gt_i32 s50, 43
	;; [unrolled: 3-line block ×3, first 2 shown]
	s_cbranch_scc0 .LBB12_2194
; %bb.2187:
	s_cmp_eq_u32 s50, 46
	s_mov_b32 s3, 0
	s_cbranch_scc0 .LBB12_2195
; %bb.2188:
	global_load_b32 v2, v[0:1], off
	s_mov_b32 s0, 0
	s_mov_b32 s2, -1
	s_wait_loadcnt 0x0
	v_lshlrev_b32_e32 v2, 16, v2
	s_delay_alu instid0(VALU_DEP_1)
	v_cvt_f64_f32_e32 v[44:45], v2
	s_branch .LBB12_2197
.LBB12_2189:
	s_mov_b32 s0, -1
	s_mov_b32 s2, 0
                                        ; implicit-def: $vgpr44_vgpr45
	s_branch .LBB12_2263
.LBB12_2190:
	s_mov_b32 s3, -1
	s_mov_b32 s2, 0
	s_mov_b32 s0, 0
                                        ; implicit-def: $vgpr44_vgpr45
	s_branch .LBB12_2226
.LBB12_2191:
	s_mov_b32 s3, -1
	s_mov_b32 s2, 0
	s_mov_b32 s0, 0
                                        ; implicit-def: $vgpr44_vgpr45
	s_branch .LBB12_2207
.LBB12_2192:
	s_mov_b32 s3, -1
	s_mov_b32 s2, 0
	s_mov_b32 s0, 0
                                        ; implicit-def: $vgpr44_vgpr45
	s_branch .LBB12_2202
.LBB12_2193:
	s_or_b32 s48, s48, exec_lo
	s_trap 2
	s_cbranch_execz .LBB12_2125
	s_branch .LBB12_2126
.LBB12_2194:
	s_mov_b32 s3, -1
	s_mov_b32 s2, 0
	s_mov_b32 s0, 0
	s_branch .LBB12_2196
.LBB12_2195:
	s_mov_b32 s0, -1
	s_mov_b32 s2, 0
.LBB12_2196:
                                        ; implicit-def: $vgpr44_vgpr45
.LBB12_2197:
	s_and_b32 vcc_lo, exec_lo, s3
	s_cbranch_vccz .LBB12_2201
; %bb.2198:
	s_cmp_eq_u32 s50, 44
	s_cbranch_scc0 .LBB12_2200
; %bb.2199:
	global_load_u8 v4, v[0:1], off
	s_mov_b32 s0, 0
	s_mov_b32 s2, -1
	s_wait_loadcnt 0x0
	v_cmp_ne_u32_e32 vcc_lo, 0xff, v4
	v_lshlrev_b32_e32 v2, 23, v4
	s_delay_alu instid0(VALU_DEP_1) | instskip(NEXT) | instid1(VALU_DEP_1)
	v_cvt_f64_f32_e32 v[2:3], v2
	v_cndmask_b32_e32 v2, 0x20000000, v2, vcc_lo
	s_delay_alu instid0(VALU_DEP_2) | instskip(SKIP_1) | instid1(VALU_DEP_2)
	v_cndmask_b32_e32 v3, 0x7ff80000, v3, vcc_lo
	v_cmp_ne_u32_e32 vcc_lo, 0, v4
	v_cndmask_b32_e32 v45, 0x38000000, v3, vcc_lo
	s_delay_alu instid0(VALU_DEP_4)
	v_cndmask_b32_e32 v44, 0, v2, vcc_lo
	s_branch .LBB12_2201
.LBB12_2200:
	s_mov_b32 s0, -1
                                        ; implicit-def: $vgpr44_vgpr45
.LBB12_2201:
	s_mov_b32 s3, 0
.LBB12_2202:
	s_delay_alu instid0(SALU_CYCLE_1)
	s_and_b32 vcc_lo, exec_lo, s3
	s_cbranch_vccz .LBB12_2206
; %bb.2203:
	s_cmp_eq_u32 s50, 29
	s_cbranch_scc0 .LBB12_2205
; %bb.2204:
	global_load_b64 v[2:3], v[0:1], off
	s_mov_b32 s0, 0
	s_mov_b32 s2, -1
	s_mov_b32 s3, 0
	s_wait_loadcnt 0x0
	v_cvt_f64_u32_e32 v[4:5], v3
	v_cvt_f64_u32_e32 v[2:3], v2
	s_delay_alu instid0(VALU_DEP_2) | instskip(NEXT) | instid1(VALU_DEP_1)
	v_ldexp_f64 v[4:5], v[4:5], 32
	v_add_f64_e32 v[44:45], v[4:5], v[2:3]
	s_branch .LBB12_2207
.LBB12_2205:
	s_mov_b32 s0, -1
                                        ; implicit-def: $vgpr44_vgpr45
.LBB12_2206:
	s_mov_b32 s3, 0
.LBB12_2207:
	s_delay_alu instid0(SALU_CYCLE_1)
	s_and_b32 vcc_lo, exec_lo, s3
	s_cbranch_vccz .LBB12_2225
; %bb.2208:
	s_cmp_lt_i32 s50, 27
	s_cbranch_scc1 .LBB12_2211
; %bb.2209:
	s_cmp_gt_i32 s50, 27
	s_cbranch_scc0 .LBB12_2212
; %bb.2210:
	global_load_b32 v2, v[0:1], off
	s_mov_b32 s2, 0
	s_wait_loadcnt 0x0
	v_cvt_f64_u32_e32 v[44:45], v2
	s_branch .LBB12_2213
.LBB12_2211:
	s_mov_b32 s2, -1
                                        ; implicit-def: $vgpr44_vgpr45
	s_branch .LBB12_2216
.LBB12_2212:
	s_mov_b32 s2, -1
                                        ; implicit-def: $vgpr44_vgpr45
.LBB12_2213:
	s_delay_alu instid0(SALU_CYCLE_1)
	s_and_not1_b32 vcc_lo, exec_lo, s2
	s_cbranch_vccnz .LBB12_2215
; %bb.2214:
	global_load_u16 v2, v[0:1], off
	s_wait_loadcnt 0x0
	v_cvt_f64_u32_e32 v[44:45], v2
.LBB12_2215:
	s_mov_b32 s2, 0
.LBB12_2216:
	s_delay_alu instid0(SALU_CYCLE_1)
	s_and_not1_b32 vcc_lo, exec_lo, s2
	s_cbranch_vccnz .LBB12_2224
; %bb.2217:
	global_load_u8 v2, v[0:1], off
	s_mov_b32 s2, 0
	s_mov_b32 s3, exec_lo
	s_wait_loadcnt 0x0
	v_cmpx_lt_i16_e32 0x7f, v2
	s_xor_b32 s3, exec_lo, s3
	s_cbranch_execz .LBB12_2238
; %bb.2218:
	s_mov_b32 s2, -1
	s_mov_b32 s4, exec_lo
	v_cmpx_eq_u16_e32 0x80, v2
; %bb.2219:
	s_xor_b32 s2, exec_lo, -1
; %bb.2220:
	s_or_b32 exec_lo, exec_lo, s4
	s_delay_alu instid0(SALU_CYCLE_1)
	s_and_b32 s2, s2, exec_lo
	s_or_saveexec_b32 s3, s3
	v_mov_b64_e32 v[44:45], 0x7ff8000020000000
	s_xor_b32 exec_lo, exec_lo, s3
	s_cbranch_execnz .LBB12_2239
.LBB12_2221:
	s_or_b32 exec_lo, exec_lo, s3
	s_and_saveexec_b32 s3, s2
	s_cbranch_execz .LBB12_2223
.LBB12_2222:
	v_and_b32_e32 v3, 0xffff, v2
	s_delay_alu instid0(VALU_DEP_1) | instskip(SKIP_1) | instid1(VALU_DEP_2)
	v_and_b32_e32 v4, 7, v3
	v_bfe_u32 v7, v3, 3, 4
	v_clz_i32_u32_e32 v5, v4
	s_delay_alu instid0(VALU_DEP_2) | instskip(NEXT) | instid1(VALU_DEP_2)
	v_cmp_eq_u32_e32 vcc_lo, 0, v7
	v_min_u32_e32 v5, 32, v5
	s_delay_alu instid0(VALU_DEP_1) | instskip(NEXT) | instid1(VALU_DEP_1)
	v_subrev_nc_u32_e32 v6, 28, v5
	v_dual_lshlrev_b32 v3, v6, v3 :: v_dual_sub_nc_u32 v5, 29, v5
	s_delay_alu instid0(VALU_DEP_1) | instskip(NEXT) | instid1(VALU_DEP_1)
	v_dual_lshlrev_b32 v2, 24, v2 :: v_dual_bitop2_b32 v3, 7, v3 bitop3:0x40
	v_dual_cndmask_b32 v5, v7, v5, vcc_lo :: v_dual_cndmask_b32 v3, v4, v3, vcc_lo
	s_delay_alu instid0(VALU_DEP_2) | instskip(NEXT) | instid1(VALU_DEP_2)
	v_and_b32_e32 v2, 0x80000000, v2
	v_lshl_add_u32 v4, v5, 23, 0x3b800000
	s_delay_alu instid0(VALU_DEP_3) | instskip(NEXT) | instid1(VALU_DEP_1)
	v_lshlrev_b32_e32 v3, 20, v3
	v_or3_b32 v2, v2, v4, v3
	s_delay_alu instid0(VALU_DEP_1)
	v_cvt_f64_f32_e32 v[44:45], v2
.LBB12_2223:
	s_or_b32 exec_lo, exec_lo, s3
.LBB12_2224:
	s_mov_b32 s2, -1
.LBB12_2225:
	s_mov_b32 s3, 0
.LBB12_2226:
	s_delay_alu instid0(SALU_CYCLE_1)
	s_and_b32 vcc_lo, exec_lo, s3
	s_cbranch_vccz .LBB12_2259
; %bb.2227:
	s_cmp_gt_i32 s50, 22
	s_cbranch_scc0 .LBB12_2237
; %bb.2228:
	s_cmp_lt_i32 s50, 24
	s_cbranch_scc1 .LBB12_2240
; %bb.2229:
	s_cmp_gt_i32 s50, 24
	s_cbranch_scc0 .LBB12_2241
; %bb.2230:
	global_load_u8 v2, v[0:1], off
	s_mov_b32 s2, exec_lo
	s_wait_loadcnt 0x0
	v_cmpx_lt_i16_e32 0x7f, v2
	s_xor_b32 s2, exec_lo, s2
	s_cbranch_execz .LBB12_2253
; %bb.2231:
	s_mov_b32 s1, -1
	s_mov_b32 s3, exec_lo
	v_cmpx_eq_u16_e32 0x80, v2
; %bb.2232:
	s_xor_b32 s1, exec_lo, -1
; %bb.2233:
	s_or_b32 exec_lo, exec_lo, s3
	s_delay_alu instid0(SALU_CYCLE_1)
	s_and_b32 s1, s1, exec_lo
	s_or_saveexec_b32 s2, s2
	v_mov_b64_e32 v[44:45], 0x7ff8000020000000
	s_xor_b32 exec_lo, exec_lo, s2
	s_cbranch_execnz .LBB12_2254
.LBB12_2234:
	s_or_b32 exec_lo, exec_lo, s2
	s_and_saveexec_b32 s2, s1
	s_cbranch_execz .LBB12_2236
.LBB12_2235:
	v_and_b32_e32 v3, 0xffff, v2
	s_delay_alu instid0(VALU_DEP_1) | instskip(SKIP_1) | instid1(VALU_DEP_2)
	v_and_b32_e32 v4, 3, v3
	v_bfe_u32 v7, v3, 2, 5
	v_clz_i32_u32_e32 v5, v4
	s_delay_alu instid0(VALU_DEP_2) | instskip(NEXT) | instid1(VALU_DEP_2)
	v_cmp_eq_u32_e32 vcc_lo, 0, v7
	v_min_u32_e32 v5, 32, v5
	s_delay_alu instid0(VALU_DEP_1) | instskip(NEXT) | instid1(VALU_DEP_1)
	v_subrev_nc_u32_e32 v6, 29, v5
	v_dual_lshlrev_b32 v3, v6, v3 :: v_dual_sub_nc_u32 v5, 30, v5
	s_delay_alu instid0(VALU_DEP_1) | instskip(NEXT) | instid1(VALU_DEP_1)
	v_dual_lshlrev_b32 v2, 24, v2 :: v_dual_bitop2_b32 v3, 3, v3 bitop3:0x40
	v_dual_cndmask_b32 v5, v7, v5, vcc_lo :: v_dual_cndmask_b32 v3, v4, v3, vcc_lo
	s_delay_alu instid0(VALU_DEP_2) | instskip(NEXT) | instid1(VALU_DEP_2)
	v_and_b32_e32 v2, 0x80000000, v2
	v_lshl_add_u32 v4, v5, 23, 0x37800000
	s_delay_alu instid0(VALU_DEP_3) | instskip(NEXT) | instid1(VALU_DEP_1)
	v_lshlrev_b32_e32 v3, 21, v3
	v_or3_b32 v2, v2, v4, v3
	s_delay_alu instid0(VALU_DEP_1)
	v_cvt_f64_f32_e32 v[44:45], v2
.LBB12_2236:
	s_or_b32 exec_lo, exec_lo, s2
	s_mov_b32 s1, 0
	s_branch .LBB12_2242
.LBB12_2237:
	s_mov_b32 s1, -1
                                        ; implicit-def: $vgpr44_vgpr45
	s_branch .LBB12_2248
.LBB12_2238:
	s_or_saveexec_b32 s3, s3
	v_mov_b64_e32 v[44:45], 0x7ff8000020000000
	s_xor_b32 exec_lo, exec_lo, s3
	s_cbranch_execz .LBB12_2221
.LBB12_2239:
	v_cmp_ne_u16_e32 vcc_lo, 0, v2
	v_mov_b64_e32 v[44:45], 0
	s_and_not1_b32 s2, s2, exec_lo
	s_and_b32 s4, vcc_lo, exec_lo
	s_delay_alu instid0(SALU_CYCLE_1)
	s_or_b32 s2, s2, s4
	s_or_b32 exec_lo, exec_lo, s3
	s_and_saveexec_b32 s3, s2
	s_cbranch_execnz .LBB12_2222
	s_branch .LBB12_2223
.LBB12_2240:
	s_mov_b32 s1, -1
                                        ; implicit-def: $vgpr44_vgpr45
	s_branch .LBB12_2245
.LBB12_2241:
	s_mov_b32 s1, -1
                                        ; implicit-def: $vgpr44_vgpr45
.LBB12_2242:
	s_delay_alu instid0(SALU_CYCLE_1)
	s_and_b32 vcc_lo, exec_lo, s1
	s_cbranch_vccz .LBB12_2244
; %bb.2243:
	global_load_u8 v2, v[0:1], off
	s_wait_loadcnt 0x0
	v_lshlrev_b32_e32 v2, 24, v2
	s_delay_alu instid0(VALU_DEP_1) | instskip(NEXT) | instid1(VALU_DEP_1)
	v_and_b32_e32 v3, 0x7f000000, v2
	v_clz_i32_u32_e32 v4, v3
	v_cmp_ne_u32_e32 vcc_lo, 0, v3
	v_add_nc_u32_e32 v6, 0x1000000, v3
	s_delay_alu instid0(VALU_DEP_3) | instskip(NEXT) | instid1(VALU_DEP_1)
	v_min_u32_e32 v4, 32, v4
	v_sub_nc_u32_e64 v4, v4, 4 clamp
	s_delay_alu instid0(VALU_DEP_1) | instskip(NEXT) | instid1(VALU_DEP_1)
	v_dual_lshlrev_b32 v5, v4, v3 :: v_dual_lshlrev_b32 v4, 23, v4
	v_lshrrev_b32_e32 v5, 4, v5
	s_delay_alu instid0(VALU_DEP_1) | instskip(NEXT) | instid1(VALU_DEP_1)
	v_dual_sub_nc_u32 v4, v5, v4 :: v_dual_ashrrev_i32 v5, 8, v6
	v_add_nc_u32_e32 v4, 0x3c000000, v4
	s_delay_alu instid0(VALU_DEP_1) | instskip(NEXT) | instid1(VALU_DEP_1)
	v_and_or_b32 v4, 0x7f800000, v5, v4
	v_cndmask_b32_e32 v3, 0, v4, vcc_lo
	s_delay_alu instid0(VALU_DEP_1) | instskip(NEXT) | instid1(VALU_DEP_1)
	v_and_or_b32 v2, 0x80000000, v2, v3
	v_cvt_f64_f32_e32 v[44:45], v2
.LBB12_2244:
	s_mov_b32 s1, 0
.LBB12_2245:
	s_delay_alu instid0(SALU_CYCLE_1)
	s_and_not1_b32 vcc_lo, exec_lo, s1
	s_cbranch_vccnz .LBB12_2247
; %bb.2246:
	global_load_u8 v2, v[0:1], off
	s_wait_loadcnt 0x0
	v_lshlrev_b32_e32 v3, 25, v2
	v_lshlrev_b16 v2, 8, v2
	s_delay_alu instid0(VALU_DEP_1) | instskip(SKIP_1) | instid1(VALU_DEP_2)
	v_and_or_b32 v5, 0x7f00, v2, 0.5
	v_bfe_i32 v2, v2, 0, 16
	v_dual_add_f32 v5, -0.5, v5 :: v_dual_lshrrev_b32 v4, 4, v3
	v_cmp_gt_u32_e32 vcc_lo, 0x8000000, v3
	s_delay_alu instid0(VALU_DEP_2) | instskip(NEXT) | instid1(VALU_DEP_1)
	v_or_b32_e32 v4, 0x70000000, v4
	v_mul_f32_e32 v4, 0x7800000, v4
	s_delay_alu instid0(VALU_DEP_1) | instskip(NEXT) | instid1(VALU_DEP_1)
	v_cndmask_b32_e32 v3, v4, v5, vcc_lo
	v_and_or_b32 v2, 0x80000000, v2, v3
	s_delay_alu instid0(VALU_DEP_1)
	v_cvt_f64_f32_e32 v[44:45], v2
.LBB12_2247:
	s_mov_b32 s1, 0
	s_mov_b32 s2, -1
.LBB12_2248:
	s_and_not1_b32 vcc_lo, exec_lo, s1
	s_mov_b32 s1, 0
	s_cbranch_vccnz .LBB12_2259
; %bb.2249:
	s_cmp_gt_i32 s50, 14
	s_cbranch_scc0 .LBB12_2252
; %bb.2250:
	s_cmp_eq_u32 s50, 15
	s_cbranch_scc0 .LBB12_2255
; %bb.2251:
	global_load_u16 v2, v[0:1], off
	s_mov_b32 s0, 0
	s_mov_b32 s2, -1
	s_wait_loadcnt 0x0
	v_lshlrev_b32_e32 v2, 16, v2
	s_delay_alu instid0(VALU_DEP_1)
	v_cvt_f64_f32_e32 v[44:45], v2
	s_branch .LBB12_2257
.LBB12_2252:
	s_mov_b32 s1, -1
	s_branch .LBB12_2256
.LBB12_2253:
	s_or_saveexec_b32 s2, s2
	v_mov_b64_e32 v[44:45], 0x7ff8000020000000
	s_xor_b32 exec_lo, exec_lo, s2
	s_cbranch_execz .LBB12_2234
.LBB12_2254:
	v_cmp_ne_u16_e32 vcc_lo, 0, v2
	v_mov_b64_e32 v[44:45], 0
	s_and_not1_b32 s1, s1, exec_lo
	s_and_b32 s3, vcc_lo, exec_lo
	s_delay_alu instid0(SALU_CYCLE_1)
	s_or_b32 s1, s1, s3
	s_or_b32 exec_lo, exec_lo, s2
	s_and_saveexec_b32 s2, s1
	s_cbranch_execnz .LBB12_2235
	s_branch .LBB12_2236
.LBB12_2255:
	s_mov_b32 s0, -1
.LBB12_2256:
                                        ; implicit-def: $vgpr44_vgpr45
.LBB12_2257:
	s_and_b32 vcc_lo, exec_lo, s1
	s_mov_b32 s1, 0
	s_cbranch_vccz .LBB12_2259
; %bb.2258:
	s_cmp_lg_u32 s50, 11
	s_mov_b32 s1, -1
	s_cselect_b32 s0, -1, 0
.LBB12_2259:
	s_delay_alu instid0(SALU_CYCLE_1)
	s_and_b32 vcc_lo, exec_lo, s0
	s_cbranch_vccnz .LBB12_2324
; %bb.2260:
	s_and_not1_b32 vcc_lo, exec_lo, s1
	s_cbranch_vccnz .LBB12_2262
.LBB12_2261:
	global_load_u8 v2, v[0:1], off
	s_wait_loadcnt 0x1
	v_mov_b32_e32 v44, 0
	s_mov_b32 s2, -1
	s_wait_loadcnt 0x0
	v_cmp_ne_u16_e32 vcc_lo, 0, v2
	v_cndmask_b32_e64 v45, 0, 0x3ff00000, vcc_lo
.LBB12_2262:
	s_mov_b32 s0, 0
.LBB12_2263:
	s_delay_alu instid0(SALU_CYCLE_1)
	s_and_b32 vcc_lo, exec_lo, s0
	s_cbranch_vccz .LBB12_2312
; %bb.2264:
	s_cmp_lt_i32 s50, 5
	s_cbranch_scc1 .LBB12_2269
; %bb.2265:
	s_cmp_lt_i32 s50, 8
	s_cbranch_scc1 .LBB12_2270
	;; [unrolled: 3-line block ×3, first 2 shown]
; %bb.2267:
	s_cmp_gt_i32 s50, 9
	s_cbranch_scc0 .LBB12_2272
; %bb.2268:
	s_wait_loadcnt 0x0
	global_load_b64 v[44:45], v[0:1], off
	s_mov_b32 s0, 0
	s_branch .LBB12_2273
.LBB12_2269:
	s_mov_b32 s0, -1
                                        ; implicit-def: $vgpr44_vgpr45
	s_branch .LBB12_2291
.LBB12_2270:
	s_mov_b32 s0, -1
                                        ; implicit-def: $vgpr44_vgpr45
	s_branch .LBB12_2279
.LBB12_2271:
	s_mov_b32 s0, -1
                                        ; implicit-def: $vgpr44_vgpr45
	s_branch .LBB12_2276
.LBB12_2272:
	s_mov_b32 s0, -1
                                        ; implicit-def: $vgpr44_vgpr45
.LBB12_2273:
	s_delay_alu instid0(SALU_CYCLE_1)
	s_and_not1_b32 vcc_lo, exec_lo, s0
	s_cbranch_vccnz .LBB12_2275
; %bb.2274:
	global_load_b32 v2, v[0:1], off
	s_wait_loadcnt 0x0
	v_cvt_f64_f32_e32 v[44:45], v2
.LBB12_2275:
	s_mov_b32 s0, 0
.LBB12_2276:
	s_delay_alu instid0(SALU_CYCLE_1)
	s_and_not1_b32 vcc_lo, exec_lo, s0
	s_cbranch_vccnz .LBB12_2278
; %bb.2277:
	global_load_b32 v2, v[0:1], off
	s_wait_loadcnt 0x0
	v_cvt_f32_f16_e32 v2, v2
	s_delay_alu instid0(VALU_DEP_1)
	v_cvt_f64_f32_e32 v[44:45], v2
.LBB12_2278:
	s_mov_b32 s0, 0
.LBB12_2279:
	s_delay_alu instid0(SALU_CYCLE_1)
	s_and_not1_b32 vcc_lo, exec_lo, s0
	s_cbranch_vccnz .LBB12_2290
; %bb.2280:
	s_cmp_lt_i32 s50, 6
	s_cbranch_scc1 .LBB12_2283
; %bb.2281:
	s_cmp_gt_i32 s50, 6
	s_cbranch_scc0 .LBB12_2284
; %bb.2282:
	s_wait_loadcnt 0x0
	global_load_b64 v[44:45], v[0:1], off
	s_mov_b32 s0, 0
	s_branch .LBB12_2285
.LBB12_2283:
	s_mov_b32 s0, -1
                                        ; implicit-def: $vgpr44_vgpr45
	s_branch .LBB12_2288
.LBB12_2284:
	s_mov_b32 s0, -1
                                        ; implicit-def: $vgpr44_vgpr45
.LBB12_2285:
	s_delay_alu instid0(SALU_CYCLE_1)
	s_and_not1_b32 vcc_lo, exec_lo, s0
	s_cbranch_vccnz .LBB12_2287
; %bb.2286:
	global_load_b32 v2, v[0:1], off
	s_wait_loadcnt 0x0
	v_cvt_f64_f32_e32 v[44:45], v2
.LBB12_2287:
	s_mov_b32 s0, 0
.LBB12_2288:
	s_delay_alu instid0(SALU_CYCLE_1)
	s_and_not1_b32 vcc_lo, exec_lo, s0
	s_cbranch_vccnz .LBB12_2290
; %bb.2289:
	global_load_u16 v2, v[0:1], off
	s_wait_loadcnt 0x0
	v_cvt_f32_f16_e32 v2, v2
	s_delay_alu instid0(VALU_DEP_1)
	v_cvt_f64_f32_e32 v[44:45], v2
.LBB12_2290:
	s_mov_b32 s0, 0
.LBB12_2291:
	s_delay_alu instid0(SALU_CYCLE_1)
	s_and_not1_b32 vcc_lo, exec_lo, s0
	s_cbranch_vccnz .LBB12_2311
; %bb.2292:
	s_cmp_lt_i32 s50, 2
	s_cbranch_scc1 .LBB12_2296
; %bb.2293:
	s_cmp_lt_i32 s50, 3
	s_cbranch_scc1 .LBB12_2297
; %bb.2294:
	s_cmp_gt_i32 s50, 3
	s_cbranch_scc0 .LBB12_2298
; %bb.2295:
	global_load_b64 v[2:3], v[0:1], off
	s_mov_b32 s0, 0
	s_wait_loadcnt 0x0
	v_cvt_f64_i32_e32 v[4:5], v3
	v_cvt_f64_u32_e32 v[2:3], v2
	s_delay_alu instid0(VALU_DEP_2) | instskip(NEXT) | instid1(VALU_DEP_1)
	v_ldexp_f64 v[4:5], v[4:5], 32
	v_add_f64_e32 v[44:45], v[4:5], v[2:3]
	s_branch .LBB12_2299
.LBB12_2296:
	s_mov_b32 s0, -1
                                        ; implicit-def: $vgpr44_vgpr45
	s_branch .LBB12_2305
.LBB12_2297:
	s_mov_b32 s0, -1
                                        ; implicit-def: $vgpr44_vgpr45
	s_branch .LBB12_2302
.LBB12_2298:
	s_mov_b32 s0, -1
                                        ; implicit-def: $vgpr44_vgpr45
.LBB12_2299:
	s_delay_alu instid0(SALU_CYCLE_1)
	s_and_not1_b32 vcc_lo, exec_lo, s0
	s_cbranch_vccnz .LBB12_2301
; %bb.2300:
	global_load_b32 v2, v[0:1], off
	s_wait_loadcnt 0x0
	v_cvt_f64_i32_e32 v[44:45], v2
.LBB12_2301:
	s_mov_b32 s0, 0
.LBB12_2302:
	s_delay_alu instid0(SALU_CYCLE_1)
	s_and_not1_b32 vcc_lo, exec_lo, s0
	s_cbranch_vccnz .LBB12_2304
; %bb.2303:
	global_load_i16 v2, v[0:1], off
	s_wait_loadcnt 0x0
	v_cvt_f64_i32_e32 v[44:45], v2
.LBB12_2304:
	s_mov_b32 s0, 0
.LBB12_2305:
	s_delay_alu instid0(SALU_CYCLE_1)
	s_and_not1_b32 vcc_lo, exec_lo, s0
	s_cbranch_vccnz .LBB12_2311
; %bb.2306:
	s_cmp_gt_i32 s50, 0
	s_mov_b32 s0, 0
	s_cbranch_scc0 .LBB12_2308
; %bb.2307:
	global_load_i8 v2, v[0:1], off
	s_wait_loadcnt 0x0
	v_cvt_f64_i32_e32 v[44:45], v2
	s_branch .LBB12_2309
.LBB12_2308:
	s_mov_b32 s0, -1
                                        ; implicit-def: $vgpr44_vgpr45
.LBB12_2309:
	s_delay_alu instid0(SALU_CYCLE_1)
	s_and_not1_b32 vcc_lo, exec_lo, s0
	s_cbranch_vccnz .LBB12_2311
; %bb.2310:
	global_load_u8 v0, v[0:1], off
	s_wait_loadcnt 0x0
	v_cvt_f64_u32_e32 v[44:45], v0
.LBB12_2311:
	s_mov_b32 s2, -1
.LBB12_2312:
	s_delay_alu instid0(SALU_CYCLE_1)
	s_and_not1_b32 vcc_lo, exec_lo, s2
	s_cbranch_vccnz .LBB12_2715
; %bb.2313:
	v_mov_b32_e32 v61, 0
	s_cmp_lt_i32 s51, 11
	s_wait_xcnt 0x0
	s_delay_alu instid0(VALU_DEP_1)
	v_add_nc_u64_e32 v[0:1], s[44:45], v[60:61]
	s_cbranch_scc1 .LBB12_2320
; %bb.2314:
	s_cmp_gt_i32 s51, 25
	s_mov_b32 s1, 0
	s_cbranch_scc0 .LBB12_2321
; %bb.2315:
	s_cmp_gt_i32 s51, 28
	s_cbranch_scc0 .LBB12_2322
; %bb.2316:
	s_cmp_gt_i32 s51, 43
	;; [unrolled: 3-line block ×3, first 2 shown]
	s_cbranch_scc0 .LBB12_2325
; %bb.2318:
	s_cmp_eq_u32 s51, 46
	s_mov_b32 s3, 0
	s_cbranch_scc0 .LBB12_2328
; %bb.2319:
	global_load_b32 v2, v[0:1], off
	s_mov_b32 s0, 0
	s_mov_b32 s2, -1
	s_wait_loadcnt 0x0
	v_lshlrev_b32_e32 v2, 16, v2
	s_delay_alu instid0(VALU_DEP_1)
	v_cvt_f64_f32_e32 v[46:47], v2
	s_branch .LBB12_2330
.LBB12_2320:
	s_mov_b32 s0, -1
	s_mov_b32 s2, 0
                                        ; implicit-def: $vgpr46_vgpr47
	s_branch .LBB12_2396
.LBB12_2321:
	s_mov_b32 s3, -1
	s_mov_b32 s2, 0
	s_mov_b32 s0, 0
                                        ; implicit-def: $vgpr46_vgpr47
	s_branch .LBB12_2359
.LBB12_2322:
	s_mov_b32 s3, -1
	s_mov_b32 s2, 0
	s_mov_b32 s0, 0
                                        ; implicit-def: $vgpr46_vgpr47
	s_branch .LBB12_2340
.LBB12_2323:
	s_mov_b32 s3, -1
	s_mov_b32 s2, 0
	s_mov_b32 s0, 0
                                        ; implicit-def: $vgpr46_vgpr47
	s_branch .LBB12_2335
.LBB12_2324:
	s_or_b32 s48, s48, exec_lo
	s_trap 2
	s_cbranch_execz .LBB12_2261
	s_branch .LBB12_2262
.LBB12_2325:
	s_mov_b32 s3, -1
	s_mov_b32 s2, 0
	s_mov_b32 s0, 0
	s_branch .LBB12_2329
.LBB12_2326:
	s_and_not1_saveexec_b32 s5, s5
	s_cbranch_execz .LBB12_1136
.LBB12_2327:
	v_add_f32_e64 v3, 0x42800000, |v2|
	s_and_not1_b32 s4, s4, exec_lo
	s_delay_alu instid0(VALU_DEP_1) | instskip(NEXT) | instid1(VALU_DEP_1)
	v_and_b32_e32 v3, 0xff, v3
	v_cmp_ne_u32_e32 vcc_lo, 0, v3
	s_and_b32 s6, vcc_lo, exec_lo
	s_delay_alu instid0(SALU_CYCLE_1)
	s_or_b32 s4, s4, s6
	s_or_b32 exec_lo, exec_lo, s5
	v_mov_b32_e32 v6, 0
	s_and_saveexec_b32 s5, s4
	s_cbranch_execnz .LBB12_1137
	s_branch .LBB12_1138
.LBB12_2328:
	s_mov_b32 s0, -1
	s_mov_b32 s2, 0
.LBB12_2329:
                                        ; implicit-def: $vgpr46_vgpr47
.LBB12_2330:
	s_and_b32 vcc_lo, exec_lo, s3
	s_cbranch_vccz .LBB12_2334
; %bb.2331:
	s_cmp_eq_u32 s51, 44
	s_cbranch_scc0 .LBB12_2333
; %bb.2332:
	global_load_u8 v4, v[0:1], off
	s_mov_b32 s0, 0
	s_mov_b32 s2, -1
	s_wait_loadcnt 0x0
	v_cmp_ne_u32_e32 vcc_lo, 0xff, v4
	v_lshlrev_b32_e32 v2, 23, v4
	s_delay_alu instid0(VALU_DEP_1) | instskip(NEXT) | instid1(VALU_DEP_1)
	v_cvt_f64_f32_e32 v[2:3], v2
	v_cndmask_b32_e32 v2, 0x20000000, v2, vcc_lo
	s_delay_alu instid0(VALU_DEP_2) | instskip(SKIP_1) | instid1(VALU_DEP_2)
	v_cndmask_b32_e32 v3, 0x7ff80000, v3, vcc_lo
	v_cmp_ne_u32_e32 vcc_lo, 0, v4
	v_cndmask_b32_e32 v47, 0x38000000, v3, vcc_lo
	s_delay_alu instid0(VALU_DEP_4)
	v_cndmask_b32_e32 v46, 0, v2, vcc_lo
	s_branch .LBB12_2334
.LBB12_2333:
	s_mov_b32 s0, -1
                                        ; implicit-def: $vgpr46_vgpr47
.LBB12_2334:
	s_mov_b32 s3, 0
.LBB12_2335:
	s_delay_alu instid0(SALU_CYCLE_1)
	s_and_b32 vcc_lo, exec_lo, s3
	s_cbranch_vccz .LBB12_2339
; %bb.2336:
	s_cmp_eq_u32 s51, 29
	s_cbranch_scc0 .LBB12_2338
; %bb.2337:
	global_load_b64 v[2:3], v[0:1], off
	s_mov_b32 s0, 0
	s_mov_b32 s2, -1
	s_mov_b32 s3, 0
	s_wait_loadcnt 0x0
	v_cvt_f64_u32_e32 v[4:5], v3
	v_cvt_f64_u32_e32 v[2:3], v2
	s_delay_alu instid0(VALU_DEP_2) | instskip(NEXT) | instid1(VALU_DEP_1)
	v_ldexp_f64 v[4:5], v[4:5], 32
	v_add_f64_e32 v[46:47], v[4:5], v[2:3]
	s_branch .LBB12_2340
.LBB12_2338:
	s_mov_b32 s0, -1
                                        ; implicit-def: $vgpr46_vgpr47
.LBB12_2339:
	s_mov_b32 s3, 0
.LBB12_2340:
	s_delay_alu instid0(SALU_CYCLE_1)
	s_and_b32 vcc_lo, exec_lo, s3
	s_cbranch_vccz .LBB12_2358
; %bb.2341:
	s_cmp_lt_i32 s51, 27
	s_cbranch_scc1 .LBB12_2344
; %bb.2342:
	s_cmp_gt_i32 s51, 27
	s_cbranch_scc0 .LBB12_2345
; %bb.2343:
	global_load_b32 v2, v[0:1], off
	s_mov_b32 s2, 0
	s_wait_loadcnt 0x0
	v_cvt_f64_u32_e32 v[46:47], v2
	s_branch .LBB12_2346
.LBB12_2344:
	s_mov_b32 s2, -1
                                        ; implicit-def: $vgpr46_vgpr47
	s_branch .LBB12_2349
.LBB12_2345:
	s_mov_b32 s2, -1
                                        ; implicit-def: $vgpr46_vgpr47
.LBB12_2346:
	s_delay_alu instid0(SALU_CYCLE_1)
	s_and_not1_b32 vcc_lo, exec_lo, s2
	s_cbranch_vccnz .LBB12_2348
; %bb.2347:
	global_load_u16 v2, v[0:1], off
	s_wait_loadcnt 0x0
	v_cvt_f64_u32_e32 v[46:47], v2
.LBB12_2348:
	s_mov_b32 s2, 0
.LBB12_2349:
	s_delay_alu instid0(SALU_CYCLE_1)
	s_and_not1_b32 vcc_lo, exec_lo, s2
	s_cbranch_vccnz .LBB12_2357
; %bb.2350:
	global_load_u8 v2, v[0:1], off
	s_mov_b32 s2, 0
	s_mov_b32 s3, exec_lo
	s_wait_loadcnt 0x0
	v_cmpx_lt_i16_e32 0x7f, v2
	s_xor_b32 s3, exec_lo, s3
	s_cbranch_execz .LBB12_2371
; %bb.2351:
	s_mov_b32 s2, -1
	s_mov_b32 s4, exec_lo
	v_cmpx_eq_u16_e32 0x80, v2
; %bb.2352:
	s_xor_b32 s2, exec_lo, -1
; %bb.2353:
	s_or_b32 exec_lo, exec_lo, s4
	s_delay_alu instid0(SALU_CYCLE_1)
	s_and_b32 s2, s2, exec_lo
	s_or_saveexec_b32 s3, s3
	v_mov_b64_e32 v[46:47], 0x7ff8000020000000
	s_xor_b32 exec_lo, exec_lo, s3
	s_cbranch_execnz .LBB12_2372
.LBB12_2354:
	s_or_b32 exec_lo, exec_lo, s3
	s_and_saveexec_b32 s3, s2
	s_cbranch_execz .LBB12_2356
.LBB12_2355:
	v_and_b32_e32 v3, 0xffff, v2
	s_delay_alu instid0(VALU_DEP_1) | instskip(SKIP_1) | instid1(VALU_DEP_2)
	v_and_b32_e32 v4, 7, v3
	v_bfe_u32 v7, v3, 3, 4
	v_clz_i32_u32_e32 v5, v4
	s_delay_alu instid0(VALU_DEP_2) | instskip(NEXT) | instid1(VALU_DEP_2)
	v_cmp_eq_u32_e32 vcc_lo, 0, v7
	v_min_u32_e32 v5, 32, v5
	s_delay_alu instid0(VALU_DEP_1) | instskip(NEXT) | instid1(VALU_DEP_1)
	v_subrev_nc_u32_e32 v6, 28, v5
	v_dual_lshlrev_b32 v3, v6, v3 :: v_dual_sub_nc_u32 v5, 29, v5
	s_delay_alu instid0(VALU_DEP_1) | instskip(NEXT) | instid1(VALU_DEP_1)
	v_dual_lshlrev_b32 v2, 24, v2 :: v_dual_bitop2_b32 v3, 7, v3 bitop3:0x40
	v_dual_cndmask_b32 v5, v7, v5, vcc_lo :: v_dual_cndmask_b32 v3, v4, v3, vcc_lo
	s_delay_alu instid0(VALU_DEP_2) | instskip(NEXT) | instid1(VALU_DEP_2)
	v_and_b32_e32 v2, 0x80000000, v2
	v_lshl_add_u32 v4, v5, 23, 0x3b800000
	s_delay_alu instid0(VALU_DEP_3) | instskip(NEXT) | instid1(VALU_DEP_1)
	v_lshlrev_b32_e32 v3, 20, v3
	v_or3_b32 v2, v2, v4, v3
	s_delay_alu instid0(VALU_DEP_1)
	v_cvt_f64_f32_e32 v[46:47], v2
.LBB12_2356:
	s_or_b32 exec_lo, exec_lo, s3
.LBB12_2357:
	s_mov_b32 s2, -1
.LBB12_2358:
	s_mov_b32 s3, 0
.LBB12_2359:
	s_delay_alu instid0(SALU_CYCLE_1)
	s_and_b32 vcc_lo, exec_lo, s3
	s_cbranch_vccz .LBB12_2392
; %bb.2360:
	s_cmp_gt_i32 s51, 22
	s_cbranch_scc0 .LBB12_2370
; %bb.2361:
	s_cmp_lt_i32 s51, 24
	s_cbranch_scc1 .LBB12_2373
; %bb.2362:
	s_cmp_gt_i32 s51, 24
	s_cbranch_scc0 .LBB12_2374
; %bb.2363:
	global_load_u8 v2, v[0:1], off
	s_mov_b32 s2, exec_lo
	s_wait_loadcnt 0x0
	v_cmpx_lt_i16_e32 0x7f, v2
	s_xor_b32 s2, exec_lo, s2
	s_cbranch_execz .LBB12_2386
; %bb.2364:
	s_mov_b32 s1, -1
	s_mov_b32 s3, exec_lo
	v_cmpx_eq_u16_e32 0x80, v2
; %bb.2365:
	s_xor_b32 s1, exec_lo, -1
; %bb.2366:
	s_or_b32 exec_lo, exec_lo, s3
	s_delay_alu instid0(SALU_CYCLE_1)
	s_and_b32 s1, s1, exec_lo
	s_or_saveexec_b32 s2, s2
	v_mov_b64_e32 v[46:47], 0x7ff8000020000000
	s_xor_b32 exec_lo, exec_lo, s2
	s_cbranch_execnz .LBB12_2387
.LBB12_2367:
	s_or_b32 exec_lo, exec_lo, s2
	s_and_saveexec_b32 s2, s1
	s_cbranch_execz .LBB12_2369
.LBB12_2368:
	v_and_b32_e32 v3, 0xffff, v2
	s_delay_alu instid0(VALU_DEP_1) | instskip(SKIP_1) | instid1(VALU_DEP_2)
	v_and_b32_e32 v4, 3, v3
	v_bfe_u32 v7, v3, 2, 5
	v_clz_i32_u32_e32 v5, v4
	s_delay_alu instid0(VALU_DEP_2) | instskip(NEXT) | instid1(VALU_DEP_2)
	v_cmp_eq_u32_e32 vcc_lo, 0, v7
	v_min_u32_e32 v5, 32, v5
	s_delay_alu instid0(VALU_DEP_1) | instskip(NEXT) | instid1(VALU_DEP_1)
	v_subrev_nc_u32_e32 v6, 29, v5
	v_dual_lshlrev_b32 v3, v6, v3 :: v_dual_sub_nc_u32 v5, 30, v5
	s_delay_alu instid0(VALU_DEP_1) | instskip(NEXT) | instid1(VALU_DEP_1)
	v_dual_lshlrev_b32 v2, 24, v2 :: v_dual_bitop2_b32 v3, 3, v3 bitop3:0x40
	v_dual_cndmask_b32 v5, v7, v5, vcc_lo :: v_dual_cndmask_b32 v3, v4, v3, vcc_lo
	s_delay_alu instid0(VALU_DEP_2) | instskip(NEXT) | instid1(VALU_DEP_2)
	v_and_b32_e32 v2, 0x80000000, v2
	v_lshl_add_u32 v4, v5, 23, 0x37800000
	s_delay_alu instid0(VALU_DEP_3) | instskip(NEXT) | instid1(VALU_DEP_1)
	v_lshlrev_b32_e32 v3, 21, v3
	v_or3_b32 v2, v2, v4, v3
	s_delay_alu instid0(VALU_DEP_1)
	v_cvt_f64_f32_e32 v[46:47], v2
.LBB12_2369:
	s_or_b32 exec_lo, exec_lo, s2
	s_mov_b32 s1, 0
	s_branch .LBB12_2375
.LBB12_2370:
	s_mov_b32 s1, -1
                                        ; implicit-def: $vgpr46_vgpr47
	s_branch .LBB12_2381
.LBB12_2371:
	s_or_saveexec_b32 s3, s3
	v_mov_b64_e32 v[46:47], 0x7ff8000020000000
	s_xor_b32 exec_lo, exec_lo, s3
	s_cbranch_execz .LBB12_2354
.LBB12_2372:
	v_cmp_ne_u16_e32 vcc_lo, 0, v2
	v_mov_b64_e32 v[46:47], 0
	s_and_not1_b32 s2, s2, exec_lo
	s_and_b32 s4, vcc_lo, exec_lo
	s_delay_alu instid0(SALU_CYCLE_1)
	s_or_b32 s2, s2, s4
	s_or_b32 exec_lo, exec_lo, s3
	s_and_saveexec_b32 s3, s2
	s_cbranch_execnz .LBB12_2355
	s_branch .LBB12_2356
.LBB12_2373:
	s_mov_b32 s1, -1
                                        ; implicit-def: $vgpr46_vgpr47
	s_branch .LBB12_2378
.LBB12_2374:
	s_mov_b32 s1, -1
                                        ; implicit-def: $vgpr46_vgpr47
.LBB12_2375:
	s_delay_alu instid0(SALU_CYCLE_1)
	s_and_b32 vcc_lo, exec_lo, s1
	s_cbranch_vccz .LBB12_2377
; %bb.2376:
	global_load_u8 v2, v[0:1], off
	s_wait_loadcnt 0x0
	v_lshlrev_b32_e32 v2, 24, v2
	s_delay_alu instid0(VALU_DEP_1) | instskip(NEXT) | instid1(VALU_DEP_1)
	v_and_b32_e32 v3, 0x7f000000, v2
	v_clz_i32_u32_e32 v4, v3
	v_cmp_ne_u32_e32 vcc_lo, 0, v3
	v_add_nc_u32_e32 v6, 0x1000000, v3
	s_delay_alu instid0(VALU_DEP_3) | instskip(NEXT) | instid1(VALU_DEP_1)
	v_min_u32_e32 v4, 32, v4
	v_sub_nc_u32_e64 v4, v4, 4 clamp
	s_delay_alu instid0(VALU_DEP_1) | instskip(NEXT) | instid1(VALU_DEP_1)
	v_dual_lshlrev_b32 v5, v4, v3 :: v_dual_lshlrev_b32 v4, 23, v4
	v_lshrrev_b32_e32 v5, 4, v5
	s_delay_alu instid0(VALU_DEP_1) | instskip(NEXT) | instid1(VALU_DEP_1)
	v_dual_sub_nc_u32 v4, v5, v4 :: v_dual_ashrrev_i32 v5, 8, v6
	v_add_nc_u32_e32 v4, 0x3c000000, v4
	s_delay_alu instid0(VALU_DEP_1) | instskip(NEXT) | instid1(VALU_DEP_1)
	v_and_or_b32 v4, 0x7f800000, v5, v4
	v_cndmask_b32_e32 v3, 0, v4, vcc_lo
	s_delay_alu instid0(VALU_DEP_1) | instskip(NEXT) | instid1(VALU_DEP_1)
	v_and_or_b32 v2, 0x80000000, v2, v3
	v_cvt_f64_f32_e32 v[46:47], v2
.LBB12_2377:
	s_mov_b32 s1, 0
.LBB12_2378:
	s_delay_alu instid0(SALU_CYCLE_1)
	s_and_not1_b32 vcc_lo, exec_lo, s1
	s_cbranch_vccnz .LBB12_2380
; %bb.2379:
	global_load_u8 v2, v[0:1], off
	s_wait_loadcnt 0x0
	v_lshlrev_b32_e32 v3, 25, v2
	v_lshlrev_b16 v2, 8, v2
	s_delay_alu instid0(VALU_DEP_1) | instskip(SKIP_1) | instid1(VALU_DEP_2)
	v_and_or_b32 v5, 0x7f00, v2, 0.5
	v_bfe_i32 v2, v2, 0, 16
	v_dual_add_f32 v5, -0.5, v5 :: v_dual_lshrrev_b32 v4, 4, v3
	v_cmp_gt_u32_e32 vcc_lo, 0x8000000, v3
	s_delay_alu instid0(VALU_DEP_2) | instskip(NEXT) | instid1(VALU_DEP_1)
	v_or_b32_e32 v4, 0x70000000, v4
	v_mul_f32_e32 v4, 0x7800000, v4
	s_delay_alu instid0(VALU_DEP_1) | instskip(NEXT) | instid1(VALU_DEP_1)
	v_cndmask_b32_e32 v3, v4, v5, vcc_lo
	v_and_or_b32 v2, 0x80000000, v2, v3
	s_delay_alu instid0(VALU_DEP_1)
	v_cvt_f64_f32_e32 v[46:47], v2
.LBB12_2380:
	s_mov_b32 s1, 0
	s_mov_b32 s2, -1
.LBB12_2381:
	s_and_not1_b32 vcc_lo, exec_lo, s1
	s_mov_b32 s1, 0
	s_cbranch_vccnz .LBB12_2392
; %bb.2382:
	s_cmp_gt_i32 s51, 14
	s_cbranch_scc0 .LBB12_2385
; %bb.2383:
	s_cmp_eq_u32 s51, 15
	s_cbranch_scc0 .LBB12_2388
; %bb.2384:
	global_load_u16 v2, v[0:1], off
	s_mov_b32 s0, 0
	s_mov_b32 s2, -1
	s_wait_loadcnt 0x0
	v_lshlrev_b32_e32 v2, 16, v2
	s_delay_alu instid0(VALU_DEP_1)
	v_cvt_f64_f32_e32 v[46:47], v2
	s_branch .LBB12_2390
.LBB12_2385:
	s_mov_b32 s1, -1
	s_branch .LBB12_2389
.LBB12_2386:
	s_or_saveexec_b32 s2, s2
	v_mov_b64_e32 v[46:47], 0x7ff8000020000000
	s_xor_b32 exec_lo, exec_lo, s2
	s_cbranch_execz .LBB12_2367
.LBB12_2387:
	v_cmp_ne_u16_e32 vcc_lo, 0, v2
	v_mov_b64_e32 v[46:47], 0
	s_and_not1_b32 s1, s1, exec_lo
	s_and_b32 s3, vcc_lo, exec_lo
	s_delay_alu instid0(SALU_CYCLE_1)
	s_or_b32 s1, s1, s3
	s_or_b32 exec_lo, exec_lo, s2
	s_and_saveexec_b32 s2, s1
	s_cbranch_execnz .LBB12_2368
	s_branch .LBB12_2369
.LBB12_2388:
	s_mov_b32 s0, -1
.LBB12_2389:
                                        ; implicit-def: $vgpr46_vgpr47
.LBB12_2390:
	s_and_b32 vcc_lo, exec_lo, s1
	s_mov_b32 s1, 0
	s_cbranch_vccz .LBB12_2392
; %bb.2391:
	s_cmp_lg_u32 s51, 11
	s_mov_b32 s1, -1
	s_cselect_b32 s0, -1, 0
.LBB12_2392:
	s_delay_alu instid0(SALU_CYCLE_1)
	s_and_b32 vcc_lo, exec_lo, s0
	s_cbranch_vccnz .LBB12_2462
; %bb.2393:
	s_and_not1_b32 vcc_lo, exec_lo, s1
	s_cbranch_vccnz .LBB12_2395
.LBB12_2394:
	global_load_u8 v2, v[0:1], off
	s_wait_loadcnt 0x1
	v_mov_b32_e32 v46, 0
	s_mov_b32 s2, -1
	s_wait_loadcnt 0x0
	v_cmp_ne_u16_e32 vcc_lo, 0, v2
	v_cndmask_b32_e64 v47, 0, 0x3ff00000, vcc_lo
.LBB12_2395:
	s_mov_b32 s0, 0
.LBB12_2396:
	s_delay_alu instid0(SALU_CYCLE_1)
	s_and_b32 vcc_lo, exec_lo, s0
	s_cbranch_vccz .LBB12_2445
; %bb.2397:
	s_cmp_lt_i32 s51, 5
	s_cbranch_scc1 .LBB12_2402
; %bb.2398:
	s_cmp_lt_i32 s51, 8
	s_cbranch_scc1 .LBB12_2403
	;; [unrolled: 3-line block ×3, first 2 shown]
; %bb.2400:
	s_cmp_gt_i32 s51, 9
	s_cbranch_scc0 .LBB12_2405
; %bb.2401:
	s_wait_loadcnt 0x0
	global_load_b64 v[46:47], v[0:1], off
	s_mov_b32 s0, 0
	s_branch .LBB12_2406
.LBB12_2402:
	s_mov_b32 s0, -1
                                        ; implicit-def: $vgpr46_vgpr47
	s_branch .LBB12_2424
.LBB12_2403:
	s_mov_b32 s0, -1
                                        ; implicit-def: $vgpr46_vgpr47
	s_branch .LBB12_2412
.LBB12_2404:
	s_mov_b32 s0, -1
                                        ; implicit-def: $vgpr46_vgpr47
	s_branch .LBB12_2409
.LBB12_2405:
	s_mov_b32 s0, -1
                                        ; implicit-def: $vgpr46_vgpr47
.LBB12_2406:
	s_delay_alu instid0(SALU_CYCLE_1)
	s_and_not1_b32 vcc_lo, exec_lo, s0
	s_cbranch_vccnz .LBB12_2408
; %bb.2407:
	global_load_b32 v2, v[0:1], off
	s_wait_loadcnt 0x0
	v_cvt_f64_f32_e32 v[46:47], v2
.LBB12_2408:
	s_mov_b32 s0, 0
.LBB12_2409:
	s_delay_alu instid0(SALU_CYCLE_1)
	s_and_not1_b32 vcc_lo, exec_lo, s0
	s_cbranch_vccnz .LBB12_2411
; %bb.2410:
	global_load_b32 v2, v[0:1], off
	s_wait_loadcnt 0x0
	v_cvt_f32_f16_e32 v2, v2
	s_delay_alu instid0(VALU_DEP_1)
	v_cvt_f64_f32_e32 v[46:47], v2
.LBB12_2411:
	s_mov_b32 s0, 0
.LBB12_2412:
	s_delay_alu instid0(SALU_CYCLE_1)
	s_and_not1_b32 vcc_lo, exec_lo, s0
	s_cbranch_vccnz .LBB12_2423
; %bb.2413:
	s_cmp_lt_i32 s51, 6
	s_cbranch_scc1 .LBB12_2416
; %bb.2414:
	s_cmp_gt_i32 s51, 6
	s_cbranch_scc0 .LBB12_2417
; %bb.2415:
	s_wait_loadcnt 0x0
	global_load_b64 v[46:47], v[0:1], off
	s_mov_b32 s0, 0
	s_branch .LBB12_2418
.LBB12_2416:
	s_mov_b32 s0, -1
                                        ; implicit-def: $vgpr46_vgpr47
	s_branch .LBB12_2421
.LBB12_2417:
	s_mov_b32 s0, -1
                                        ; implicit-def: $vgpr46_vgpr47
.LBB12_2418:
	s_delay_alu instid0(SALU_CYCLE_1)
	s_and_not1_b32 vcc_lo, exec_lo, s0
	s_cbranch_vccnz .LBB12_2420
; %bb.2419:
	global_load_b32 v2, v[0:1], off
	s_wait_loadcnt 0x0
	v_cvt_f64_f32_e32 v[46:47], v2
.LBB12_2420:
	s_mov_b32 s0, 0
.LBB12_2421:
	s_delay_alu instid0(SALU_CYCLE_1)
	s_and_not1_b32 vcc_lo, exec_lo, s0
	s_cbranch_vccnz .LBB12_2423
; %bb.2422:
	global_load_u16 v2, v[0:1], off
	s_wait_loadcnt 0x0
	v_cvt_f32_f16_e32 v2, v2
	s_delay_alu instid0(VALU_DEP_1)
	v_cvt_f64_f32_e32 v[46:47], v2
.LBB12_2423:
	s_mov_b32 s0, 0
.LBB12_2424:
	s_delay_alu instid0(SALU_CYCLE_1)
	s_and_not1_b32 vcc_lo, exec_lo, s0
	s_cbranch_vccnz .LBB12_2444
; %bb.2425:
	s_cmp_lt_i32 s51, 2
	s_cbranch_scc1 .LBB12_2429
; %bb.2426:
	s_cmp_lt_i32 s51, 3
	s_cbranch_scc1 .LBB12_2430
; %bb.2427:
	s_cmp_gt_i32 s51, 3
	s_cbranch_scc0 .LBB12_2431
; %bb.2428:
	global_load_b64 v[2:3], v[0:1], off
	s_mov_b32 s0, 0
	s_wait_loadcnt 0x0
	v_cvt_f64_i32_e32 v[4:5], v3
	v_cvt_f64_u32_e32 v[2:3], v2
	s_delay_alu instid0(VALU_DEP_2) | instskip(NEXT) | instid1(VALU_DEP_1)
	v_ldexp_f64 v[4:5], v[4:5], 32
	v_add_f64_e32 v[46:47], v[4:5], v[2:3]
	s_branch .LBB12_2432
.LBB12_2429:
	s_mov_b32 s0, -1
                                        ; implicit-def: $vgpr46_vgpr47
	s_branch .LBB12_2438
.LBB12_2430:
	s_mov_b32 s0, -1
                                        ; implicit-def: $vgpr46_vgpr47
	s_branch .LBB12_2435
.LBB12_2431:
	s_mov_b32 s0, -1
                                        ; implicit-def: $vgpr46_vgpr47
.LBB12_2432:
	s_delay_alu instid0(SALU_CYCLE_1)
	s_and_not1_b32 vcc_lo, exec_lo, s0
	s_cbranch_vccnz .LBB12_2434
; %bb.2433:
	global_load_b32 v2, v[0:1], off
	s_wait_loadcnt 0x0
	v_cvt_f64_i32_e32 v[46:47], v2
.LBB12_2434:
	s_mov_b32 s0, 0
.LBB12_2435:
	s_delay_alu instid0(SALU_CYCLE_1)
	s_and_not1_b32 vcc_lo, exec_lo, s0
	s_cbranch_vccnz .LBB12_2437
; %bb.2436:
	global_load_i16 v2, v[0:1], off
	s_wait_loadcnt 0x0
	v_cvt_f64_i32_e32 v[46:47], v2
.LBB12_2437:
	s_mov_b32 s0, 0
.LBB12_2438:
	s_delay_alu instid0(SALU_CYCLE_1)
	s_and_not1_b32 vcc_lo, exec_lo, s0
	s_cbranch_vccnz .LBB12_2444
; %bb.2439:
	s_cmp_gt_i32 s51, 0
	s_mov_b32 s0, 0
	s_cbranch_scc0 .LBB12_2441
; %bb.2440:
	global_load_i8 v2, v[0:1], off
	s_wait_loadcnt 0x0
	v_cvt_f64_i32_e32 v[46:47], v2
	s_branch .LBB12_2442
.LBB12_2441:
	s_mov_b32 s0, -1
                                        ; implicit-def: $vgpr46_vgpr47
.LBB12_2442:
	s_delay_alu instid0(SALU_CYCLE_1)
	s_and_not1_b32 vcc_lo, exec_lo, s0
	s_cbranch_vccnz .LBB12_2444
; %bb.2443:
	global_load_u8 v0, v[0:1], off
	s_wait_loadcnt 0x0
	v_cvt_f64_u32_e32 v[46:47], v0
.LBB12_2444:
	s_mov_b32 s2, -1
.LBB12_2445:
	s_delay_alu instid0(SALU_CYCLE_1)
	s_and_not1_b32 vcc_lo, exec_lo, s2
	s_cbranch_vccnz .LBB12_2715
; %bb.2446:
	s_and_b32 vcc_lo, exec_lo, s49
	s_cbranch_vccz .LBB12_2448
; %bb.2447:
	s_wait_loadcnt 0x0
	s_delay_alu instid0(VALU_DEP_3) | instskip(NEXT) | instid1(VALU_DEP_2)
	v_dual_mov_b32 v0, v44 :: v_dual_mov_b32 v1, v45
	v_dual_mov_b32 v2, v46 :: v_dual_mov_b32 v3, v47
	s_get_pc_i64 s[0:1]
	s_add_nc_u64 s[0:1], s[0:1], _ZN12_GLOBAL__N_111calc_igammaIdEET_S1_S1_@rel64+4
	s_delay_alu instid0(SALU_CYCLE_1)
	s_swap_pc_i64 s[30:31], s[0:1]
	v_dual_mov_b32 v60, v0 :: v_dual_mov_b32 v61, v1
	s_mov_b32 s0, 0
	s_branch .LBB12_2449
.LBB12_2448:
	s_mov_b32 s0, -1
                                        ; implicit-def: $vgpr60_vgpr61
.LBB12_2449:
	s_delay_alu instid0(SALU_CYCLE_1)
	s_and_not1_b32 vcc_lo, exec_lo, s0
	s_cbranch_vccnz .LBB12_2451
; %bb.2450:
	s_wait_loadcnt 0x0
	s_delay_alu instid0(VALU_DEP_3) | instskip(NEXT) | instid1(VALU_DEP_2)
	v_dual_mov_b32 v0, v44 :: v_dual_mov_b32 v1, v45
	v_dual_mov_b32 v2, v46 :: v_dual_mov_b32 v3, v47
	s_get_pc_i64 s[0:1]
	s_add_nc_u64 s[0:1], s[0:1], _ZN12_GLOBAL__N_112calc_igammacIdEET_S1_S1_@rel64+4
	s_delay_alu instid0(SALU_CYCLE_1)
	s_swap_pc_i64 s[30:31], s[0:1]
	v_dual_mov_b32 v60, v0 :: v_dual_mov_b32 v61, v1
.LBB12_2451:
	v_mov_b32_e32 v79, 0
	s_cmp_lt_i32 s50, 11
	s_wait_xcnt 0x0
	s_delay_alu instid0(VALU_DEP_1)
	v_add_nc_u64_e32 v[0:1], s[38:39], v[78:79]
	s_cbranch_scc1 .LBB12_2458
; %bb.2452:
	s_cmp_gt_i32 s50, 25
	s_mov_b32 s1, 0
	s_cbranch_scc0 .LBB12_2459
; %bb.2453:
	s_cmp_gt_i32 s50, 28
	s_cbranch_scc0 .LBB12_2460
; %bb.2454:
	s_cmp_gt_i32 s50, 43
	;; [unrolled: 3-line block ×3, first 2 shown]
	s_cbranch_scc0 .LBB12_2463
; %bb.2456:
	s_cmp_eq_u32 s50, 46
	s_mov_b32 s3, 0
	s_cbranch_scc0 .LBB12_2464
; %bb.2457:
	global_load_b32 v2, v[0:1], off
	s_mov_b32 s0, 0
	s_mov_b32 s2, -1
	s_wait_loadcnt 0x0
	v_lshlrev_b32_e32 v2, 16, v2
	s_delay_alu instid0(VALU_DEP_1)
	v_cvt_f64_f32_e32 v[44:45], v2
	s_branch .LBB12_2466
.LBB12_2458:
	s_mov_b32 s0, -1
	s_mov_b32 s2, 0
                                        ; implicit-def: $vgpr44_vgpr45
	s_branch .LBB12_2532
.LBB12_2459:
	s_mov_b32 s3, -1
	s_mov_b32 s2, 0
	s_mov_b32 s0, 0
                                        ; implicit-def: $vgpr44_vgpr45
	s_branch .LBB12_2495
.LBB12_2460:
	s_mov_b32 s3, -1
	s_mov_b32 s2, 0
	s_mov_b32 s0, 0
                                        ; implicit-def: $vgpr44_vgpr45
	s_branch .LBB12_2476
.LBB12_2461:
	s_mov_b32 s3, -1
	s_mov_b32 s2, 0
	s_mov_b32 s0, 0
                                        ; implicit-def: $vgpr44_vgpr45
	s_branch .LBB12_2471
.LBB12_2462:
	s_or_b32 s48, s48, exec_lo
	s_trap 2
	s_cbranch_execz .LBB12_2394
	s_branch .LBB12_2395
.LBB12_2463:
	s_mov_b32 s3, -1
	s_mov_b32 s2, 0
	s_mov_b32 s0, 0
	s_branch .LBB12_2465
.LBB12_2464:
	s_mov_b32 s0, -1
	s_mov_b32 s2, 0
.LBB12_2465:
                                        ; implicit-def: $vgpr44_vgpr45
.LBB12_2466:
	s_and_b32 vcc_lo, exec_lo, s3
	s_cbranch_vccz .LBB12_2470
; %bb.2467:
	s_cmp_eq_u32 s50, 44
	s_cbranch_scc0 .LBB12_2469
; %bb.2468:
	global_load_u8 v4, v[0:1], off
	s_mov_b32 s0, 0
	s_mov_b32 s2, -1
	s_wait_loadcnt 0x0
	v_cmp_ne_u32_e32 vcc_lo, 0xff, v4
	v_lshlrev_b32_e32 v2, 23, v4
	s_delay_alu instid0(VALU_DEP_1) | instskip(NEXT) | instid1(VALU_DEP_1)
	v_cvt_f64_f32_e32 v[2:3], v2
	v_cndmask_b32_e32 v2, 0x20000000, v2, vcc_lo
	s_delay_alu instid0(VALU_DEP_2) | instskip(SKIP_1) | instid1(VALU_DEP_2)
	v_cndmask_b32_e32 v3, 0x7ff80000, v3, vcc_lo
	v_cmp_ne_u32_e32 vcc_lo, 0, v4
	v_cndmask_b32_e32 v45, 0x38000000, v3, vcc_lo
	s_delay_alu instid0(VALU_DEP_4)
	v_cndmask_b32_e32 v44, 0, v2, vcc_lo
	s_branch .LBB12_2470
.LBB12_2469:
	s_mov_b32 s0, -1
                                        ; implicit-def: $vgpr44_vgpr45
.LBB12_2470:
	s_mov_b32 s3, 0
.LBB12_2471:
	s_delay_alu instid0(SALU_CYCLE_1)
	s_and_b32 vcc_lo, exec_lo, s3
	s_cbranch_vccz .LBB12_2475
; %bb.2472:
	s_cmp_eq_u32 s50, 29
	s_cbranch_scc0 .LBB12_2474
; %bb.2473:
	global_load_b64 v[2:3], v[0:1], off
	s_mov_b32 s0, 0
	s_mov_b32 s2, -1
	s_mov_b32 s3, 0
	s_wait_loadcnt 0x0
	v_cvt_f64_u32_e32 v[4:5], v3
	v_cvt_f64_u32_e32 v[2:3], v2
	s_delay_alu instid0(VALU_DEP_2) | instskip(NEXT) | instid1(VALU_DEP_1)
	v_ldexp_f64 v[4:5], v[4:5], 32
	v_add_f64_e32 v[44:45], v[4:5], v[2:3]
	s_branch .LBB12_2476
.LBB12_2474:
	s_mov_b32 s0, -1
                                        ; implicit-def: $vgpr44_vgpr45
.LBB12_2475:
	s_mov_b32 s3, 0
.LBB12_2476:
	s_delay_alu instid0(SALU_CYCLE_1)
	s_and_b32 vcc_lo, exec_lo, s3
	s_cbranch_vccz .LBB12_2494
; %bb.2477:
	s_cmp_lt_i32 s50, 27
	s_cbranch_scc1 .LBB12_2480
; %bb.2478:
	s_cmp_gt_i32 s50, 27
	s_cbranch_scc0 .LBB12_2481
; %bb.2479:
	global_load_b32 v2, v[0:1], off
	s_mov_b32 s2, 0
	s_wait_loadcnt 0x0
	v_cvt_f64_u32_e32 v[44:45], v2
	s_branch .LBB12_2482
.LBB12_2480:
	s_mov_b32 s2, -1
                                        ; implicit-def: $vgpr44_vgpr45
	s_branch .LBB12_2485
.LBB12_2481:
	s_mov_b32 s2, -1
                                        ; implicit-def: $vgpr44_vgpr45
.LBB12_2482:
	s_delay_alu instid0(SALU_CYCLE_1)
	s_and_not1_b32 vcc_lo, exec_lo, s2
	s_cbranch_vccnz .LBB12_2484
; %bb.2483:
	global_load_u16 v2, v[0:1], off
	s_wait_loadcnt 0x0
	v_cvt_f64_u32_e32 v[44:45], v2
.LBB12_2484:
	s_mov_b32 s2, 0
.LBB12_2485:
	s_delay_alu instid0(SALU_CYCLE_1)
	s_and_not1_b32 vcc_lo, exec_lo, s2
	s_cbranch_vccnz .LBB12_2493
; %bb.2486:
	global_load_u8 v2, v[0:1], off
	s_mov_b32 s2, 0
	s_mov_b32 s3, exec_lo
	s_wait_loadcnt 0x0
	v_cmpx_lt_i16_e32 0x7f, v2
	s_xor_b32 s3, exec_lo, s3
	s_cbranch_execz .LBB12_2507
; %bb.2487:
	s_mov_b32 s2, -1
	s_mov_b32 s4, exec_lo
	v_cmpx_eq_u16_e32 0x80, v2
; %bb.2488:
	s_xor_b32 s2, exec_lo, -1
; %bb.2489:
	s_or_b32 exec_lo, exec_lo, s4
	s_delay_alu instid0(SALU_CYCLE_1)
	s_and_b32 s2, s2, exec_lo
	s_or_saveexec_b32 s3, s3
	v_mov_b64_e32 v[44:45], 0x7ff8000020000000
	s_xor_b32 exec_lo, exec_lo, s3
	s_cbranch_execnz .LBB12_2508
.LBB12_2490:
	s_or_b32 exec_lo, exec_lo, s3
	s_and_saveexec_b32 s3, s2
	s_cbranch_execz .LBB12_2492
.LBB12_2491:
	v_and_b32_e32 v3, 0xffff, v2
	s_delay_alu instid0(VALU_DEP_1) | instskip(SKIP_1) | instid1(VALU_DEP_2)
	v_and_b32_e32 v4, 7, v3
	v_bfe_u32 v7, v3, 3, 4
	v_clz_i32_u32_e32 v5, v4
	s_delay_alu instid0(VALU_DEP_2) | instskip(NEXT) | instid1(VALU_DEP_2)
	v_cmp_eq_u32_e32 vcc_lo, 0, v7
	v_min_u32_e32 v5, 32, v5
	s_delay_alu instid0(VALU_DEP_1) | instskip(NEXT) | instid1(VALU_DEP_1)
	v_subrev_nc_u32_e32 v6, 28, v5
	v_dual_lshlrev_b32 v3, v6, v3 :: v_dual_sub_nc_u32 v5, 29, v5
	s_delay_alu instid0(VALU_DEP_1) | instskip(NEXT) | instid1(VALU_DEP_1)
	v_dual_lshlrev_b32 v2, 24, v2 :: v_dual_bitop2_b32 v3, 7, v3 bitop3:0x40
	v_dual_cndmask_b32 v5, v7, v5, vcc_lo :: v_dual_cndmask_b32 v3, v4, v3, vcc_lo
	s_delay_alu instid0(VALU_DEP_2) | instskip(NEXT) | instid1(VALU_DEP_2)
	v_and_b32_e32 v2, 0x80000000, v2
	v_lshl_add_u32 v4, v5, 23, 0x3b800000
	s_delay_alu instid0(VALU_DEP_3) | instskip(NEXT) | instid1(VALU_DEP_1)
	v_lshlrev_b32_e32 v3, 20, v3
	v_or3_b32 v2, v2, v4, v3
	s_delay_alu instid0(VALU_DEP_1)
	v_cvt_f64_f32_e32 v[44:45], v2
.LBB12_2492:
	s_or_b32 exec_lo, exec_lo, s3
.LBB12_2493:
	s_mov_b32 s2, -1
.LBB12_2494:
	s_mov_b32 s3, 0
.LBB12_2495:
	s_delay_alu instid0(SALU_CYCLE_1)
	s_and_b32 vcc_lo, exec_lo, s3
	s_cbranch_vccz .LBB12_2528
; %bb.2496:
	s_cmp_gt_i32 s50, 22
	s_cbranch_scc0 .LBB12_2506
; %bb.2497:
	s_cmp_lt_i32 s50, 24
	s_cbranch_scc1 .LBB12_2509
; %bb.2498:
	s_cmp_gt_i32 s50, 24
	s_cbranch_scc0 .LBB12_2510
; %bb.2499:
	global_load_u8 v2, v[0:1], off
	s_mov_b32 s2, exec_lo
	s_wait_loadcnt 0x0
	v_cmpx_lt_i16_e32 0x7f, v2
	s_xor_b32 s2, exec_lo, s2
	s_cbranch_execz .LBB12_2522
; %bb.2500:
	s_mov_b32 s1, -1
	s_mov_b32 s3, exec_lo
	v_cmpx_eq_u16_e32 0x80, v2
; %bb.2501:
	s_xor_b32 s1, exec_lo, -1
; %bb.2502:
	s_or_b32 exec_lo, exec_lo, s3
	s_delay_alu instid0(SALU_CYCLE_1)
	s_and_b32 s1, s1, exec_lo
	s_or_saveexec_b32 s2, s2
	v_mov_b64_e32 v[44:45], 0x7ff8000020000000
	s_xor_b32 exec_lo, exec_lo, s2
	s_cbranch_execnz .LBB12_2523
.LBB12_2503:
	s_or_b32 exec_lo, exec_lo, s2
	s_and_saveexec_b32 s2, s1
	s_cbranch_execz .LBB12_2505
.LBB12_2504:
	v_and_b32_e32 v3, 0xffff, v2
	s_delay_alu instid0(VALU_DEP_1) | instskip(SKIP_1) | instid1(VALU_DEP_2)
	v_and_b32_e32 v4, 3, v3
	v_bfe_u32 v7, v3, 2, 5
	v_clz_i32_u32_e32 v5, v4
	s_delay_alu instid0(VALU_DEP_2) | instskip(NEXT) | instid1(VALU_DEP_2)
	v_cmp_eq_u32_e32 vcc_lo, 0, v7
	v_min_u32_e32 v5, 32, v5
	s_delay_alu instid0(VALU_DEP_1) | instskip(NEXT) | instid1(VALU_DEP_1)
	v_subrev_nc_u32_e32 v6, 29, v5
	v_dual_lshlrev_b32 v3, v6, v3 :: v_dual_sub_nc_u32 v5, 30, v5
	s_delay_alu instid0(VALU_DEP_1) | instskip(NEXT) | instid1(VALU_DEP_1)
	v_dual_lshlrev_b32 v2, 24, v2 :: v_dual_bitop2_b32 v3, 3, v3 bitop3:0x40
	v_dual_cndmask_b32 v5, v7, v5, vcc_lo :: v_dual_cndmask_b32 v3, v4, v3, vcc_lo
	s_delay_alu instid0(VALU_DEP_2) | instskip(NEXT) | instid1(VALU_DEP_2)
	v_and_b32_e32 v2, 0x80000000, v2
	v_lshl_add_u32 v4, v5, 23, 0x37800000
	s_delay_alu instid0(VALU_DEP_3) | instskip(NEXT) | instid1(VALU_DEP_1)
	v_lshlrev_b32_e32 v3, 21, v3
	v_or3_b32 v2, v2, v4, v3
	s_delay_alu instid0(VALU_DEP_1)
	v_cvt_f64_f32_e32 v[44:45], v2
.LBB12_2505:
	s_or_b32 exec_lo, exec_lo, s2
	s_mov_b32 s1, 0
	s_branch .LBB12_2511
.LBB12_2506:
	s_mov_b32 s1, -1
                                        ; implicit-def: $vgpr44_vgpr45
	s_branch .LBB12_2517
.LBB12_2507:
	s_or_saveexec_b32 s3, s3
	v_mov_b64_e32 v[44:45], 0x7ff8000020000000
	s_xor_b32 exec_lo, exec_lo, s3
	s_cbranch_execz .LBB12_2490
.LBB12_2508:
	v_cmp_ne_u16_e32 vcc_lo, 0, v2
	v_mov_b64_e32 v[44:45], 0
	s_and_not1_b32 s2, s2, exec_lo
	s_and_b32 s4, vcc_lo, exec_lo
	s_delay_alu instid0(SALU_CYCLE_1)
	s_or_b32 s2, s2, s4
	s_or_b32 exec_lo, exec_lo, s3
	s_and_saveexec_b32 s3, s2
	s_cbranch_execnz .LBB12_2491
	s_branch .LBB12_2492
.LBB12_2509:
	s_mov_b32 s1, -1
                                        ; implicit-def: $vgpr44_vgpr45
	s_branch .LBB12_2514
.LBB12_2510:
	s_mov_b32 s1, -1
                                        ; implicit-def: $vgpr44_vgpr45
.LBB12_2511:
	s_delay_alu instid0(SALU_CYCLE_1)
	s_and_b32 vcc_lo, exec_lo, s1
	s_cbranch_vccz .LBB12_2513
; %bb.2512:
	global_load_u8 v2, v[0:1], off
	s_wait_loadcnt 0x0
	v_lshlrev_b32_e32 v2, 24, v2
	s_delay_alu instid0(VALU_DEP_1) | instskip(NEXT) | instid1(VALU_DEP_1)
	v_and_b32_e32 v3, 0x7f000000, v2
	v_clz_i32_u32_e32 v4, v3
	v_cmp_ne_u32_e32 vcc_lo, 0, v3
	v_add_nc_u32_e32 v6, 0x1000000, v3
	s_delay_alu instid0(VALU_DEP_3) | instskip(NEXT) | instid1(VALU_DEP_1)
	v_min_u32_e32 v4, 32, v4
	v_sub_nc_u32_e64 v4, v4, 4 clamp
	s_delay_alu instid0(VALU_DEP_1) | instskip(NEXT) | instid1(VALU_DEP_1)
	v_dual_lshlrev_b32 v5, v4, v3 :: v_dual_lshlrev_b32 v4, 23, v4
	v_lshrrev_b32_e32 v5, 4, v5
	s_delay_alu instid0(VALU_DEP_1) | instskip(NEXT) | instid1(VALU_DEP_1)
	v_dual_sub_nc_u32 v4, v5, v4 :: v_dual_ashrrev_i32 v5, 8, v6
	v_add_nc_u32_e32 v4, 0x3c000000, v4
	s_delay_alu instid0(VALU_DEP_1) | instskip(NEXT) | instid1(VALU_DEP_1)
	v_and_or_b32 v4, 0x7f800000, v5, v4
	v_cndmask_b32_e32 v3, 0, v4, vcc_lo
	s_delay_alu instid0(VALU_DEP_1) | instskip(NEXT) | instid1(VALU_DEP_1)
	v_and_or_b32 v2, 0x80000000, v2, v3
	v_cvt_f64_f32_e32 v[44:45], v2
.LBB12_2513:
	s_mov_b32 s1, 0
.LBB12_2514:
	s_delay_alu instid0(SALU_CYCLE_1)
	s_and_not1_b32 vcc_lo, exec_lo, s1
	s_cbranch_vccnz .LBB12_2516
; %bb.2515:
	global_load_u8 v2, v[0:1], off
	s_wait_loadcnt 0x0
	v_lshlrev_b32_e32 v3, 25, v2
	v_lshlrev_b16 v2, 8, v2
	s_delay_alu instid0(VALU_DEP_1) | instskip(SKIP_1) | instid1(VALU_DEP_2)
	v_and_or_b32 v5, 0x7f00, v2, 0.5
	v_bfe_i32 v2, v2, 0, 16
	v_dual_add_f32 v5, -0.5, v5 :: v_dual_lshrrev_b32 v4, 4, v3
	v_cmp_gt_u32_e32 vcc_lo, 0x8000000, v3
	s_delay_alu instid0(VALU_DEP_2) | instskip(NEXT) | instid1(VALU_DEP_1)
	v_or_b32_e32 v4, 0x70000000, v4
	v_mul_f32_e32 v4, 0x7800000, v4
	s_delay_alu instid0(VALU_DEP_1) | instskip(NEXT) | instid1(VALU_DEP_1)
	v_cndmask_b32_e32 v3, v4, v5, vcc_lo
	v_and_or_b32 v2, 0x80000000, v2, v3
	s_delay_alu instid0(VALU_DEP_1)
	v_cvt_f64_f32_e32 v[44:45], v2
.LBB12_2516:
	s_mov_b32 s1, 0
	s_mov_b32 s2, -1
.LBB12_2517:
	s_and_not1_b32 vcc_lo, exec_lo, s1
	s_mov_b32 s1, 0
	s_cbranch_vccnz .LBB12_2528
; %bb.2518:
	s_cmp_gt_i32 s50, 14
	s_cbranch_scc0 .LBB12_2521
; %bb.2519:
	s_cmp_eq_u32 s50, 15
	s_cbranch_scc0 .LBB12_2524
; %bb.2520:
	global_load_u16 v2, v[0:1], off
	s_mov_b32 s0, 0
	s_mov_b32 s2, -1
	s_wait_loadcnt 0x0
	v_lshlrev_b32_e32 v2, 16, v2
	s_delay_alu instid0(VALU_DEP_1)
	v_cvt_f64_f32_e32 v[44:45], v2
	s_branch .LBB12_2526
.LBB12_2521:
	s_mov_b32 s1, -1
	s_branch .LBB12_2525
.LBB12_2522:
	s_or_saveexec_b32 s2, s2
	v_mov_b64_e32 v[44:45], 0x7ff8000020000000
	s_xor_b32 exec_lo, exec_lo, s2
	s_cbranch_execz .LBB12_2503
.LBB12_2523:
	v_cmp_ne_u16_e32 vcc_lo, 0, v2
	v_mov_b64_e32 v[44:45], 0
	s_and_not1_b32 s1, s1, exec_lo
	s_and_b32 s3, vcc_lo, exec_lo
	s_delay_alu instid0(SALU_CYCLE_1)
	s_or_b32 s1, s1, s3
	s_or_b32 exec_lo, exec_lo, s2
	s_and_saveexec_b32 s2, s1
	s_cbranch_execnz .LBB12_2504
	s_branch .LBB12_2505
.LBB12_2524:
	s_mov_b32 s0, -1
.LBB12_2525:
                                        ; implicit-def: $vgpr44_vgpr45
.LBB12_2526:
	s_and_b32 vcc_lo, exec_lo, s1
	s_mov_b32 s1, 0
	s_cbranch_vccz .LBB12_2528
; %bb.2527:
	s_cmp_lg_u32 s50, 11
	s_mov_b32 s1, -1
	s_cselect_b32 s0, -1, 0
.LBB12_2528:
	s_delay_alu instid0(SALU_CYCLE_1)
	s_and_b32 vcc_lo, exec_lo, s0
	s_cbranch_vccnz .LBB12_2593
; %bb.2529:
	s_and_not1_b32 vcc_lo, exec_lo, s1
	s_cbranch_vccnz .LBB12_2531
.LBB12_2530:
	global_load_u8 v2, v[0:1], off
	s_wait_loadcnt 0x1
	v_mov_b32_e32 v44, 0
	s_mov_b32 s2, -1
	s_wait_loadcnt 0x0
	v_cmp_ne_u16_e32 vcc_lo, 0, v2
	v_cndmask_b32_e64 v45, 0, 0x3ff00000, vcc_lo
.LBB12_2531:
	s_mov_b32 s0, 0
.LBB12_2532:
	s_delay_alu instid0(SALU_CYCLE_1)
	s_and_b32 vcc_lo, exec_lo, s0
	s_cbranch_vccz .LBB12_2581
; %bb.2533:
	s_cmp_lt_i32 s50, 5
	s_cbranch_scc1 .LBB12_2538
; %bb.2534:
	s_cmp_lt_i32 s50, 8
	s_cbranch_scc1 .LBB12_2539
	;; [unrolled: 3-line block ×3, first 2 shown]
; %bb.2536:
	s_cmp_gt_i32 s50, 9
	s_cbranch_scc0 .LBB12_2541
; %bb.2537:
	s_wait_loadcnt 0x0
	global_load_b64 v[44:45], v[0:1], off
	s_mov_b32 s0, 0
	s_branch .LBB12_2542
.LBB12_2538:
	s_mov_b32 s0, -1
                                        ; implicit-def: $vgpr44_vgpr45
	s_branch .LBB12_2560
.LBB12_2539:
	s_mov_b32 s0, -1
                                        ; implicit-def: $vgpr44_vgpr45
	s_branch .LBB12_2548
.LBB12_2540:
	s_mov_b32 s0, -1
                                        ; implicit-def: $vgpr44_vgpr45
	s_branch .LBB12_2545
.LBB12_2541:
	s_mov_b32 s0, -1
                                        ; implicit-def: $vgpr44_vgpr45
.LBB12_2542:
	s_delay_alu instid0(SALU_CYCLE_1)
	s_and_not1_b32 vcc_lo, exec_lo, s0
	s_cbranch_vccnz .LBB12_2544
; %bb.2543:
	global_load_b32 v2, v[0:1], off
	s_wait_loadcnt 0x0
	v_cvt_f64_f32_e32 v[44:45], v2
.LBB12_2544:
	s_mov_b32 s0, 0
.LBB12_2545:
	s_delay_alu instid0(SALU_CYCLE_1)
	s_and_not1_b32 vcc_lo, exec_lo, s0
	s_cbranch_vccnz .LBB12_2547
; %bb.2546:
	global_load_b32 v2, v[0:1], off
	s_wait_loadcnt 0x0
	v_cvt_f32_f16_e32 v2, v2
	s_delay_alu instid0(VALU_DEP_1)
	v_cvt_f64_f32_e32 v[44:45], v2
.LBB12_2547:
	s_mov_b32 s0, 0
.LBB12_2548:
	s_delay_alu instid0(SALU_CYCLE_1)
	s_and_not1_b32 vcc_lo, exec_lo, s0
	s_cbranch_vccnz .LBB12_2559
; %bb.2549:
	s_cmp_lt_i32 s50, 6
	s_cbranch_scc1 .LBB12_2552
; %bb.2550:
	s_cmp_gt_i32 s50, 6
	s_cbranch_scc0 .LBB12_2553
; %bb.2551:
	s_wait_loadcnt 0x0
	global_load_b64 v[44:45], v[0:1], off
	s_mov_b32 s0, 0
	s_branch .LBB12_2554
.LBB12_2552:
	s_mov_b32 s0, -1
                                        ; implicit-def: $vgpr44_vgpr45
	s_branch .LBB12_2557
.LBB12_2553:
	s_mov_b32 s0, -1
                                        ; implicit-def: $vgpr44_vgpr45
.LBB12_2554:
	s_delay_alu instid0(SALU_CYCLE_1)
	s_and_not1_b32 vcc_lo, exec_lo, s0
	s_cbranch_vccnz .LBB12_2556
; %bb.2555:
	global_load_b32 v2, v[0:1], off
	s_wait_loadcnt 0x0
	v_cvt_f64_f32_e32 v[44:45], v2
.LBB12_2556:
	s_mov_b32 s0, 0
.LBB12_2557:
	s_delay_alu instid0(SALU_CYCLE_1)
	s_and_not1_b32 vcc_lo, exec_lo, s0
	s_cbranch_vccnz .LBB12_2559
; %bb.2558:
	global_load_u16 v2, v[0:1], off
	s_wait_loadcnt 0x0
	v_cvt_f32_f16_e32 v2, v2
	s_delay_alu instid0(VALU_DEP_1)
	v_cvt_f64_f32_e32 v[44:45], v2
.LBB12_2559:
	s_mov_b32 s0, 0
.LBB12_2560:
	s_delay_alu instid0(SALU_CYCLE_1)
	s_and_not1_b32 vcc_lo, exec_lo, s0
	s_cbranch_vccnz .LBB12_2580
; %bb.2561:
	s_cmp_lt_i32 s50, 2
	s_cbranch_scc1 .LBB12_2565
; %bb.2562:
	s_cmp_lt_i32 s50, 3
	s_cbranch_scc1 .LBB12_2566
; %bb.2563:
	s_cmp_gt_i32 s50, 3
	s_cbranch_scc0 .LBB12_2567
; %bb.2564:
	global_load_b64 v[2:3], v[0:1], off
	s_mov_b32 s0, 0
	s_wait_loadcnt 0x0
	v_cvt_f64_i32_e32 v[4:5], v3
	v_cvt_f64_u32_e32 v[2:3], v2
	s_delay_alu instid0(VALU_DEP_2) | instskip(NEXT) | instid1(VALU_DEP_1)
	v_ldexp_f64 v[4:5], v[4:5], 32
	v_add_f64_e32 v[44:45], v[4:5], v[2:3]
	s_branch .LBB12_2568
.LBB12_2565:
	s_mov_b32 s0, -1
                                        ; implicit-def: $vgpr44_vgpr45
	s_branch .LBB12_2574
.LBB12_2566:
	s_mov_b32 s0, -1
                                        ; implicit-def: $vgpr44_vgpr45
	s_branch .LBB12_2571
.LBB12_2567:
	s_mov_b32 s0, -1
                                        ; implicit-def: $vgpr44_vgpr45
.LBB12_2568:
	s_delay_alu instid0(SALU_CYCLE_1)
	s_and_not1_b32 vcc_lo, exec_lo, s0
	s_cbranch_vccnz .LBB12_2570
; %bb.2569:
	global_load_b32 v2, v[0:1], off
	s_wait_loadcnt 0x0
	v_cvt_f64_i32_e32 v[44:45], v2
.LBB12_2570:
	s_mov_b32 s0, 0
.LBB12_2571:
	s_delay_alu instid0(SALU_CYCLE_1)
	s_and_not1_b32 vcc_lo, exec_lo, s0
	s_cbranch_vccnz .LBB12_2573
; %bb.2572:
	global_load_i16 v2, v[0:1], off
	s_wait_loadcnt 0x0
	v_cvt_f64_i32_e32 v[44:45], v2
.LBB12_2573:
	s_mov_b32 s0, 0
.LBB12_2574:
	s_delay_alu instid0(SALU_CYCLE_1)
	s_and_not1_b32 vcc_lo, exec_lo, s0
	s_cbranch_vccnz .LBB12_2580
; %bb.2575:
	s_cmp_gt_i32 s50, 0
	s_mov_b32 s0, 0
	s_cbranch_scc0 .LBB12_2577
; %bb.2576:
	global_load_i8 v2, v[0:1], off
	s_wait_loadcnt 0x0
	v_cvt_f64_i32_e32 v[44:45], v2
	s_branch .LBB12_2578
.LBB12_2577:
	s_mov_b32 s0, -1
                                        ; implicit-def: $vgpr44_vgpr45
.LBB12_2578:
	s_delay_alu instid0(SALU_CYCLE_1)
	s_and_not1_b32 vcc_lo, exec_lo, s0
	s_cbranch_vccnz .LBB12_2580
; %bb.2579:
	global_load_u8 v0, v[0:1], off
	s_wait_loadcnt 0x0
	v_cvt_f64_u32_e32 v[44:45], v0
.LBB12_2580:
	s_mov_b32 s2, -1
.LBB12_2581:
	s_delay_alu instid0(SALU_CYCLE_1)
	s_and_not1_b32 vcc_lo, exec_lo, s2
	s_cbranch_vccnz .LBB12_2715
; %bb.2582:
	v_mov_b32_e32 v77, 0
	s_cmp_lt_i32 s51, 11
	s_wait_xcnt 0x0
	s_delay_alu instid0(VALU_DEP_1)
	v_add_nc_u64_e32 v[0:1], s[44:45], v[76:77]
	s_cbranch_scc1 .LBB12_2589
; %bb.2583:
	s_cmp_gt_i32 s51, 25
	s_mov_b32 s1, 0
	s_cbranch_scc0 .LBB12_2590
; %bb.2584:
	s_cmp_gt_i32 s51, 28
	s_cbranch_scc0 .LBB12_2591
; %bb.2585:
	s_cmp_gt_i32 s51, 43
	;; [unrolled: 3-line block ×3, first 2 shown]
	s_cbranch_scc0 .LBB12_2594
; %bb.2587:
	s_cmp_eq_u32 s51, 46
	s_mov_b32 s3, 0
	s_cbranch_scc0 .LBB12_2595
; %bb.2588:
	global_load_b32 v2, v[0:1], off
	s_mov_b32 s0, 0
	s_mov_b32 s2, -1
	s_wait_loadcnt 0x0
	v_lshlrev_b32_e32 v2, 16, v2
	s_delay_alu instid0(VALU_DEP_1)
	v_cvt_f64_f32_e32 v[46:47], v2
	s_branch .LBB12_2597
.LBB12_2589:
	s_mov_b32 s0, -1
	s_mov_b32 s2, 0
                                        ; implicit-def: $vgpr46_vgpr47
	s_branch .LBB12_2663
.LBB12_2590:
	s_mov_b32 s3, -1
	s_mov_b32 s2, 0
	s_mov_b32 s0, 0
                                        ; implicit-def: $vgpr46_vgpr47
	s_branch .LBB12_2626
.LBB12_2591:
	s_mov_b32 s3, -1
	s_mov_b32 s2, 0
	s_mov_b32 s0, 0
                                        ; implicit-def: $vgpr46_vgpr47
	s_branch .LBB12_2607
.LBB12_2592:
	s_mov_b32 s3, -1
	s_mov_b32 s2, 0
	s_mov_b32 s0, 0
                                        ; implicit-def: $vgpr46_vgpr47
	s_branch .LBB12_2602
.LBB12_2593:
	s_or_b32 s48, s48, exec_lo
	s_trap 2
	s_cbranch_execz .LBB12_2530
	s_branch .LBB12_2531
.LBB12_2594:
	s_mov_b32 s3, -1
	s_mov_b32 s2, 0
	s_mov_b32 s0, 0
	s_branch .LBB12_2596
.LBB12_2595:
	s_mov_b32 s0, -1
	s_mov_b32 s2, 0
.LBB12_2596:
                                        ; implicit-def: $vgpr46_vgpr47
.LBB12_2597:
	s_and_b32 vcc_lo, exec_lo, s3
	s_cbranch_vccz .LBB12_2601
; %bb.2598:
	s_cmp_eq_u32 s51, 44
	s_cbranch_scc0 .LBB12_2600
; %bb.2599:
	global_load_u8 v4, v[0:1], off
	s_mov_b32 s0, 0
	s_mov_b32 s2, -1
	s_wait_loadcnt 0x0
	v_cmp_ne_u32_e32 vcc_lo, 0xff, v4
	v_lshlrev_b32_e32 v2, 23, v4
	s_delay_alu instid0(VALU_DEP_1) | instskip(NEXT) | instid1(VALU_DEP_1)
	v_cvt_f64_f32_e32 v[2:3], v2
	v_cndmask_b32_e32 v2, 0x20000000, v2, vcc_lo
	s_delay_alu instid0(VALU_DEP_2) | instskip(SKIP_1) | instid1(VALU_DEP_2)
	v_cndmask_b32_e32 v3, 0x7ff80000, v3, vcc_lo
	v_cmp_ne_u32_e32 vcc_lo, 0, v4
	v_cndmask_b32_e32 v47, 0x38000000, v3, vcc_lo
	s_delay_alu instid0(VALU_DEP_4)
	v_cndmask_b32_e32 v46, 0, v2, vcc_lo
	s_branch .LBB12_2601
.LBB12_2600:
	s_mov_b32 s0, -1
                                        ; implicit-def: $vgpr46_vgpr47
.LBB12_2601:
	s_mov_b32 s3, 0
.LBB12_2602:
	s_delay_alu instid0(SALU_CYCLE_1)
	s_and_b32 vcc_lo, exec_lo, s3
	s_cbranch_vccz .LBB12_2606
; %bb.2603:
	s_cmp_eq_u32 s51, 29
	s_cbranch_scc0 .LBB12_2605
; %bb.2604:
	global_load_b64 v[2:3], v[0:1], off
	s_mov_b32 s0, 0
	s_mov_b32 s2, -1
	s_mov_b32 s3, 0
	s_wait_loadcnt 0x0
	v_cvt_f64_u32_e32 v[4:5], v3
	v_cvt_f64_u32_e32 v[2:3], v2
	s_delay_alu instid0(VALU_DEP_2) | instskip(NEXT) | instid1(VALU_DEP_1)
	v_ldexp_f64 v[4:5], v[4:5], 32
	v_add_f64_e32 v[46:47], v[4:5], v[2:3]
	s_branch .LBB12_2607
.LBB12_2605:
	s_mov_b32 s0, -1
                                        ; implicit-def: $vgpr46_vgpr47
.LBB12_2606:
	s_mov_b32 s3, 0
.LBB12_2607:
	s_delay_alu instid0(SALU_CYCLE_1)
	s_and_b32 vcc_lo, exec_lo, s3
	s_cbranch_vccz .LBB12_2625
; %bb.2608:
	s_cmp_lt_i32 s51, 27
	s_cbranch_scc1 .LBB12_2611
; %bb.2609:
	s_cmp_gt_i32 s51, 27
	s_cbranch_scc0 .LBB12_2612
; %bb.2610:
	global_load_b32 v2, v[0:1], off
	s_mov_b32 s2, 0
	s_wait_loadcnt 0x0
	v_cvt_f64_u32_e32 v[46:47], v2
	s_branch .LBB12_2613
.LBB12_2611:
	s_mov_b32 s2, -1
                                        ; implicit-def: $vgpr46_vgpr47
	s_branch .LBB12_2616
.LBB12_2612:
	s_mov_b32 s2, -1
                                        ; implicit-def: $vgpr46_vgpr47
.LBB12_2613:
	s_delay_alu instid0(SALU_CYCLE_1)
	s_and_not1_b32 vcc_lo, exec_lo, s2
	s_cbranch_vccnz .LBB12_2615
; %bb.2614:
	global_load_u16 v2, v[0:1], off
	s_wait_loadcnt 0x0
	v_cvt_f64_u32_e32 v[46:47], v2
.LBB12_2615:
	s_mov_b32 s2, 0
.LBB12_2616:
	s_delay_alu instid0(SALU_CYCLE_1)
	s_and_not1_b32 vcc_lo, exec_lo, s2
	s_cbranch_vccnz .LBB12_2624
; %bb.2617:
	global_load_u8 v2, v[0:1], off
	s_mov_b32 s2, 0
	s_mov_b32 s3, exec_lo
	s_wait_loadcnt 0x0
	v_cmpx_lt_i16_e32 0x7f, v2
	s_xor_b32 s3, exec_lo, s3
	s_cbranch_execz .LBB12_2638
; %bb.2618:
	s_mov_b32 s2, -1
	s_mov_b32 s4, exec_lo
	v_cmpx_eq_u16_e32 0x80, v2
; %bb.2619:
	s_xor_b32 s2, exec_lo, -1
; %bb.2620:
	s_or_b32 exec_lo, exec_lo, s4
	s_delay_alu instid0(SALU_CYCLE_1)
	s_and_b32 s2, s2, exec_lo
	s_or_saveexec_b32 s3, s3
	v_mov_b64_e32 v[46:47], 0x7ff8000020000000
	s_xor_b32 exec_lo, exec_lo, s3
	s_cbranch_execnz .LBB12_2639
.LBB12_2621:
	s_or_b32 exec_lo, exec_lo, s3
	s_and_saveexec_b32 s3, s2
	s_cbranch_execz .LBB12_2623
.LBB12_2622:
	v_and_b32_e32 v3, 0xffff, v2
	s_delay_alu instid0(VALU_DEP_1) | instskip(SKIP_1) | instid1(VALU_DEP_2)
	v_and_b32_e32 v4, 7, v3
	v_bfe_u32 v7, v3, 3, 4
	v_clz_i32_u32_e32 v5, v4
	s_delay_alu instid0(VALU_DEP_2) | instskip(NEXT) | instid1(VALU_DEP_2)
	v_cmp_eq_u32_e32 vcc_lo, 0, v7
	v_min_u32_e32 v5, 32, v5
	s_delay_alu instid0(VALU_DEP_1) | instskip(NEXT) | instid1(VALU_DEP_1)
	v_subrev_nc_u32_e32 v6, 28, v5
	v_dual_lshlrev_b32 v3, v6, v3 :: v_dual_sub_nc_u32 v5, 29, v5
	s_delay_alu instid0(VALU_DEP_1) | instskip(NEXT) | instid1(VALU_DEP_1)
	v_dual_lshlrev_b32 v2, 24, v2 :: v_dual_bitop2_b32 v3, 7, v3 bitop3:0x40
	v_dual_cndmask_b32 v5, v7, v5, vcc_lo :: v_dual_cndmask_b32 v3, v4, v3, vcc_lo
	s_delay_alu instid0(VALU_DEP_2) | instskip(NEXT) | instid1(VALU_DEP_2)
	v_and_b32_e32 v2, 0x80000000, v2
	v_lshl_add_u32 v4, v5, 23, 0x3b800000
	s_delay_alu instid0(VALU_DEP_3) | instskip(NEXT) | instid1(VALU_DEP_1)
	v_lshlrev_b32_e32 v3, 20, v3
	v_or3_b32 v2, v2, v4, v3
	s_delay_alu instid0(VALU_DEP_1)
	v_cvt_f64_f32_e32 v[46:47], v2
.LBB12_2623:
	s_or_b32 exec_lo, exec_lo, s3
.LBB12_2624:
	s_mov_b32 s2, -1
.LBB12_2625:
	s_mov_b32 s3, 0
.LBB12_2626:
	s_delay_alu instid0(SALU_CYCLE_1)
	s_and_b32 vcc_lo, exec_lo, s3
	s_cbranch_vccz .LBB12_2659
; %bb.2627:
	s_cmp_gt_i32 s51, 22
	s_cbranch_scc0 .LBB12_2637
; %bb.2628:
	s_cmp_lt_i32 s51, 24
	s_cbranch_scc1 .LBB12_2640
; %bb.2629:
	s_cmp_gt_i32 s51, 24
	s_cbranch_scc0 .LBB12_2641
; %bb.2630:
	global_load_u8 v2, v[0:1], off
	s_mov_b32 s2, exec_lo
	s_wait_loadcnt 0x0
	v_cmpx_lt_i16_e32 0x7f, v2
	s_xor_b32 s2, exec_lo, s2
	s_cbranch_execz .LBB12_2653
; %bb.2631:
	s_mov_b32 s1, -1
	s_mov_b32 s3, exec_lo
	v_cmpx_eq_u16_e32 0x80, v2
; %bb.2632:
	s_xor_b32 s1, exec_lo, -1
; %bb.2633:
	s_or_b32 exec_lo, exec_lo, s3
	s_delay_alu instid0(SALU_CYCLE_1)
	s_and_b32 s1, s1, exec_lo
	s_or_saveexec_b32 s2, s2
	v_mov_b64_e32 v[46:47], 0x7ff8000020000000
	s_xor_b32 exec_lo, exec_lo, s2
	s_cbranch_execnz .LBB12_2654
.LBB12_2634:
	s_or_b32 exec_lo, exec_lo, s2
	s_and_saveexec_b32 s2, s1
	s_cbranch_execz .LBB12_2636
.LBB12_2635:
	v_and_b32_e32 v3, 0xffff, v2
	s_delay_alu instid0(VALU_DEP_1) | instskip(SKIP_1) | instid1(VALU_DEP_2)
	v_and_b32_e32 v4, 3, v3
	v_bfe_u32 v7, v3, 2, 5
	v_clz_i32_u32_e32 v5, v4
	s_delay_alu instid0(VALU_DEP_2) | instskip(NEXT) | instid1(VALU_DEP_2)
	v_cmp_eq_u32_e32 vcc_lo, 0, v7
	v_min_u32_e32 v5, 32, v5
	s_delay_alu instid0(VALU_DEP_1) | instskip(NEXT) | instid1(VALU_DEP_1)
	v_subrev_nc_u32_e32 v6, 29, v5
	v_dual_lshlrev_b32 v3, v6, v3 :: v_dual_sub_nc_u32 v5, 30, v5
	s_delay_alu instid0(VALU_DEP_1) | instskip(NEXT) | instid1(VALU_DEP_1)
	v_dual_lshlrev_b32 v2, 24, v2 :: v_dual_bitop2_b32 v3, 3, v3 bitop3:0x40
	v_dual_cndmask_b32 v5, v7, v5, vcc_lo :: v_dual_cndmask_b32 v3, v4, v3, vcc_lo
	s_delay_alu instid0(VALU_DEP_2) | instskip(NEXT) | instid1(VALU_DEP_2)
	v_and_b32_e32 v2, 0x80000000, v2
	v_lshl_add_u32 v4, v5, 23, 0x37800000
	s_delay_alu instid0(VALU_DEP_3) | instskip(NEXT) | instid1(VALU_DEP_1)
	v_lshlrev_b32_e32 v3, 21, v3
	v_or3_b32 v2, v2, v4, v3
	s_delay_alu instid0(VALU_DEP_1)
	v_cvt_f64_f32_e32 v[46:47], v2
.LBB12_2636:
	s_or_b32 exec_lo, exec_lo, s2
	s_mov_b32 s1, 0
	s_branch .LBB12_2642
.LBB12_2637:
	s_mov_b32 s1, -1
                                        ; implicit-def: $vgpr46_vgpr47
	s_branch .LBB12_2648
.LBB12_2638:
	s_or_saveexec_b32 s3, s3
	v_mov_b64_e32 v[46:47], 0x7ff8000020000000
	s_xor_b32 exec_lo, exec_lo, s3
	s_cbranch_execz .LBB12_2621
.LBB12_2639:
	v_cmp_ne_u16_e32 vcc_lo, 0, v2
	v_mov_b64_e32 v[46:47], 0
	s_and_not1_b32 s2, s2, exec_lo
	s_and_b32 s4, vcc_lo, exec_lo
	s_delay_alu instid0(SALU_CYCLE_1)
	s_or_b32 s2, s2, s4
	s_or_b32 exec_lo, exec_lo, s3
	s_and_saveexec_b32 s3, s2
	s_cbranch_execnz .LBB12_2622
	s_branch .LBB12_2623
.LBB12_2640:
	s_mov_b32 s1, -1
                                        ; implicit-def: $vgpr46_vgpr47
	s_branch .LBB12_2645
.LBB12_2641:
	s_mov_b32 s1, -1
                                        ; implicit-def: $vgpr46_vgpr47
.LBB12_2642:
	s_delay_alu instid0(SALU_CYCLE_1)
	s_and_b32 vcc_lo, exec_lo, s1
	s_cbranch_vccz .LBB12_2644
; %bb.2643:
	global_load_u8 v2, v[0:1], off
	s_wait_loadcnt 0x0
	v_lshlrev_b32_e32 v2, 24, v2
	s_delay_alu instid0(VALU_DEP_1) | instskip(NEXT) | instid1(VALU_DEP_1)
	v_and_b32_e32 v3, 0x7f000000, v2
	v_clz_i32_u32_e32 v4, v3
	v_cmp_ne_u32_e32 vcc_lo, 0, v3
	v_add_nc_u32_e32 v6, 0x1000000, v3
	s_delay_alu instid0(VALU_DEP_3) | instskip(NEXT) | instid1(VALU_DEP_1)
	v_min_u32_e32 v4, 32, v4
	v_sub_nc_u32_e64 v4, v4, 4 clamp
	s_delay_alu instid0(VALU_DEP_1) | instskip(NEXT) | instid1(VALU_DEP_1)
	v_dual_lshlrev_b32 v5, v4, v3 :: v_dual_lshlrev_b32 v4, 23, v4
	v_lshrrev_b32_e32 v5, 4, v5
	s_delay_alu instid0(VALU_DEP_1) | instskip(NEXT) | instid1(VALU_DEP_1)
	v_dual_sub_nc_u32 v4, v5, v4 :: v_dual_ashrrev_i32 v5, 8, v6
	v_add_nc_u32_e32 v4, 0x3c000000, v4
	s_delay_alu instid0(VALU_DEP_1) | instskip(NEXT) | instid1(VALU_DEP_1)
	v_and_or_b32 v4, 0x7f800000, v5, v4
	v_cndmask_b32_e32 v3, 0, v4, vcc_lo
	s_delay_alu instid0(VALU_DEP_1) | instskip(NEXT) | instid1(VALU_DEP_1)
	v_and_or_b32 v2, 0x80000000, v2, v3
	v_cvt_f64_f32_e32 v[46:47], v2
.LBB12_2644:
	s_mov_b32 s1, 0
.LBB12_2645:
	s_delay_alu instid0(SALU_CYCLE_1)
	s_and_not1_b32 vcc_lo, exec_lo, s1
	s_cbranch_vccnz .LBB12_2647
; %bb.2646:
	global_load_u8 v2, v[0:1], off
	s_wait_loadcnt 0x0
	v_lshlrev_b32_e32 v3, 25, v2
	v_lshlrev_b16 v2, 8, v2
	s_delay_alu instid0(VALU_DEP_1) | instskip(SKIP_1) | instid1(VALU_DEP_2)
	v_and_or_b32 v5, 0x7f00, v2, 0.5
	v_bfe_i32 v2, v2, 0, 16
	v_dual_add_f32 v5, -0.5, v5 :: v_dual_lshrrev_b32 v4, 4, v3
	v_cmp_gt_u32_e32 vcc_lo, 0x8000000, v3
	s_delay_alu instid0(VALU_DEP_2) | instskip(NEXT) | instid1(VALU_DEP_1)
	v_or_b32_e32 v4, 0x70000000, v4
	v_mul_f32_e32 v4, 0x7800000, v4
	s_delay_alu instid0(VALU_DEP_1) | instskip(NEXT) | instid1(VALU_DEP_1)
	v_cndmask_b32_e32 v3, v4, v5, vcc_lo
	v_and_or_b32 v2, 0x80000000, v2, v3
	s_delay_alu instid0(VALU_DEP_1)
	v_cvt_f64_f32_e32 v[46:47], v2
.LBB12_2647:
	s_mov_b32 s1, 0
	s_mov_b32 s2, -1
.LBB12_2648:
	s_and_not1_b32 vcc_lo, exec_lo, s1
	s_mov_b32 s1, 0
	s_cbranch_vccnz .LBB12_2659
; %bb.2649:
	s_cmp_gt_i32 s51, 14
	s_cbranch_scc0 .LBB12_2652
; %bb.2650:
	s_cmp_eq_u32 s51, 15
	s_cbranch_scc0 .LBB12_2655
; %bb.2651:
	global_load_u16 v2, v[0:1], off
	s_mov_b32 s0, 0
	s_mov_b32 s2, -1
	s_wait_loadcnt 0x0
	v_lshlrev_b32_e32 v2, 16, v2
	s_delay_alu instid0(VALU_DEP_1)
	v_cvt_f64_f32_e32 v[46:47], v2
	s_branch .LBB12_2657
.LBB12_2652:
	s_mov_b32 s1, -1
	s_branch .LBB12_2656
.LBB12_2653:
	s_or_saveexec_b32 s2, s2
	v_mov_b64_e32 v[46:47], 0x7ff8000020000000
	s_xor_b32 exec_lo, exec_lo, s2
	s_cbranch_execz .LBB12_2634
.LBB12_2654:
	v_cmp_ne_u16_e32 vcc_lo, 0, v2
	v_mov_b64_e32 v[46:47], 0
	s_and_not1_b32 s1, s1, exec_lo
	s_and_b32 s3, vcc_lo, exec_lo
	s_delay_alu instid0(SALU_CYCLE_1)
	s_or_b32 s1, s1, s3
	s_or_b32 exec_lo, exec_lo, s2
	s_and_saveexec_b32 s2, s1
	s_cbranch_execnz .LBB12_2635
	s_branch .LBB12_2636
.LBB12_2655:
	s_mov_b32 s0, -1
.LBB12_2656:
                                        ; implicit-def: $vgpr46_vgpr47
.LBB12_2657:
	s_and_b32 vcc_lo, exec_lo, s1
	s_mov_b32 s1, 0
	s_cbranch_vccz .LBB12_2659
; %bb.2658:
	s_cmp_lg_u32 s51, 11
	s_mov_b32 s1, -1
	s_cselect_b32 s0, -1, 0
.LBB12_2659:
	s_delay_alu instid0(SALU_CYCLE_1)
	s_and_b32 vcc_lo, exec_lo, s0
	s_cbranch_vccnz .LBB12_3198
; %bb.2660:
	s_and_not1_b32 vcc_lo, exec_lo, s1
	s_cbranch_vccnz .LBB12_2662
.LBB12_2661:
	global_load_u8 v2, v[0:1], off
	s_wait_loadcnt 0x1
	v_mov_b32_e32 v46, 0
	s_mov_b32 s2, -1
	s_wait_loadcnt 0x0
	v_cmp_ne_u16_e32 vcc_lo, 0, v2
	v_cndmask_b32_e64 v47, 0, 0x3ff00000, vcc_lo
.LBB12_2662:
	s_mov_b32 s0, 0
.LBB12_2663:
	s_delay_alu instid0(SALU_CYCLE_1)
	s_and_b32 vcc_lo, exec_lo, s0
	s_cbranch_vccz .LBB12_2712
; %bb.2664:
	s_cmp_lt_i32 s51, 5
	s_cbranch_scc1 .LBB12_2669
; %bb.2665:
	s_cmp_lt_i32 s51, 8
	s_cbranch_scc1 .LBB12_2670
	;; [unrolled: 3-line block ×3, first 2 shown]
; %bb.2667:
	s_cmp_gt_i32 s51, 9
	s_cbranch_scc0 .LBB12_2672
; %bb.2668:
	s_wait_loadcnt 0x0
	global_load_b64 v[46:47], v[0:1], off
	s_mov_b32 s0, 0
	s_branch .LBB12_2673
.LBB12_2669:
	s_mov_b32 s0, -1
                                        ; implicit-def: $vgpr46_vgpr47
	s_branch .LBB12_2691
.LBB12_2670:
	s_mov_b32 s0, -1
                                        ; implicit-def: $vgpr46_vgpr47
	s_branch .LBB12_2679
.LBB12_2671:
	s_mov_b32 s0, -1
                                        ; implicit-def: $vgpr46_vgpr47
	s_branch .LBB12_2676
.LBB12_2672:
	s_mov_b32 s0, -1
                                        ; implicit-def: $vgpr46_vgpr47
.LBB12_2673:
	s_delay_alu instid0(SALU_CYCLE_1)
	s_and_not1_b32 vcc_lo, exec_lo, s0
	s_cbranch_vccnz .LBB12_2675
; %bb.2674:
	global_load_b32 v2, v[0:1], off
	s_wait_loadcnt 0x0
	v_cvt_f64_f32_e32 v[46:47], v2
.LBB12_2675:
	s_mov_b32 s0, 0
.LBB12_2676:
	s_delay_alu instid0(SALU_CYCLE_1)
	s_and_not1_b32 vcc_lo, exec_lo, s0
	s_cbranch_vccnz .LBB12_2678
; %bb.2677:
	global_load_b32 v2, v[0:1], off
	s_wait_loadcnt 0x0
	v_cvt_f32_f16_e32 v2, v2
	s_delay_alu instid0(VALU_DEP_1)
	v_cvt_f64_f32_e32 v[46:47], v2
.LBB12_2678:
	s_mov_b32 s0, 0
.LBB12_2679:
	s_delay_alu instid0(SALU_CYCLE_1)
	s_and_not1_b32 vcc_lo, exec_lo, s0
	s_cbranch_vccnz .LBB12_2690
; %bb.2680:
	s_cmp_lt_i32 s51, 6
	s_cbranch_scc1 .LBB12_2683
; %bb.2681:
	s_cmp_gt_i32 s51, 6
	s_cbranch_scc0 .LBB12_2684
; %bb.2682:
	s_wait_loadcnt 0x0
	global_load_b64 v[46:47], v[0:1], off
	s_mov_b32 s0, 0
	s_branch .LBB12_2685
.LBB12_2683:
	s_mov_b32 s0, -1
                                        ; implicit-def: $vgpr46_vgpr47
	s_branch .LBB12_2688
.LBB12_2684:
	s_mov_b32 s0, -1
                                        ; implicit-def: $vgpr46_vgpr47
.LBB12_2685:
	s_delay_alu instid0(SALU_CYCLE_1)
	s_and_not1_b32 vcc_lo, exec_lo, s0
	s_cbranch_vccnz .LBB12_2687
; %bb.2686:
	global_load_b32 v2, v[0:1], off
	s_wait_loadcnt 0x0
	v_cvt_f64_f32_e32 v[46:47], v2
.LBB12_2687:
	s_mov_b32 s0, 0
.LBB12_2688:
	s_delay_alu instid0(SALU_CYCLE_1)
	s_and_not1_b32 vcc_lo, exec_lo, s0
	s_cbranch_vccnz .LBB12_2690
; %bb.2689:
	global_load_u16 v2, v[0:1], off
	s_wait_loadcnt 0x0
	v_cvt_f32_f16_e32 v2, v2
	s_delay_alu instid0(VALU_DEP_1)
	v_cvt_f64_f32_e32 v[46:47], v2
.LBB12_2690:
	s_mov_b32 s0, 0
.LBB12_2691:
	s_delay_alu instid0(SALU_CYCLE_1)
	s_and_not1_b32 vcc_lo, exec_lo, s0
	s_cbranch_vccnz .LBB12_2711
; %bb.2692:
	s_cmp_lt_i32 s51, 2
	s_cbranch_scc1 .LBB12_2696
; %bb.2693:
	s_cmp_lt_i32 s51, 3
	s_cbranch_scc1 .LBB12_2697
; %bb.2694:
	s_cmp_gt_i32 s51, 3
	s_cbranch_scc0 .LBB12_2698
; %bb.2695:
	global_load_b64 v[2:3], v[0:1], off
	s_mov_b32 s0, 0
	s_wait_loadcnt 0x0
	v_cvt_f64_i32_e32 v[4:5], v3
	v_cvt_f64_u32_e32 v[2:3], v2
	s_delay_alu instid0(VALU_DEP_2) | instskip(NEXT) | instid1(VALU_DEP_1)
	v_ldexp_f64 v[4:5], v[4:5], 32
	v_add_f64_e32 v[46:47], v[4:5], v[2:3]
	s_branch .LBB12_2699
.LBB12_2696:
	s_mov_b32 s0, -1
                                        ; implicit-def: $vgpr46_vgpr47
	s_branch .LBB12_2705
.LBB12_2697:
	s_mov_b32 s0, -1
                                        ; implicit-def: $vgpr46_vgpr47
	s_branch .LBB12_2702
.LBB12_2698:
	s_mov_b32 s0, -1
                                        ; implicit-def: $vgpr46_vgpr47
.LBB12_2699:
	s_delay_alu instid0(SALU_CYCLE_1)
	s_and_not1_b32 vcc_lo, exec_lo, s0
	s_cbranch_vccnz .LBB12_2701
; %bb.2700:
	global_load_b32 v2, v[0:1], off
	s_wait_loadcnt 0x0
	v_cvt_f64_i32_e32 v[46:47], v2
.LBB12_2701:
	s_mov_b32 s0, 0
.LBB12_2702:
	s_delay_alu instid0(SALU_CYCLE_1)
	s_and_not1_b32 vcc_lo, exec_lo, s0
	s_cbranch_vccnz .LBB12_2704
; %bb.2703:
	global_load_i16 v2, v[0:1], off
	s_wait_loadcnt 0x0
	v_cvt_f64_i32_e32 v[46:47], v2
.LBB12_2704:
	s_mov_b32 s0, 0
.LBB12_2705:
	s_delay_alu instid0(SALU_CYCLE_1)
	s_and_not1_b32 vcc_lo, exec_lo, s0
	s_cbranch_vccnz .LBB12_2711
; %bb.2706:
	s_cmp_gt_i32 s51, 0
	s_mov_b32 s0, 0
	s_cbranch_scc0 .LBB12_2708
; %bb.2707:
	global_load_i8 v2, v[0:1], off
	s_wait_loadcnt 0x0
	v_cvt_f64_i32_e32 v[46:47], v2
	s_branch .LBB12_2709
.LBB12_2708:
	s_mov_b32 s0, -1
                                        ; implicit-def: $vgpr46_vgpr47
.LBB12_2709:
	s_delay_alu instid0(SALU_CYCLE_1)
	s_and_not1_b32 vcc_lo, exec_lo, s0
	s_cbranch_vccnz .LBB12_2711
; %bb.2710:
	global_load_u8 v0, v[0:1], off
	s_wait_loadcnt 0x0
	v_cvt_f64_u32_e32 v[46:47], v0
.LBB12_2711:
	s_mov_b32 s2, -1
.LBB12_2712:
	s_delay_alu instid0(SALU_CYCLE_1)
	s_and_not1_b32 vcc_lo, exec_lo, s2
	s_cbranch_vccnz .LBB12_2715
; %bb.2713:
	s_and_b32 vcc_lo, exec_lo, s49
	s_cbranch_vccz .LBB12_2760
; %bb.2714:
	s_wait_loadcnt 0x0
	s_delay_alu instid0(VALU_DEP_3) | instskip(NEXT) | instid1(VALU_DEP_2)
	v_dual_mov_b32 v0, v44 :: v_dual_mov_b32 v1, v45
	v_dual_mov_b32 v2, v46 :: v_dual_mov_b32 v3, v47
	s_get_pc_i64 s[0:1]
	s_add_nc_u64 s[0:1], s[0:1], _ZN12_GLOBAL__N_111calc_igammaIdEET_S1_S1_@rel64+4
	s_delay_alu instid0(SALU_CYCLE_1)
	s_swap_pc_i64 s[30:31], s[0:1]
	s_mov_b32 s0, 0
	s_branch .LBB12_2761
.LBB12_2715:
	s_mov_b32 s0, 0
	s_mov_b32 s3, 0
                                        ; implicit-def: $vgpr4_vgpr5
                                        ; implicit-def: $sgpr1
                                        ; implicit-def: $vgpr0_vgpr1
.LBB12_2716:
	s_and_not1_b32 s2, s46, exec_lo
	s_and_b32 s4, s48, exec_lo
	s_and_b32 s0, s0, exec_lo
	;; [unrolled: 1-line block ×3, first 2 shown]
	s_or_b32 s46, s2, s4
.LBB12_2717:
	s_wait_xcnt 0x0
	s_or_b32 exec_lo, exec_lo, s47
	s_and_saveexec_b32 s2, s46
	s_cbranch_execz .LBB12_2720
; %bb.2718:
	; divergent unreachable
	s_or_b32 exec_lo, exec_lo, s2
	s_and_saveexec_b32 s2, s64
	s_delay_alu instid0(SALU_CYCLE_1)
	s_xor_b32 s2, exec_lo, s2
	s_cbranch_execnz .LBB12_2721
.LBB12_2719:
	s_or_b32 exec_lo, exec_lo, s2
	s_and_saveexec_b32 s2, s0
	s_cbranch_execnz .LBB12_2722
	s_branch .LBB12_2759
.LBB12_2720:
	s_or_b32 exec_lo, exec_lo, s2
	s_and_saveexec_b32 s2, s64
	s_delay_alu instid0(SALU_CYCLE_1)
	s_xor_b32 s2, exec_lo, s2
	s_cbranch_execz .LBB12_2719
.LBB12_2721:
	v_cmp_neq_f64_e32 vcc_lo, 0, v[0:1]
	v_cndmask_b32_e64 v2, 0, 1, vcc_lo
	global_store_b8 v[4:5], v2, off
	s_wait_xcnt 0x0
	s_or_b32 exec_lo, exec_lo, s2
	s_and_saveexec_b32 s2, s0
	s_cbranch_execz .LBB12_2759
.LBB12_2722:
	s_sext_i32_i16 s2, s1
	s_mov_b32 s0, -1
	s_cmp_lt_i32 s2, 5
	s_cbranch_scc1 .LBB12_2743
; %bb.2723:
	s_cmp_lt_i32 s2, 8
	s_cbranch_scc1 .LBB12_2733
; %bb.2724:
	;; [unrolled: 3-line block ×3, first 2 shown]
	s_cmp_gt_i32 s2, 9
	s_cbranch_scc0 .LBB12_2727
; %bb.2726:
	v_mov_b32_e32 v2, 0
	s_mov_b32 s0, 0
	s_delay_alu instid0(VALU_DEP_1)
	v_mov_b32_e32 v3, v2
	global_store_b128 v[4:5], v[0:3], off
.LBB12_2727:
	s_and_not1_b32 vcc_lo, exec_lo, s0
	s_cbranch_vccnz .LBB12_2729
; %bb.2728:
	s_wait_xcnt 0x0
	v_cvt_f32_f64_e32 v2, v[0:1]
	v_mov_b32_e32 v3, 0
	global_store_b64 v[4:5], v[2:3], off
.LBB12_2729:
	s_mov_b32 s0, 0
.LBB12_2730:
	s_delay_alu instid0(SALU_CYCLE_1)
	s_and_not1_b32 vcc_lo, exec_lo, s0
	s_cbranch_vccnz .LBB12_2732
; %bb.2731:
	s_wait_xcnt 0x0
	v_and_or_b32 v2, 0x1ff, v1, v0
	v_lshrrev_b32_e32 v3, 8, v1
	v_bfe_u32 v6, v1, 20, 11
	s_delay_alu instid0(VALU_DEP_3) | instskip(NEXT) | instid1(VALU_DEP_2)
	v_cmp_ne_u32_e32 vcc_lo, 0, v2
	v_sub_nc_u32_e32 v7, 0x3f1, v6
	v_cndmask_b32_e64 v2, 0, 1, vcc_lo
	s_delay_alu instid0(VALU_DEP_1) | instskip(NEXT) | instid1(VALU_DEP_3)
	v_and_or_b32 v2, 0xffe, v3, v2
	v_med3_i32 v3, v7, 0, 13
	s_delay_alu instid0(VALU_DEP_2) | instskip(NEXT) | instid1(VALU_DEP_1)
	v_or_b32_e32 v7, 0x1000, v2
	v_lshrrev_b32_e32 v8, v3, v7
	s_delay_alu instid0(VALU_DEP_1) | instskip(NEXT) | instid1(VALU_DEP_1)
	v_lshlrev_b32_e32 v3, v3, v8
	v_cmp_ne_u32_e32 vcc_lo, v3, v7
	v_cndmask_b32_e64 v3, 0, 1, vcc_lo
	s_delay_alu instid0(VALU_DEP_1) | instskip(SKIP_1) | instid1(VALU_DEP_1)
	v_or_b32_e32 v3, v8, v3
	v_add_nc_u32_e32 v6, 0xfffffc10, v6
	v_lshl_or_b32 v7, v6, 12, v2
	v_cmp_gt_i32_e32 vcc_lo, 1, v6
	s_delay_alu instid0(VALU_DEP_2) | instskip(NEXT) | instid1(VALU_DEP_1)
	v_cndmask_b32_e32 v3, v7, v3, vcc_lo
	v_dual_lshrrev_b32 v3, 2, v3 :: v_dual_bitop2_b32 v7, 7, v3 bitop3:0x40
	s_delay_alu instid0(VALU_DEP_1) | instskip(SKIP_4) | instid1(VALU_DEP_2)
	v_cmp_lt_i32_e32 vcc_lo, 5, v7
	v_cndmask_b32_e64 v8, 0, 1, vcc_lo
	v_cmp_eq_u32_e32 vcc_lo, 3, v7
	v_cndmask_b32_e64 v7, 0, 1, vcc_lo
	v_cmp_ne_u32_e32 vcc_lo, 0, v2
	v_or_b32_e32 v7, v7, v8
	s_delay_alu instid0(VALU_DEP_1) | instskip(NEXT) | instid1(VALU_DEP_1)
	v_dual_mov_b32 v8, 0x7e00 :: v_dual_add_nc_u32 v3, v3, v7
	v_cndmask_b32_e32 v2, 0x7c00, v8, vcc_lo
	v_cmp_gt_i32_e32 vcc_lo, 31, v6
	v_lshrrev_b32_e32 v7, 16, v1
	s_delay_alu instid0(VALU_DEP_4) | instskip(SKIP_1) | instid1(VALU_DEP_2)
	v_cndmask_b32_e32 v3, 0x7c00, v3, vcc_lo
	v_cmp_eq_u32_e32 vcc_lo, 0x40f, v6
	v_cndmask_b32_e32 v2, v3, v2, vcc_lo
	s_delay_alu instid0(VALU_DEP_4) | instskip(NEXT) | instid1(VALU_DEP_1)
	v_and_b32_e32 v3, 0x8000, v7
	v_bitop3_b32 v2, v3, 0xffff, v2 bitop3:0xc8
	global_store_b32 v[4:5], v2, off
.LBB12_2732:
	s_mov_b32 s0, 0
.LBB12_2733:
	s_delay_alu instid0(SALU_CYCLE_1)
	s_and_not1_b32 vcc_lo, exec_lo, s0
	s_cbranch_vccnz .LBB12_2742
; %bb.2734:
	s_sext_i32_i16 s2, s1
	s_mov_b32 s0, -1
	s_cmp_lt_i32 s2, 6
	s_cbranch_scc1 .LBB12_2740
; %bb.2735:
	s_cmp_gt_i32 s2, 6
	s_cbranch_scc0 .LBB12_2737
; %bb.2736:
	s_mov_b32 s0, 0
	global_store_b64 v[4:5], v[0:1], off
.LBB12_2737:
	s_and_not1_b32 vcc_lo, exec_lo, s0
	s_cbranch_vccnz .LBB12_2739
; %bb.2738:
	s_wait_xcnt 0x0
	v_cvt_f32_f64_e32 v2, v[0:1]
	global_store_b32 v[4:5], v2, off
.LBB12_2739:
	s_mov_b32 s0, 0
.LBB12_2740:
	s_delay_alu instid0(SALU_CYCLE_1)
	s_and_not1_b32 vcc_lo, exec_lo, s0
	s_cbranch_vccnz .LBB12_2742
; %bb.2741:
	s_wait_xcnt 0x0
	v_and_or_b32 v2, 0x1ff, v1, v0
	v_lshrrev_b32_e32 v3, 8, v1
	v_bfe_u32 v6, v1, 20, 11
	s_delay_alu instid0(VALU_DEP_3) | instskip(NEXT) | instid1(VALU_DEP_2)
	v_cmp_ne_u32_e32 vcc_lo, 0, v2
	v_sub_nc_u32_e32 v7, 0x3f1, v6
	v_cndmask_b32_e64 v2, 0, 1, vcc_lo
	s_delay_alu instid0(VALU_DEP_1) | instskip(NEXT) | instid1(VALU_DEP_3)
	v_and_or_b32 v2, 0xffe, v3, v2
	v_med3_i32 v3, v7, 0, 13
	s_delay_alu instid0(VALU_DEP_2) | instskip(NEXT) | instid1(VALU_DEP_1)
	v_or_b32_e32 v7, 0x1000, v2
	v_lshrrev_b32_e32 v8, v3, v7
	s_delay_alu instid0(VALU_DEP_1) | instskip(NEXT) | instid1(VALU_DEP_1)
	v_lshlrev_b32_e32 v3, v3, v8
	v_cmp_ne_u32_e32 vcc_lo, v3, v7
	v_cndmask_b32_e64 v3, 0, 1, vcc_lo
	s_delay_alu instid0(VALU_DEP_1) | instskip(SKIP_1) | instid1(VALU_DEP_1)
	v_or_b32_e32 v3, v8, v3
	v_add_nc_u32_e32 v6, 0xfffffc10, v6
	v_lshl_or_b32 v7, v6, 12, v2
	v_cmp_gt_i32_e32 vcc_lo, 1, v6
	s_delay_alu instid0(VALU_DEP_2) | instskip(NEXT) | instid1(VALU_DEP_1)
	v_cndmask_b32_e32 v3, v7, v3, vcc_lo
	v_dual_lshrrev_b32 v3, 2, v3 :: v_dual_bitop2_b32 v7, 7, v3 bitop3:0x40
	s_delay_alu instid0(VALU_DEP_1) | instskip(SKIP_4) | instid1(VALU_DEP_2)
	v_cmp_lt_i32_e32 vcc_lo, 5, v7
	v_cndmask_b32_e64 v8, 0, 1, vcc_lo
	v_cmp_eq_u32_e32 vcc_lo, 3, v7
	v_cndmask_b32_e64 v7, 0, 1, vcc_lo
	v_cmp_ne_u32_e32 vcc_lo, 0, v2
	v_or_b32_e32 v7, v7, v8
	s_delay_alu instid0(VALU_DEP_1) | instskip(NEXT) | instid1(VALU_DEP_1)
	v_dual_mov_b32 v8, 0x7e00 :: v_dual_add_nc_u32 v3, v3, v7
	v_cndmask_b32_e32 v2, 0x7c00, v8, vcc_lo
	v_cmp_gt_i32_e32 vcc_lo, 31, v6
	s_delay_alu instid0(VALU_DEP_3) | instskip(SKIP_1) | instid1(VALU_DEP_2)
	v_cndmask_b32_e32 v3, 0x7c00, v3, vcc_lo
	v_cmp_eq_u32_e32 vcc_lo, 0x40f, v6
	v_dual_cndmask_b32 v2, v3, v2 :: v_dual_lshrrev_b32 v3, 16, v1
	s_delay_alu instid0(VALU_DEP_1)
	v_and_or_b32 v2, 0x8000, v3, v2
	global_store_b16 v[4:5], v2, off
.LBB12_2742:
	s_mov_b32 s0, 0
.LBB12_2743:
	s_delay_alu instid0(SALU_CYCLE_1)
	s_and_not1_b32 vcc_lo, exec_lo, s0
	s_cbranch_vccnz .LBB12_2759
; %bb.2744:
	s_sext_i32_i16 s2, s1
	s_mov_b32 s0, -1
	s_cmp_lt_i32 s2, 2
	s_cbranch_scc1 .LBB12_2754
; %bb.2745:
	s_cmp_lt_i32 s2, 3
	s_cbranch_scc1 .LBB12_2751
; %bb.2746:
	s_cmp_gt_i32 s2, 3
	s_cbranch_scc0 .LBB12_2748
; %bb.2747:
	s_wait_xcnt 0x0
	v_trunc_f64_e32 v[2:3], v[0:1]
	s_mov_b32 s0, 0
	s_delay_alu instid0(VALU_DEP_1) | instskip(NEXT) | instid1(VALU_DEP_1)
	v_ldexp_f64 v[6:7], v[2:3], 0xffffffe0
	v_floor_f64_e32 v[6:7], v[6:7]
	s_delay_alu instid0(VALU_DEP_1) | instskip(SKIP_1) | instid1(VALU_DEP_2)
	v_fmamk_f64 v[2:3], v[6:7], 0xc1f00000, v[2:3]
	v_cvt_i32_f64_e32 v7, v[6:7]
	v_cvt_u32_f64_e32 v6, v[2:3]
	global_store_b64 v[4:5], v[6:7], off
.LBB12_2748:
	s_and_not1_b32 vcc_lo, exec_lo, s0
	s_cbranch_vccnz .LBB12_2750
; %bb.2749:
	s_wait_xcnt 0x0
	v_cvt_i32_f64_e32 v2, v[0:1]
	global_store_b32 v[4:5], v2, off
.LBB12_2750:
	s_mov_b32 s0, 0
.LBB12_2751:
	s_delay_alu instid0(SALU_CYCLE_1)
	s_and_not1_b32 vcc_lo, exec_lo, s0
	s_cbranch_vccnz .LBB12_2753
; %bb.2752:
	s_wait_xcnt 0x0
	v_cvt_i32_f64_e32 v2, v[0:1]
	global_store_b16 v[4:5], v2, off
.LBB12_2753:
	s_mov_b32 s0, 0
.LBB12_2754:
	s_delay_alu instid0(SALU_CYCLE_1)
	s_and_not1_b32 vcc_lo, exec_lo, s0
	s_cbranch_vccnz .LBB12_2759
; %bb.2755:
	s_sext_i32_i16 s0, s1
	s_delay_alu instid0(SALU_CYCLE_1)
	s_cmp_gt_i32 s0, 0
	s_mov_b32 s0, -1
	s_cbranch_scc0 .LBB12_2757
; %bb.2756:
	s_wait_xcnt 0x0
	v_cvt_i32_f64_e32 v2, v[0:1]
	s_mov_b32 s0, 0
	global_store_b8 v[4:5], v2, off
.LBB12_2757:
	s_and_not1_b32 vcc_lo, exec_lo, s0
	s_cbranch_vccnz .LBB12_2759
; %bb.2758:
	s_wait_xcnt 0x0
	v_trunc_f64_e32 v[0:1], v[0:1]
	s_delay_alu instid0(VALU_DEP_1) | instskip(NEXT) | instid1(VALU_DEP_1)
	v_ldexp_f64 v[2:3], v[0:1], 0xffffffe0
	v_floor_f64_e32 v[2:3], v[2:3]
	s_delay_alu instid0(VALU_DEP_1) | instskip(NEXT) | instid1(VALU_DEP_1)
	v_fmamk_f64 v[0:1], v[2:3], 0xc1f00000, v[0:1]
	v_cvt_u32_f64_e32 v0, v[0:1]
	global_store_b8 v[4:5], v0, off
	s_endpgm
.LBB12_2759:
	s_endpgm
.LBB12_2760:
	s_mov_b32 s0, -1
                                        ; implicit-def: $vgpr0_vgpr1
.LBB12_2761:
	s_delay_alu instid0(SALU_CYCLE_1)
	s_and_not1_b32 vcc_lo, exec_lo, s0
	s_cbranch_vccnz .LBB12_2763
; %bb.2762:
	s_wait_loadcnt 0x0
	s_delay_alu instid0(VALU_DEP_3) | instskip(NEXT) | instid1(VALU_DEP_2)
	v_dual_mov_b32 v0, v44 :: v_dual_mov_b32 v1, v45
	v_dual_mov_b32 v2, v46 :: v_dual_mov_b32 v3, v47
	s_get_pc_i64 s[0:1]
	s_add_nc_u64 s[0:1], s[0:1], _ZN12_GLOBAL__N_112calc_igammacIdEET_S1_S1_@rel64+4
	s_delay_alu instid0(SALU_CYCLE_1)
	s_swap_pc_i64 s[30:31], s[0:1]
.LBB12_2763:
	v_mov_b32_e32 v75, 0
	global_load_u8 v4, v75, s[34:35] offset:417
	s_wait_loadcnt 0x0
	v_and_b32_e32 v2, 0xffff, v4
	v_readfirstlane_b32 s1, v4
	s_delay_alu instid0(VALU_DEP_2)
	v_cmp_gt_i32_e32 vcc_lo, 11, v2
	v_add_nc_u64_e32 v[2:3], s[36:37], v[74:75]
	s_cbranch_vccnz .LBB12_2841
; %bb.2764:
	s_and_b32 s2, 0xffff, s1
	s_mov_b32 s5, -1
	s_mov_b32 s3, 0
	s_cmp_gt_i32 s2, 25
	s_mov_b32 s4, 0
	s_mov_b32 s0, 0
	s_cbranch_scc0 .LBB12_2797
; %bb.2765:
	s_cmp_gt_i32 s2, 28
	s_cbranch_scc0 .LBB12_2780
; %bb.2766:
	s_cmp_gt_i32 s2, 43
	s_cbranch_scc0 .LBB12_2776
; %bb.2767:
	s_cmp_gt_i32 s2, 45
	s_cbranch_scc0 .LBB12_2770
; %bb.2768:
	s_mov_b32 s0, -1
	s_mov_b32 s5, 0
	s_cmp_eq_u32 s2, 46
	s_cbranch_scc0 .LBB12_2770
; %bb.2769:
	v_cvt_f32_f64_e32 v4, v[42:43]
	s_mov_b32 s0, 0
	s_mov_b32 s4, -1
	s_delay_alu instid0(VALU_DEP_1) | instskip(SKIP_1) | instid1(VALU_DEP_2)
	v_bfe_u32 v5, v4, 16, 1
	v_cmp_o_f32_e32 vcc_lo, v4, v4
	v_add3_u32 v5, v4, v5, 0x7fff
	s_delay_alu instid0(VALU_DEP_1) | instskip(NEXT) | instid1(VALU_DEP_1)
	v_lshrrev_b32_e32 v5, 16, v5
	v_cndmask_b32_e32 v4, 0x7fc0, v5, vcc_lo
	global_store_b32 v[2:3], v4, off
.LBB12_2770:
	s_and_b32 vcc_lo, exec_lo, s5
	s_cbranch_vccz .LBB12_2775
; %bb.2771:
	s_cmp_eq_u32 s2, 44
	s_mov_b32 s0, -1
	s_cbranch_scc0 .LBB12_2775
; %bb.2772:
	s_wait_xcnt 0x0
	v_cvt_f32_f64_e32 v4, v[42:43]
	v_mov_b32_e32 v5, 0xff
	s_mov_b32 s4, exec_lo
	s_delay_alu instid0(VALU_DEP_2) | instskip(NEXT) | instid1(VALU_DEP_1)
	v_bfe_u32 v6, v4, 23, 8
	v_cmpx_ne_u32_e32 0xff, v6
	s_cbranch_execz .LBB12_2774
; %bb.2773:
	v_and_b32_e32 v5, 0x400000, v4
	v_and_or_b32 v6, 0x3fffff, v4, v6
	v_lshrrev_b32_e32 v4, 23, v4
	s_delay_alu instid0(VALU_DEP_3) | instskip(NEXT) | instid1(VALU_DEP_3)
	v_cmp_ne_u32_e32 vcc_lo, 0, v5
	v_cmp_ne_u32_e64 s0, 0, v6
	s_and_b32 s0, vcc_lo, s0
	s_delay_alu instid0(SALU_CYCLE_1) | instskip(NEXT) | instid1(VALU_DEP_1)
	v_cndmask_b32_e64 v5, 0, 1, s0
	v_add_nc_u32_e32 v5, v4, v5
.LBB12_2774:
	s_or_b32 exec_lo, exec_lo, s4
	s_mov_b32 s0, 0
	s_mov_b32 s4, -1
	global_store_b8 v[2:3], v5, off
.LBB12_2775:
	s_mov_b32 s5, 0
.LBB12_2776:
	s_delay_alu instid0(SALU_CYCLE_1)
	s_and_b32 vcc_lo, exec_lo, s5
	s_cbranch_vccz .LBB12_2779
; %bb.2777:
	s_cmp_eq_u32 s2, 29
	s_mov_b32 s0, -1
	s_cbranch_scc0 .LBB12_2779
; %bb.2778:
	s_wait_xcnt 0x0
	v_trunc_f64_e32 v[4:5], v[42:43]
	s_mov_b32 s0, 0
	s_mov_b32 s4, -1
	s_delay_alu instid0(VALU_DEP_1) | instskip(NEXT) | instid1(VALU_DEP_1)
	v_ldexp_f64 v[6:7], v[4:5], 0xffffffe0
	v_floor_f64_e32 v[6:7], v[6:7]
	s_delay_alu instid0(VALU_DEP_1) | instskip(SKIP_1) | instid1(VALU_DEP_2)
	v_fmamk_f64 v[4:5], v[6:7], 0xc1f00000, v[4:5]
	v_cvt_u32_f64_e32 v7, v[6:7]
	v_cvt_u32_f64_e32 v6, v[4:5]
	global_store_b64 v[2:3], v[6:7], off
.LBB12_2779:
	s_mov_b32 s5, 0
.LBB12_2780:
	s_delay_alu instid0(SALU_CYCLE_1)
	s_and_b32 vcc_lo, exec_lo, s5
	s_cbranch_vccz .LBB12_2796
; %bb.2781:
	s_cmp_lt_i32 s2, 27
	s_mov_b32 s4, -1
	s_cbranch_scc1 .LBB12_2787
; %bb.2782:
	s_wait_xcnt 0x0
	v_cvt_u32_f64_e32 v4, v[42:43]
	s_cmp_gt_i32 s2, 27
	s_cbranch_scc0 .LBB12_2784
; %bb.2783:
	s_mov_b32 s4, 0
	global_store_b32 v[2:3], v4, off
.LBB12_2784:
	s_and_not1_b32 vcc_lo, exec_lo, s4
	s_cbranch_vccnz .LBB12_2786
; %bb.2785:
	global_store_b16 v[2:3], v4, off
.LBB12_2786:
	s_mov_b32 s4, 0
.LBB12_2787:
	s_delay_alu instid0(SALU_CYCLE_1)
	s_and_not1_b32 vcc_lo, exec_lo, s4
	s_cbranch_vccnz .LBB12_2795
; %bb.2788:
	s_wait_xcnt 0x0
	v_cvt_f32_f64_e32 v4, v[42:43]
	v_mov_b32_e32 v6, 0x80
	s_mov_b32 s4, exec_lo
	s_delay_alu instid0(VALU_DEP_2) | instskip(NEXT) | instid1(VALU_DEP_1)
	v_and_b32_e32 v5, 0x7fffffff, v4
	v_cmpx_gt_u32_e32 0x43800000, v5
	s_cbranch_execz .LBB12_2794
; %bb.2789:
	v_cmp_lt_u32_e32 vcc_lo, 0x3bffffff, v5
	s_mov_b32 s5, 0
                                        ; implicit-def: $vgpr5
	s_and_saveexec_b32 s6, vcc_lo
	s_delay_alu instid0(SALU_CYCLE_1)
	s_xor_b32 s6, exec_lo, s6
	s_cbranch_execz .LBB12_3199
; %bb.2790:
	v_bfe_u32 v5, v4, 20, 1
	s_mov_b32 s5, exec_lo
	s_delay_alu instid0(VALU_DEP_1) | instskip(NEXT) | instid1(VALU_DEP_1)
	v_add3_u32 v5, v4, v5, 0x487ffff
	v_lshrrev_b32_e32 v5, 20, v5
	s_and_not1_saveexec_b32 s6, s6
	s_cbranch_execnz .LBB12_3200
.LBB12_2791:
	s_or_b32 exec_lo, exec_lo, s6
	v_mov_b32_e32 v6, 0
	s_and_saveexec_b32 s6, s5
.LBB12_2792:
	v_lshrrev_b32_e32 v4, 24, v4
	s_delay_alu instid0(VALU_DEP_1)
	v_and_or_b32 v6, 0x80, v4, v5
.LBB12_2793:
	s_or_b32 exec_lo, exec_lo, s6
.LBB12_2794:
	s_delay_alu instid0(SALU_CYCLE_1)
	s_or_b32 exec_lo, exec_lo, s4
	global_store_b8 v[2:3], v6, off
.LBB12_2795:
	s_mov_b32 s4, -1
.LBB12_2796:
	s_mov_b32 s5, 0
.LBB12_2797:
	s_delay_alu instid0(SALU_CYCLE_1)
	s_and_b32 vcc_lo, exec_lo, s5
	s_cbranch_vccz .LBB12_2837
; %bb.2798:
	s_cmp_gt_i32 s2, 22
	s_mov_b32 s3, -1
	s_cbranch_scc0 .LBB12_2830
; %bb.2799:
	s_cmp_lt_i32 s2, 24
	s_cbranch_scc1 .LBB12_2819
; %bb.2800:
	s_cmp_gt_i32 s2, 24
	s_cbranch_scc0 .LBB12_2808
; %bb.2801:
	s_wait_xcnt 0x0
	v_cvt_f32_f64_e32 v4, v[42:43]
	v_mov_b32_e32 v6, 0x80
	s_mov_b32 s3, exec_lo
	s_delay_alu instid0(VALU_DEP_2) | instskip(NEXT) | instid1(VALU_DEP_1)
	v_and_b32_e32 v5, 0x7fffffff, v4
	v_cmpx_gt_u32_e32 0x47800000, v5
	s_cbranch_execz .LBB12_2807
; %bb.2802:
	v_cmp_lt_u32_e32 vcc_lo, 0x37ffffff, v5
	s_mov_b32 s4, 0
                                        ; implicit-def: $vgpr5
	s_and_saveexec_b32 s5, vcc_lo
	s_delay_alu instid0(SALU_CYCLE_1)
	s_xor_b32 s5, exec_lo, s5
	s_cbranch_execz .LBB12_3202
; %bb.2803:
	v_bfe_u32 v5, v4, 21, 1
	s_mov_b32 s4, exec_lo
	s_delay_alu instid0(VALU_DEP_1) | instskip(NEXT) | instid1(VALU_DEP_1)
	v_add3_u32 v5, v4, v5, 0x88fffff
	v_lshrrev_b32_e32 v5, 21, v5
	s_and_not1_saveexec_b32 s5, s5
	s_cbranch_execnz .LBB12_3203
.LBB12_2804:
	s_or_b32 exec_lo, exec_lo, s5
	v_mov_b32_e32 v6, 0
	s_and_saveexec_b32 s5, s4
.LBB12_2805:
	v_lshrrev_b32_e32 v4, 24, v4
	s_delay_alu instid0(VALU_DEP_1)
	v_and_or_b32 v6, 0x80, v4, v5
.LBB12_2806:
	s_or_b32 exec_lo, exec_lo, s5
.LBB12_2807:
	s_delay_alu instid0(SALU_CYCLE_1)
	s_or_b32 exec_lo, exec_lo, s3
	s_mov_b32 s3, 0
	global_store_b8 v[2:3], v6, off
.LBB12_2808:
	s_and_b32 vcc_lo, exec_lo, s3
	s_cbranch_vccz .LBB12_2818
; %bb.2809:
	s_wait_xcnt 0x0
	v_cvt_f32_f64_e32 v4, v[42:43]
	s_mov_b32 s3, exec_lo
                                        ; implicit-def: $vgpr5
	s_delay_alu instid0(VALU_DEP_1) | instskip(NEXT) | instid1(VALU_DEP_1)
	v_and_b32_e32 v6, 0x7fffffff, v4
	v_cmpx_gt_u32_e32 0x43f00000, v6
	s_xor_b32 s3, exec_lo, s3
	s_cbranch_execz .LBB12_2815
; %bb.2810:
	s_mov_b32 s4, exec_lo
                                        ; implicit-def: $vgpr5
	v_cmpx_lt_u32_e32 0x3c7fffff, v6
	s_xor_b32 s4, exec_lo, s4
; %bb.2811:
	v_bfe_u32 v5, v4, 20, 1
	s_delay_alu instid0(VALU_DEP_1) | instskip(NEXT) | instid1(VALU_DEP_1)
	v_add3_u32 v5, v4, v5, 0x407ffff
	v_and_b32_e32 v6, 0xff00000, v5
	v_lshrrev_b32_e32 v5, 20, v5
	s_delay_alu instid0(VALU_DEP_2) | instskip(NEXT) | instid1(VALU_DEP_2)
	v_cmp_ne_u32_e32 vcc_lo, 0x7f00000, v6
	v_cndmask_b32_e32 v5, 0x7e, v5, vcc_lo
; %bb.2812:
	s_and_not1_saveexec_b32 s4, s4
; %bb.2813:
	v_add_f32_e64 v5, 0x46800000, |v4|
; %bb.2814:
	s_or_b32 exec_lo, exec_lo, s4
                                        ; implicit-def: $vgpr6
.LBB12_2815:
	s_and_not1_saveexec_b32 s3, s3
; %bb.2816:
	v_mov_b32_e32 v5, 0x7f
	v_cmp_lt_u32_e32 vcc_lo, 0x7f800000, v6
	s_delay_alu instid0(VALU_DEP_2)
	v_cndmask_b32_e32 v5, 0x7e, v5, vcc_lo
; %bb.2817:
	s_or_b32 exec_lo, exec_lo, s3
	v_lshrrev_b32_e32 v4, 24, v4
	s_delay_alu instid0(VALU_DEP_1)
	v_and_or_b32 v4, 0x80, v4, v5
	global_store_b8 v[2:3], v4, off
.LBB12_2818:
	s_mov_b32 s3, 0
.LBB12_2819:
	s_delay_alu instid0(SALU_CYCLE_1)
	s_and_not1_b32 vcc_lo, exec_lo, s3
	s_cbranch_vccnz .LBB12_2829
; %bb.2820:
	s_wait_xcnt 0x0
	v_cvt_f32_f64_e32 v4, v[42:43]
	s_mov_b32 s3, exec_lo
                                        ; implicit-def: $vgpr5
	s_delay_alu instid0(VALU_DEP_1) | instskip(NEXT) | instid1(VALU_DEP_1)
	v_and_b32_e32 v6, 0x7fffffff, v4
	v_cmpx_gt_u32_e32 0x47800000, v6
	s_xor_b32 s3, exec_lo, s3
	s_cbranch_execz .LBB12_2826
; %bb.2821:
	s_mov_b32 s4, exec_lo
                                        ; implicit-def: $vgpr5
	v_cmpx_lt_u32_e32 0x387fffff, v6
	s_xor_b32 s4, exec_lo, s4
; %bb.2822:
	v_bfe_u32 v5, v4, 21, 1
	s_delay_alu instid0(VALU_DEP_1) | instskip(NEXT) | instid1(VALU_DEP_1)
	v_add3_u32 v5, v4, v5, 0x80fffff
	v_lshrrev_b32_e32 v5, 21, v5
; %bb.2823:
	s_and_not1_saveexec_b32 s4, s4
; %bb.2824:
	v_add_f32_e64 v5, 0x43000000, |v4|
; %bb.2825:
	s_or_b32 exec_lo, exec_lo, s4
                                        ; implicit-def: $vgpr6
.LBB12_2826:
	s_and_not1_saveexec_b32 s3, s3
; %bb.2827:
	v_mov_b32_e32 v5, 0x7f
	v_cmp_lt_u32_e32 vcc_lo, 0x7f800000, v6
	s_delay_alu instid0(VALU_DEP_2)
	v_cndmask_b32_e32 v5, 0x7c, v5, vcc_lo
; %bb.2828:
	s_or_b32 exec_lo, exec_lo, s3
	v_lshrrev_b32_e32 v4, 24, v4
	s_delay_alu instid0(VALU_DEP_1)
	v_and_or_b32 v4, 0x80, v4, v5
	global_store_b8 v[2:3], v4, off
.LBB12_2829:
	s_mov_b32 s3, 0
	s_mov_b32 s4, -1
.LBB12_2830:
	s_and_not1_b32 vcc_lo, exec_lo, s3
	s_mov_b32 s3, 0
	s_cbranch_vccnz .LBB12_2837
; %bb.2831:
	s_cmp_gt_i32 s2, 14
	s_mov_b32 s3, -1
	s_cbranch_scc0 .LBB12_2835
; %bb.2832:
	s_cmp_eq_u32 s2, 15
	s_mov_b32 s0, -1
	s_cbranch_scc0 .LBB12_2834
; %bb.2833:
	s_wait_xcnt 0x0
	v_cvt_f32_f64_e32 v4, v[42:43]
	s_mov_b32 s0, 0
	s_mov_b32 s4, -1
	s_delay_alu instid0(VALU_DEP_1) | instskip(SKIP_1) | instid1(VALU_DEP_2)
	v_bfe_u32 v5, v4, 16, 1
	v_cmp_o_f32_e32 vcc_lo, v4, v4
	v_add3_u32 v5, v4, v5, 0x7fff
	s_delay_alu instid0(VALU_DEP_1) | instskip(NEXT) | instid1(VALU_DEP_1)
	v_lshrrev_b32_e32 v5, 16, v5
	v_cndmask_b32_e32 v4, 0x7fc0, v5, vcc_lo
	global_store_b16 v[2:3], v4, off
.LBB12_2834:
	s_mov_b32 s3, 0
.LBB12_2835:
	s_delay_alu instid0(SALU_CYCLE_1)
	s_and_b32 vcc_lo, exec_lo, s3
	s_mov_b32 s3, 0
	s_cbranch_vccz .LBB12_2837
; %bb.2836:
	s_cmp_lg_u32 s2, 11
	s_mov_b32 s3, -1
	s_cselect_b32 s0, -1, 0
.LBB12_2837:
	s_delay_alu instid0(SALU_CYCLE_1)
	s_and_b32 vcc_lo, exec_lo, s0
	s_cbranch_vccnz .LBB12_3201
; %bb.2838:
	s_and_not1_b32 vcc_lo, exec_lo, s3
	s_cbranch_vccnz .LBB12_2840
.LBB12_2839:
	v_cmp_neq_f64_e32 vcc_lo, 0, v[42:43]
	s_mov_b32 s4, -1
	s_wait_xcnt 0x0
	v_cndmask_b32_e64 v4, 0, 1, vcc_lo
	global_store_b8 v[2:3], v4, off
.LBB12_2840:
	s_mov_b32 s0, 0
	s_branch .LBB12_2842
.LBB12_2841:
	s_mov_b32 s0, -1
	s_mov_b32 s4, 0
.LBB12_2842:
	s_and_b32 vcc_lo, exec_lo, s0
	s_cbranch_vccz .LBB12_2881
; %bb.2843:
	s_and_b32 s0, 0xffff, s1
	s_mov_b32 s2, -1
	s_cmp_lt_i32 s0, 5
	s_cbranch_scc1 .LBB12_2864
; %bb.2844:
	s_cmp_lt_i32 s0, 8
	s_cbranch_scc1 .LBB12_2854
; %bb.2845:
	;; [unrolled: 3-line block ×3, first 2 shown]
	s_cmp_gt_i32 s0, 9
	s_cbranch_scc0 .LBB12_2848
; %bb.2847:
	v_mov_b32_e32 v44, 0
	s_mov_b32 s2, 0
	s_delay_alu instid0(VALU_DEP_1)
	v_mov_b32_e32 v45, v44
	global_store_b128 v[2:3], v[42:45], off
.LBB12_2848:
	s_and_not1_b32 vcc_lo, exec_lo, s2
	s_cbranch_vccnz .LBB12_2850
; %bb.2849:
	s_wait_xcnt 0x0
	v_cvt_f32_f64_e32 v4, v[42:43]
	v_mov_b32_e32 v5, 0
	global_store_b64 v[2:3], v[4:5], off
.LBB12_2850:
	s_mov_b32 s2, 0
.LBB12_2851:
	s_delay_alu instid0(SALU_CYCLE_1)
	s_and_not1_b32 vcc_lo, exec_lo, s2
	s_cbranch_vccnz .LBB12_2853
; %bb.2852:
	s_wait_xcnt 0x0
	v_and_or_b32 v4, 0x1ff, v43, v42
	v_lshrrev_b32_e32 v5, 8, v43
	v_bfe_u32 v6, v43, 20, 11
	s_delay_alu instid0(VALU_DEP_3) | instskip(NEXT) | instid1(VALU_DEP_2)
	v_cmp_ne_u32_e32 vcc_lo, 0, v4
	v_sub_nc_u32_e32 v7, 0x3f1, v6
	v_add_nc_u32_e32 v6, 0xfffffc10, v6
	v_cndmask_b32_e64 v4, 0, 1, vcc_lo
	s_delay_alu instid0(VALU_DEP_1) | instskip(NEXT) | instid1(VALU_DEP_4)
	v_and_or_b32 v4, 0xffe, v5, v4
	v_med3_i32 v5, v7, 0, 13
	s_delay_alu instid0(VALU_DEP_2) | instskip(NEXT) | instid1(VALU_DEP_1)
	v_or_b32_e32 v7, 0x1000, v4
	v_lshrrev_b32_e32 v8, v5, v7
	s_delay_alu instid0(VALU_DEP_1) | instskip(NEXT) | instid1(VALU_DEP_1)
	v_lshlrev_b32_e32 v5, v5, v8
	v_cmp_ne_u32_e32 vcc_lo, v5, v7
	v_lshl_or_b32 v7, v6, 12, v4
	v_cndmask_b32_e64 v5, 0, 1, vcc_lo
	v_cmp_gt_i32_e32 vcc_lo, 1, v6
	s_delay_alu instid0(VALU_DEP_2) | instskip(NEXT) | instid1(VALU_DEP_1)
	v_or_b32_e32 v5, v8, v5
	v_cndmask_b32_e32 v5, v7, v5, vcc_lo
	s_delay_alu instid0(VALU_DEP_1) | instskip(NEXT) | instid1(VALU_DEP_1)
	v_dual_lshrrev_b32 v5, 2, v5 :: v_dual_bitop2_b32 v7, 7, v5 bitop3:0x40
	v_cmp_lt_i32_e32 vcc_lo, 5, v7
	v_cndmask_b32_e64 v8, 0, 1, vcc_lo
	v_cmp_eq_u32_e32 vcc_lo, 3, v7
	v_cndmask_b32_e64 v7, 0, 1, vcc_lo
	v_cmp_ne_u32_e32 vcc_lo, 0, v4
	s_delay_alu instid0(VALU_DEP_2) | instskip(NEXT) | instid1(VALU_DEP_1)
	v_or_b32_e32 v7, v7, v8
	v_dual_mov_b32 v8, 0x7e00 :: v_dual_add_nc_u32 v5, v5, v7
	s_delay_alu instid0(VALU_DEP_1) | instskip(SKIP_2) | instid1(VALU_DEP_4)
	v_cndmask_b32_e32 v4, 0x7c00, v8, vcc_lo
	v_cmp_gt_i32_e32 vcc_lo, 31, v6
	v_lshrrev_b32_e32 v7, 16, v43
	v_cndmask_b32_e32 v5, 0x7c00, v5, vcc_lo
	v_cmp_eq_u32_e32 vcc_lo, 0x40f, v6
	s_delay_alu instid0(VALU_DEP_2) | instskip(NEXT) | instid1(VALU_DEP_4)
	v_cndmask_b32_e32 v4, v5, v4, vcc_lo
	v_and_b32_e32 v5, 0x8000, v7
	s_delay_alu instid0(VALU_DEP_1)
	v_bitop3_b32 v4, v5, 0xffff, v4 bitop3:0xc8
	global_store_b32 v[2:3], v4, off
.LBB12_2853:
	s_mov_b32 s2, 0
.LBB12_2854:
	s_delay_alu instid0(SALU_CYCLE_1)
	s_and_not1_b32 vcc_lo, exec_lo, s2
	s_cbranch_vccnz .LBB12_2863
; %bb.2855:
	s_cmp_lt_i32 s0, 6
	s_mov_b32 s2, -1
	s_cbranch_scc1 .LBB12_2861
; %bb.2856:
	s_cmp_gt_i32 s0, 6
	s_cbranch_scc0 .LBB12_2858
; %bb.2857:
	s_mov_b32 s2, 0
	global_store_b64 v[2:3], v[42:43], off
.LBB12_2858:
	s_and_not1_b32 vcc_lo, exec_lo, s2
	s_cbranch_vccnz .LBB12_2860
; %bb.2859:
	s_wait_xcnt 0x0
	v_cvt_f32_f64_e32 v4, v[42:43]
	global_store_b32 v[2:3], v4, off
.LBB12_2860:
	s_mov_b32 s2, 0
.LBB12_2861:
	s_delay_alu instid0(SALU_CYCLE_1)
	s_and_not1_b32 vcc_lo, exec_lo, s2
	s_cbranch_vccnz .LBB12_2863
; %bb.2862:
	s_wait_xcnt 0x0
	v_and_or_b32 v4, 0x1ff, v43, v42
	v_lshrrev_b32_e32 v5, 8, v43
	v_bfe_u32 v6, v43, 20, 11
	s_delay_alu instid0(VALU_DEP_3) | instskip(NEXT) | instid1(VALU_DEP_2)
	v_cmp_ne_u32_e32 vcc_lo, 0, v4
	v_sub_nc_u32_e32 v7, 0x3f1, v6
	v_add_nc_u32_e32 v6, 0xfffffc10, v6
	v_cndmask_b32_e64 v4, 0, 1, vcc_lo
	s_delay_alu instid0(VALU_DEP_1) | instskip(NEXT) | instid1(VALU_DEP_4)
	v_and_or_b32 v4, 0xffe, v5, v4
	v_med3_i32 v5, v7, 0, 13
	s_delay_alu instid0(VALU_DEP_2) | instskip(NEXT) | instid1(VALU_DEP_1)
	v_or_b32_e32 v7, 0x1000, v4
	v_lshrrev_b32_e32 v8, v5, v7
	s_delay_alu instid0(VALU_DEP_1) | instskip(NEXT) | instid1(VALU_DEP_1)
	v_lshlrev_b32_e32 v5, v5, v8
	v_cmp_ne_u32_e32 vcc_lo, v5, v7
	v_lshl_or_b32 v7, v6, 12, v4
	v_cndmask_b32_e64 v5, 0, 1, vcc_lo
	v_cmp_gt_i32_e32 vcc_lo, 1, v6
	s_delay_alu instid0(VALU_DEP_2) | instskip(NEXT) | instid1(VALU_DEP_1)
	v_or_b32_e32 v5, v8, v5
	v_cndmask_b32_e32 v5, v7, v5, vcc_lo
	s_delay_alu instid0(VALU_DEP_1) | instskip(NEXT) | instid1(VALU_DEP_1)
	v_dual_lshrrev_b32 v5, 2, v5 :: v_dual_bitop2_b32 v7, 7, v5 bitop3:0x40
	v_cmp_lt_i32_e32 vcc_lo, 5, v7
	v_cndmask_b32_e64 v8, 0, 1, vcc_lo
	v_cmp_eq_u32_e32 vcc_lo, 3, v7
	v_cndmask_b32_e64 v7, 0, 1, vcc_lo
	v_cmp_ne_u32_e32 vcc_lo, 0, v4
	s_delay_alu instid0(VALU_DEP_2) | instskip(NEXT) | instid1(VALU_DEP_1)
	v_or_b32_e32 v7, v7, v8
	v_dual_mov_b32 v8, 0x7e00 :: v_dual_add_nc_u32 v5, v5, v7
	s_delay_alu instid0(VALU_DEP_1) | instskip(SKIP_1) | instid1(VALU_DEP_3)
	v_cndmask_b32_e32 v4, 0x7c00, v8, vcc_lo
	v_cmp_gt_i32_e32 vcc_lo, 31, v6
	v_cndmask_b32_e32 v5, 0x7c00, v5, vcc_lo
	v_cmp_eq_u32_e32 vcc_lo, 0x40f, v6
	s_delay_alu instid0(VALU_DEP_2) | instskip(NEXT) | instid1(VALU_DEP_1)
	v_dual_cndmask_b32 v4, v5, v4 :: v_dual_lshrrev_b32 v5, 16, v43
	v_and_or_b32 v4, 0x8000, v5, v4
	global_store_b16 v[2:3], v4, off
.LBB12_2863:
	s_mov_b32 s2, 0
.LBB12_2864:
	s_delay_alu instid0(SALU_CYCLE_1)
	s_and_not1_b32 vcc_lo, exec_lo, s2
	s_cbranch_vccnz .LBB12_2880
; %bb.2865:
	s_cmp_lt_i32 s0, 2
	s_mov_b32 s2, -1
	s_cbranch_scc1 .LBB12_2875
; %bb.2866:
	s_cmp_lt_i32 s0, 3
	s_cbranch_scc1 .LBB12_2872
; %bb.2867:
	s_cmp_gt_i32 s0, 3
	s_cbranch_scc0 .LBB12_2869
; %bb.2868:
	s_wait_xcnt 0x0
	v_trunc_f64_e32 v[4:5], v[42:43]
	s_mov_b32 s2, 0
	s_delay_alu instid0(VALU_DEP_1) | instskip(NEXT) | instid1(VALU_DEP_1)
	v_ldexp_f64 v[6:7], v[4:5], 0xffffffe0
	v_floor_f64_e32 v[6:7], v[6:7]
	s_delay_alu instid0(VALU_DEP_1) | instskip(SKIP_1) | instid1(VALU_DEP_2)
	v_fmamk_f64 v[4:5], v[6:7], 0xc1f00000, v[4:5]
	v_cvt_i32_f64_e32 v7, v[6:7]
	v_cvt_u32_f64_e32 v6, v[4:5]
	global_store_b64 v[2:3], v[6:7], off
.LBB12_2869:
	s_and_not1_b32 vcc_lo, exec_lo, s2
	s_cbranch_vccnz .LBB12_2871
; %bb.2870:
	s_wait_xcnt 0x0
	v_cvt_i32_f64_e32 v4, v[42:43]
	global_store_b32 v[2:3], v4, off
.LBB12_2871:
	s_mov_b32 s2, 0
.LBB12_2872:
	s_delay_alu instid0(SALU_CYCLE_1)
	s_and_not1_b32 vcc_lo, exec_lo, s2
	s_cbranch_vccnz .LBB12_2874
; %bb.2873:
	s_wait_xcnt 0x0
	v_cvt_i32_f64_e32 v4, v[42:43]
	global_store_b16 v[2:3], v4, off
.LBB12_2874:
	s_mov_b32 s2, 0
.LBB12_2875:
	s_delay_alu instid0(SALU_CYCLE_1)
	s_and_not1_b32 vcc_lo, exec_lo, s2
	s_cbranch_vccnz .LBB12_2880
; %bb.2876:
	s_cmp_gt_i32 s0, 0
	s_mov_b32 s0, -1
	s_cbranch_scc0 .LBB12_2878
; %bb.2877:
	s_wait_xcnt 0x0
	v_cvt_i32_f64_e32 v4, v[42:43]
	s_mov_b32 s0, 0
	global_store_b8 v[2:3], v4, off
.LBB12_2878:
	s_and_not1_b32 vcc_lo, exec_lo, s0
	s_cbranch_vccnz .LBB12_2880
; %bb.2879:
	s_wait_xcnt 0x0
	v_trunc_f64_e32 v[4:5], v[42:43]
	s_delay_alu instid0(VALU_DEP_1) | instskip(NEXT) | instid1(VALU_DEP_1)
	v_ldexp_f64 v[6:7], v[4:5], 0xffffffe0
	v_floor_f64_e32 v[6:7], v[6:7]
	s_delay_alu instid0(VALU_DEP_1) | instskip(NEXT) | instid1(VALU_DEP_1)
	v_fmamk_f64 v[4:5], v[6:7], 0xc1f00000, v[4:5]
	v_cvt_u32_f64_e32 v4, v[4:5]
	global_store_b8 v[2:3], v4, off
.LBB12_2880:
	s_mov_b32 s4, -1
.LBB12_2881:
	s_delay_alu instid0(SALU_CYCLE_1)
	s_and_not1_b32 vcc_lo, exec_lo, s4
	s_cbranch_vccnz .LBB12_3196
; %bb.2882:
	v_mov_b32_e32 v59, 0
	s_and_b32 s2, 0xffff, s1
	s_delay_alu instid0(SALU_CYCLE_1) | instskip(SKIP_1) | instid1(VALU_DEP_1)
	s_cmp_lt_i32 s2, 11
	s_wait_xcnt 0x0
	v_add_nc_u64_e32 v[2:3], s[36:37], v[58:59]
	s_cbranch_scc1 .LBB12_2960
; %bb.2883:
	s_mov_b32 s5, -1
	s_mov_b32 s3, 0
	s_cmp_gt_i32 s2, 25
	s_mov_b32 s4, 0
	s_mov_b32 s0, 0
	s_cbranch_scc0 .LBB12_2916
; %bb.2884:
	s_cmp_gt_i32 s2, 28
	s_cbranch_scc0 .LBB12_2899
; %bb.2885:
	s_cmp_gt_i32 s2, 43
	;; [unrolled: 3-line block ×3, first 2 shown]
	s_cbranch_scc0 .LBB12_2889
; %bb.2887:
	s_mov_b32 s0, -1
	s_mov_b32 s5, 0
	s_cmp_eq_u32 s2, 46
	s_cbranch_scc0 .LBB12_2889
; %bb.2888:
	v_cvt_f32_f64_e32 v4, v[56:57]
	s_mov_b32 s0, 0
	s_mov_b32 s4, -1
	s_delay_alu instid0(VALU_DEP_1) | instskip(SKIP_1) | instid1(VALU_DEP_2)
	v_bfe_u32 v5, v4, 16, 1
	v_cmp_o_f32_e32 vcc_lo, v4, v4
	v_add3_u32 v5, v4, v5, 0x7fff
	s_delay_alu instid0(VALU_DEP_1) | instskip(NEXT) | instid1(VALU_DEP_1)
	v_lshrrev_b32_e32 v5, 16, v5
	v_cndmask_b32_e32 v4, 0x7fc0, v5, vcc_lo
	global_store_b32 v[2:3], v4, off
.LBB12_2889:
	s_and_b32 vcc_lo, exec_lo, s5
	s_cbranch_vccz .LBB12_2894
; %bb.2890:
	s_cmp_eq_u32 s2, 44
	s_mov_b32 s0, -1
	s_cbranch_scc0 .LBB12_2894
; %bb.2891:
	s_wait_xcnt 0x0
	v_cvt_f32_f64_e32 v4, v[56:57]
	v_mov_b32_e32 v5, 0xff
	s_mov_b32 s4, exec_lo
	s_delay_alu instid0(VALU_DEP_2) | instskip(NEXT) | instid1(VALU_DEP_1)
	v_bfe_u32 v6, v4, 23, 8
	v_cmpx_ne_u32_e32 0xff, v6
	s_cbranch_execz .LBB12_2893
; %bb.2892:
	v_and_b32_e32 v5, 0x400000, v4
	v_and_or_b32 v6, 0x3fffff, v4, v6
	v_lshrrev_b32_e32 v4, 23, v4
	s_delay_alu instid0(VALU_DEP_3) | instskip(NEXT) | instid1(VALU_DEP_3)
	v_cmp_ne_u32_e32 vcc_lo, 0, v5
	v_cmp_ne_u32_e64 s0, 0, v6
	s_and_b32 s0, vcc_lo, s0
	s_delay_alu instid0(SALU_CYCLE_1) | instskip(NEXT) | instid1(VALU_DEP_1)
	v_cndmask_b32_e64 v5, 0, 1, s0
	v_add_nc_u32_e32 v5, v4, v5
.LBB12_2893:
	s_or_b32 exec_lo, exec_lo, s4
	s_mov_b32 s0, 0
	s_mov_b32 s4, -1
	global_store_b8 v[2:3], v5, off
.LBB12_2894:
	s_mov_b32 s5, 0
.LBB12_2895:
	s_delay_alu instid0(SALU_CYCLE_1)
	s_and_b32 vcc_lo, exec_lo, s5
	s_cbranch_vccz .LBB12_2898
; %bb.2896:
	s_cmp_eq_u32 s2, 29
	s_mov_b32 s0, -1
	s_cbranch_scc0 .LBB12_2898
; %bb.2897:
	s_wait_xcnt 0x0
	v_trunc_f64_e32 v[4:5], v[56:57]
	s_mov_b32 s0, 0
	s_mov_b32 s4, -1
	s_delay_alu instid0(VALU_DEP_1) | instskip(NEXT) | instid1(VALU_DEP_1)
	v_ldexp_f64 v[6:7], v[4:5], 0xffffffe0
	v_floor_f64_e32 v[6:7], v[6:7]
	s_delay_alu instid0(VALU_DEP_1) | instskip(SKIP_1) | instid1(VALU_DEP_2)
	v_fmamk_f64 v[4:5], v[6:7], 0xc1f00000, v[4:5]
	v_cvt_u32_f64_e32 v7, v[6:7]
	v_cvt_u32_f64_e32 v6, v[4:5]
	global_store_b64 v[2:3], v[6:7], off
.LBB12_2898:
	s_mov_b32 s5, 0
.LBB12_2899:
	s_delay_alu instid0(SALU_CYCLE_1)
	s_and_b32 vcc_lo, exec_lo, s5
	s_cbranch_vccz .LBB12_2915
; %bb.2900:
	s_cmp_lt_i32 s2, 27
	s_mov_b32 s4, -1
	s_cbranch_scc1 .LBB12_2906
; %bb.2901:
	s_cmp_gt_i32 s2, 27
	s_cbranch_scc0 .LBB12_2903
; %bb.2902:
	s_wait_xcnt 0x0
	v_cvt_u32_f64_e32 v4, v[56:57]
	s_mov_b32 s4, 0
	global_store_b32 v[2:3], v4, off
.LBB12_2903:
	s_and_not1_b32 vcc_lo, exec_lo, s4
	s_cbranch_vccnz .LBB12_2905
; %bb.2904:
	s_wait_xcnt 0x0
	v_cvt_u32_f64_e32 v4, v[56:57]
	global_store_b16 v[2:3], v4, off
.LBB12_2905:
	s_mov_b32 s4, 0
.LBB12_2906:
	s_delay_alu instid0(SALU_CYCLE_1)
	s_and_not1_b32 vcc_lo, exec_lo, s4
	s_cbranch_vccnz .LBB12_2914
; %bb.2907:
	s_wait_xcnt 0x0
	v_cvt_f32_f64_e32 v4, v[56:57]
	v_mov_b32_e32 v6, 0x80
	s_mov_b32 s4, exec_lo
	s_delay_alu instid0(VALU_DEP_2) | instskip(NEXT) | instid1(VALU_DEP_1)
	v_and_b32_e32 v5, 0x7fffffff, v4
	v_cmpx_gt_u32_e32 0x43800000, v5
	s_cbranch_execz .LBB12_2913
; %bb.2908:
	v_cmp_lt_u32_e32 vcc_lo, 0x3bffffff, v5
	s_mov_b32 s5, 0
                                        ; implicit-def: $vgpr5
	s_and_saveexec_b32 s6, vcc_lo
	s_delay_alu instid0(SALU_CYCLE_1)
	s_xor_b32 s6, exec_lo, s6
	s_cbranch_execz .LBB12_3204
; %bb.2909:
	v_bfe_u32 v5, v4, 20, 1
	s_mov_b32 s5, exec_lo
	s_delay_alu instid0(VALU_DEP_1) | instskip(NEXT) | instid1(VALU_DEP_1)
	v_add3_u32 v5, v4, v5, 0x487ffff
	v_lshrrev_b32_e32 v5, 20, v5
	s_and_not1_saveexec_b32 s6, s6
	s_cbranch_execnz .LBB12_3205
.LBB12_2910:
	s_or_b32 exec_lo, exec_lo, s6
	v_mov_b32_e32 v6, 0
	s_and_saveexec_b32 s6, s5
.LBB12_2911:
	v_lshrrev_b32_e32 v4, 24, v4
	s_delay_alu instid0(VALU_DEP_1)
	v_and_or_b32 v6, 0x80, v4, v5
.LBB12_2912:
	s_or_b32 exec_lo, exec_lo, s6
.LBB12_2913:
	s_delay_alu instid0(SALU_CYCLE_1)
	s_or_b32 exec_lo, exec_lo, s4
	global_store_b8 v[2:3], v6, off
.LBB12_2914:
	s_mov_b32 s4, -1
.LBB12_2915:
	s_mov_b32 s5, 0
.LBB12_2916:
	s_delay_alu instid0(SALU_CYCLE_1)
	s_and_b32 vcc_lo, exec_lo, s5
	s_cbranch_vccz .LBB12_2956
; %bb.2917:
	s_cmp_gt_i32 s2, 22
	s_mov_b32 s3, -1
	s_cbranch_scc0 .LBB12_2949
; %bb.2918:
	s_cmp_lt_i32 s2, 24
	s_cbranch_scc1 .LBB12_2938
; %bb.2919:
	s_cmp_gt_i32 s2, 24
	s_cbranch_scc0 .LBB12_2927
; %bb.2920:
	s_wait_xcnt 0x0
	v_cvt_f32_f64_e32 v4, v[56:57]
	v_mov_b32_e32 v6, 0x80
	s_mov_b32 s3, exec_lo
	s_delay_alu instid0(VALU_DEP_2) | instskip(NEXT) | instid1(VALU_DEP_1)
	v_and_b32_e32 v5, 0x7fffffff, v4
	v_cmpx_gt_u32_e32 0x47800000, v5
	s_cbranch_execz .LBB12_2926
; %bb.2921:
	v_cmp_lt_u32_e32 vcc_lo, 0x37ffffff, v5
	s_mov_b32 s4, 0
                                        ; implicit-def: $vgpr5
	s_and_saveexec_b32 s5, vcc_lo
	s_delay_alu instid0(SALU_CYCLE_1)
	s_xor_b32 s5, exec_lo, s5
	s_cbranch_execz .LBB12_3207
; %bb.2922:
	v_bfe_u32 v5, v4, 21, 1
	s_mov_b32 s4, exec_lo
	s_delay_alu instid0(VALU_DEP_1) | instskip(NEXT) | instid1(VALU_DEP_1)
	v_add3_u32 v5, v4, v5, 0x88fffff
	v_lshrrev_b32_e32 v5, 21, v5
	s_and_not1_saveexec_b32 s5, s5
	s_cbranch_execnz .LBB12_3208
.LBB12_2923:
	s_or_b32 exec_lo, exec_lo, s5
	v_mov_b32_e32 v6, 0
	s_and_saveexec_b32 s5, s4
.LBB12_2924:
	v_lshrrev_b32_e32 v4, 24, v4
	s_delay_alu instid0(VALU_DEP_1)
	v_and_or_b32 v6, 0x80, v4, v5
.LBB12_2925:
	s_or_b32 exec_lo, exec_lo, s5
.LBB12_2926:
	s_delay_alu instid0(SALU_CYCLE_1)
	s_or_b32 exec_lo, exec_lo, s3
	s_mov_b32 s3, 0
	global_store_b8 v[2:3], v6, off
.LBB12_2927:
	s_and_b32 vcc_lo, exec_lo, s3
	s_cbranch_vccz .LBB12_2937
; %bb.2928:
	s_wait_xcnt 0x0
	v_cvt_f32_f64_e32 v4, v[56:57]
	s_mov_b32 s3, exec_lo
                                        ; implicit-def: $vgpr5
	s_delay_alu instid0(VALU_DEP_1) | instskip(NEXT) | instid1(VALU_DEP_1)
	v_and_b32_e32 v6, 0x7fffffff, v4
	v_cmpx_gt_u32_e32 0x43f00000, v6
	s_xor_b32 s3, exec_lo, s3
	s_cbranch_execz .LBB12_2934
; %bb.2929:
	s_mov_b32 s4, exec_lo
                                        ; implicit-def: $vgpr5
	v_cmpx_lt_u32_e32 0x3c7fffff, v6
	s_xor_b32 s4, exec_lo, s4
; %bb.2930:
	v_bfe_u32 v5, v4, 20, 1
	s_delay_alu instid0(VALU_DEP_1) | instskip(NEXT) | instid1(VALU_DEP_1)
	v_add3_u32 v5, v4, v5, 0x407ffff
	v_and_b32_e32 v6, 0xff00000, v5
	v_lshrrev_b32_e32 v5, 20, v5
	s_delay_alu instid0(VALU_DEP_2) | instskip(NEXT) | instid1(VALU_DEP_2)
	v_cmp_ne_u32_e32 vcc_lo, 0x7f00000, v6
	v_cndmask_b32_e32 v5, 0x7e, v5, vcc_lo
; %bb.2931:
	s_and_not1_saveexec_b32 s4, s4
; %bb.2932:
	v_add_f32_e64 v5, 0x46800000, |v4|
; %bb.2933:
	s_or_b32 exec_lo, exec_lo, s4
                                        ; implicit-def: $vgpr6
.LBB12_2934:
	s_and_not1_saveexec_b32 s3, s3
; %bb.2935:
	v_mov_b32_e32 v5, 0x7f
	v_cmp_lt_u32_e32 vcc_lo, 0x7f800000, v6
	s_delay_alu instid0(VALU_DEP_2)
	v_cndmask_b32_e32 v5, 0x7e, v5, vcc_lo
; %bb.2936:
	s_or_b32 exec_lo, exec_lo, s3
	v_lshrrev_b32_e32 v4, 24, v4
	s_delay_alu instid0(VALU_DEP_1)
	v_and_or_b32 v4, 0x80, v4, v5
	global_store_b8 v[2:3], v4, off
.LBB12_2937:
	s_mov_b32 s3, 0
.LBB12_2938:
	s_delay_alu instid0(SALU_CYCLE_1)
	s_and_not1_b32 vcc_lo, exec_lo, s3
	s_cbranch_vccnz .LBB12_2948
; %bb.2939:
	s_wait_xcnt 0x0
	v_cvt_f32_f64_e32 v4, v[56:57]
	s_mov_b32 s3, exec_lo
                                        ; implicit-def: $vgpr5
	s_delay_alu instid0(VALU_DEP_1) | instskip(NEXT) | instid1(VALU_DEP_1)
	v_and_b32_e32 v6, 0x7fffffff, v4
	v_cmpx_gt_u32_e32 0x47800000, v6
	s_xor_b32 s3, exec_lo, s3
	s_cbranch_execz .LBB12_2945
; %bb.2940:
	s_mov_b32 s4, exec_lo
                                        ; implicit-def: $vgpr5
	v_cmpx_lt_u32_e32 0x387fffff, v6
	s_xor_b32 s4, exec_lo, s4
; %bb.2941:
	v_bfe_u32 v5, v4, 21, 1
	s_delay_alu instid0(VALU_DEP_1) | instskip(NEXT) | instid1(VALU_DEP_1)
	v_add3_u32 v5, v4, v5, 0x80fffff
	v_lshrrev_b32_e32 v5, 21, v5
; %bb.2942:
	s_and_not1_saveexec_b32 s4, s4
; %bb.2943:
	v_add_f32_e64 v5, 0x43000000, |v4|
; %bb.2944:
	s_or_b32 exec_lo, exec_lo, s4
                                        ; implicit-def: $vgpr6
.LBB12_2945:
	s_and_not1_saveexec_b32 s3, s3
; %bb.2946:
	v_mov_b32_e32 v5, 0x7f
	v_cmp_lt_u32_e32 vcc_lo, 0x7f800000, v6
	s_delay_alu instid0(VALU_DEP_2)
	v_cndmask_b32_e32 v5, 0x7c, v5, vcc_lo
; %bb.2947:
	s_or_b32 exec_lo, exec_lo, s3
	v_lshrrev_b32_e32 v4, 24, v4
	s_delay_alu instid0(VALU_DEP_1)
	v_and_or_b32 v4, 0x80, v4, v5
	global_store_b8 v[2:3], v4, off
.LBB12_2948:
	s_mov_b32 s3, 0
	s_mov_b32 s4, -1
.LBB12_2949:
	s_and_not1_b32 vcc_lo, exec_lo, s3
	s_mov_b32 s3, 0
	s_cbranch_vccnz .LBB12_2956
; %bb.2950:
	s_cmp_gt_i32 s2, 14
	s_mov_b32 s3, -1
	s_cbranch_scc0 .LBB12_2954
; %bb.2951:
	s_cmp_eq_u32 s2, 15
	s_mov_b32 s0, -1
	s_cbranch_scc0 .LBB12_2953
; %bb.2952:
	s_wait_xcnt 0x0
	v_cvt_f32_f64_e32 v4, v[56:57]
	s_mov_b32 s0, 0
	s_mov_b32 s4, -1
	s_delay_alu instid0(VALU_DEP_1) | instskip(SKIP_1) | instid1(VALU_DEP_2)
	v_bfe_u32 v5, v4, 16, 1
	v_cmp_o_f32_e32 vcc_lo, v4, v4
	v_add3_u32 v5, v4, v5, 0x7fff
	s_delay_alu instid0(VALU_DEP_1) | instskip(NEXT) | instid1(VALU_DEP_1)
	v_lshrrev_b32_e32 v5, 16, v5
	v_cndmask_b32_e32 v4, 0x7fc0, v5, vcc_lo
	global_store_b16 v[2:3], v4, off
.LBB12_2953:
	s_mov_b32 s3, 0
.LBB12_2954:
	s_delay_alu instid0(SALU_CYCLE_1)
	s_and_b32 vcc_lo, exec_lo, s3
	s_mov_b32 s3, 0
	s_cbranch_vccz .LBB12_2956
; %bb.2955:
	s_cmp_lg_u32 s2, 11
	s_mov_b32 s3, -1
	s_cselect_b32 s0, -1, 0
.LBB12_2956:
	s_delay_alu instid0(SALU_CYCLE_1)
	s_and_b32 vcc_lo, exec_lo, s0
	s_cbranch_vccnz .LBB12_3206
; %bb.2957:
	s_and_not1_b32 vcc_lo, exec_lo, s3
	s_cbranch_vccnz .LBB12_2959
.LBB12_2958:
	v_cmp_neq_f64_e32 vcc_lo, 0, v[56:57]
	s_mov_b32 s4, -1
	s_wait_xcnt 0x0
	v_cndmask_b32_e64 v4, 0, 1, vcc_lo
	global_store_b8 v[2:3], v4, off
.LBB12_2959:
	s_mov_b32 s0, 0
	s_branch .LBB12_2961
.LBB12_2960:
	s_mov_b32 s0, -1
	s_mov_b32 s4, 0
.LBB12_2961:
	s_and_b32 vcc_lo, exec_lo, s0
	s_cbranch_vccz .LBB12_3000
; %bb.2962:
	s_cmp_lt_i32 s2, 5
	s_mov_b32 s0, -1
	s_cbranch_scc1 .LBB12_2983
; %bb.2963:
	s_cmp_lt_i32 s2, 8
	s_cbranch_scc1 .LBB12_2973
; %bb.2964:
	s_cmp_lt_i32 s2, 9
	s_cbranch_scc1 .LBB12_2970
; %bb.2965:
	s_cmp_gt_i32 s2, 9
	s_cbranch_scc0 .LBB12_2967
; %bb.2966:
	v_mov_b32_e32 v58, 0
	s_mov_b32 s0, 0
	s_delay_alu instid0(VALU_DEP_1)
	v_mov_b32_e32 v59, v58
	global_store_b128 v[2:3], v[56:59], off
.LBB12_2967:
	s_and_not1_b32 vcc_lo, exec_lo, s0
	s_cbranch_vccnz .LBB12_2969
; %bb.2968:
	s_wait_xcnt 0x0
	v_cvt_f32_f64_e32 v4, v[56:57]
	v_mov_b32_e32 v5, 0
	global_store_b64 v[2:3], v[4:5], off
.LBB12_2969:
	s_mov_b32 s0, 0
.LBB12_2970:
	s_delay_alu instid0(SALU_CYCLE_1)
	s_and_not1_b32 vcc_lo, exec_lo, s0
	s_cbranch_vccnz .LBB12_2972
; %bb.2971:
	s_wait_xcnt 0x0
	v_and_or_b32 v4, 0x1ff, v57, v56
	v_lshrrev_b32_e32 v5, 8, v57
	v_bfe_u32 v6, v57, 20, 11
	s_delay_alu instid0(VALU_DEP_3) | instskip(NEXT) | instid1(VALU_DEP_2)
	v_cmp_ne_u32_e32 vcc_lo, 0, v4
	v_sub_nc_u32_e32 v7, 0x3f1, v6
	v_add_nc_u32_e32 v6, 0xfffffc10, v6
	v_cndmask_b32_e64 v4, 0, 1, vcc_lo
	s_delay_alu instid0(VALU_DEP_1) | instskip(NEXT) | instid1(VALU_DEP_4)
	v_and_or_b32 v4, 0xffe, v5, v4
	v_med3_i32 v5, v7, 0, 13
	s_delay_alu instid0(VALU_DEP_2) | instskip(NEXT) | instid1(VALU_DEP_1)
	v_or_b32_e32 v7, 0x1000, v4
	v_lshrrev_b32_e32 v8, v5, v7
	s_delay_alu instid0(VALU_DEP_1) | instskip(NEXT) | instid1(VALU_DEP_1)
	v_lshlrev_b32_e32 v5, v5, v8
	v_cmp_ne_u32_e32 vcc_lo, v5, v7
	v_lshl_or_b32 v7, v6, 12, v4
	v_cndmask_b32_e64 v5, 0, 1, vcc_lo
	v_cmp_gt_i32_e32 vcc_lo, 1, v6
	s_delay_alu instid0(VALU_DEP_2) | instskip(NEXT) | instid1(VALU_DEP_1)
	v_or_b32_e32 v5, v8, v5
	v_cndmask_b32_e32 v5, v7, v5, vcc_lo
	s_delay_alu instid0(VALU_DEP_1) | instskip(NEXT) | instid1(VALU_DEP_1)
	v_dual_lshrrev_b32 v5, 2, v5 :: v_dual_bitop2_b32 v7, 7, v5 bitop3:0x40
	v_cmp_lt_i32_e32 vcc_lo, 5, v7
	v_cndmask_b32_e64 v8, 0, 1, vcc_lo
	v_cmp_eq_u32_e32 vcc_lo, 3, v7
	v_cndmask_b32_e64 v7, 0, 1, vcc_lo
	v_cmp_ne_u32_e32 vcc_lo, 0, v4
	s_delay_alu instid0(VALU_DEP_2) | instskip(NEXT) | instid1(VALU_DEP_1)
	v_or_b32_e32 v7, v7, v8
	v_dual_mov_b32 v8, 0x7e00 :: v_dual_add_nc_u32 v5, v5, v7
	s_delay_alu instid0(VALU_DEP_1) | instskip(SKIP_2) | instid1(VALU_DEP_4)
	v_cndmask_b32_e32 v4, 0x7c00, v8, vcc_lo
	v_cmp_gt_i32_e32 vcc_lo, 31, v6
	v_lshrrev_b32_e32 v7, 16, v57
	v_cndmask_b32_e32 v5, 0x7c00, v5, vcc_lo
	v_cmp_eq_u32_e32 vcc_lo, 0x40f, v6
	s_delay_alu instid0(VALU_DEP_2) | instskip(NEXT) | instid1(VALU_DEP_4)
	v_cndmask_b32_e32 v4, v5, v4, vcc_lo
	v_and_b32_e32 v5, 0x8000, v7
	s_delay_alu instid0(VALU_DEP_1)
	v_bitop3_b32 v4, v5, 0xffff, v4 bitop3:0xc8
	global_store_b32 v[2:3], v4, off
.LBB12_2972:
	s_mov_b32 s0, 0
.LBB12_2973:
	s_delay_alu instid0(SALU_CYCLE_1)
	s_and_not1_b32 vcc_lo, exec_lo, s0
	s_cbranch_vccnz .LBB12_2982
; %bb.2974:
	s_cmp_lt_i32 s2, 6
	s_mov_b32 s0, -1
	s_cbranch_scc1 .LBB12_2980
; %bb.2975:
	s_cmp_gt_i32 s2, 6
	s_cbranch_scc0 .LBB12_2977
; %bb.2976:
	s_mov_b32 s0, 0
	global_store_b64 v[2:3], v[56:57], off
.LBB12_2977:
	s_and_not1_b32 vcc_lo, exec_lo, s0
	s_cbranch_vccnz .LBB12_2979
; %bb.2978:
	s_wait_xcnt 0x0
	v_cvt_f32_f64_e32 v4, v[56:57]
	global_store_b32 v[2:3], v4, off
.LBB12_2979:
	s_mov_b32 s0, 0
.LBB12_2980:
	s_delay_alu instid0(SALU_CYCLE_1)
	s_and_not1_b32 vcc_lo, exec_lo, s0
	s_cbranch_vccnz .LBB12_2982
; %bb.2981:
	s_wait_xcnt 0x0
	v_and_or_b32 v4, 0x1ff, v57, v56
	v_lshrrev_b32_e32 v5, 8, v57
	v_bfe_u32 v6, v57, 20, 11
	s_delay_alu instid0(VALU_DEP_3) | instskip(NEXT) | instid1(VALU_DEP_2)
	v_cmp_ne_u32_e32 vcc_lo, 0, v4
	v_sub_nc_u32_e32 v7, 0x3f1, v6
	v_add_nc_u32_e32 v6, 0xfffffc10, v6
	v_cndmask_b32_e64 v4, 0, 1, vcc_lo
	s_delay_alu instid0(VALU_DEP_1) | instskip(NEXT) | instid1(VALU_DEP_4)
	v_and_or_b32 v4, 0xffe, v5, v4
	v_med3_i32 v5, v7, 0, 13
	s_delay_alu instid0(VALU_DEP_2) | instskip(NEXT) | instid1(VALU_DEP_1)
	v_or_b32_e32 v7, 0x1000, v4
	v_lshrrev_b32_e32 v8, v5, v7
	s_delay_alu instid0(VALU_DEP_1) | instskip(NEXT) | instid1(VALU_DEP_1)
	v_lshlrev_b32_e32 v5, v5, v8
	v_cmp_ne_u32_e32 vcc_lo, v5, v7
	v_lshl_or_b32 v7, v6, 12, v4
	v_cndmask_b32_e64 v5, 0, 1, vcc_lo
	v_cmp_gt_i32_e32 vcc_lo, 1, v6
	s_delay_alu instid0(VALU_DEP_2) | instskip(NEXT) | instid1(VALU_DEP_1)
	v_or_b32_e32 v5, v8, v5
	v_cndmask_b32_e32 v5, v7, v5, vcc_lo
	s_delay_alu instid0(VALU_DEP_1) | instskip(NEXT) | instid1(VALU_DEP_1)
	v_dual_lshrrev_b32 v5, 2, v5 :: v_dual_bitop2_b32 v7, 7, v5 bitop3:0x40
	v_cmp_lt_i32_e32 vcc_lo, 5, v7
	v_cndmask_b32_e64 v8, 0, 1, vcc_lo
	v_cmp_eq_u32_e32 vcc_lo, 3, v7
	v_cndmask_b32_e64 v7, 0, 1, vcc_lo
	v_cmp_ne_u32_e32 vcc_lo, 0, v4
	s_delay_alu instid0(VALU_DEP_2) | instskip(NEXT) | instid1(VALU_DEP_1)
	v_or_b32_e32 v7, v7, v8
	v_dual_mov_b32 v8, 0x7e00 :: v_dual_add_nc_u32 v5, v5, v7
	s_delay_alu instid0(VALU_DEP_1) | instskip(SKIP_1) | instid1(VALU_DEP_3)
	v_cndmask_b32_e32 v4, 0x7c00, v8, vcc_lo
	v_cmp_gt_i32_e32 vcc_lo, 31, v6
	v_cndmask_b32_e32 v5, 0x7c00, v5, vcc_lo
	v_cmp_eq_u32_e32 vcc_lo, 0x40f, v6
	s_delay_alu instid0(VALU_DEP_2) | instskip(NEXT) | instid1(VALU_DEP_1)
	v_dual_cndmask_b32 v4, v5, v4 :: v_dual_lshrrev_b32 v5, 16, v57
	v_and_or_b32 v4, 0x8000, v5, v4
	global_store_b16 v[2:3], v4, off
.LBB12_2982:
	s_mov_b32 s0, 0
.LBB12_2983:
	s_delay_alu instid0(SALU_CYCLE_1)
	s_and_not1_b32 vcc_lo, exec_lo, s0
	s_cbranch_vccnz .LBB12_2999
; %bb.2984:
	s_cmp_lt_i32 s2, 2
	s_mov_b32 s0, -1
	s_cbranch_scc1 .LBB12_2994
; %bb.2985:
	s_cmp_lt_i32 s2, 3
	s_cbranch_scc1 .LBB12_2991
; %bb.2986:
	s_cmp_gt_i32 s2, 3
	s_cbranch_scc0 .LBB12_2988
; %bb.2987:
	s_wait_xcnt 0x0
	v_trunc_f64_e32 v[4:5], v[56:57]
	s_mov_b32 s0, 0
	s_delay_alu instid0(VALU_DEP_1) | instskip(NEXT) | instid1(VALU_DEP_1)
	v_ldexp_f64 v[6:7], v[4:5], 0xffffffe0
	v_floor_f64_e32 v[6:7], v[6:7]
	s_delay_alu instid0(VALU_DEP_1) | instskip(SKIP_1) | instid1(VALU_DEP_2)
	v_fmamk_f64 v[4:5], v[6:7], 0xc1f00000, v[4:5]
	v_cvt_i32_f64_e32 v7, v[6:7]
	v_cvt_u32_f64_e32 v6, v[4:5]
	global_store_b64 v[2:3], v[6:7], off
.LBB12_2988:
	s_and_not1_b32 vcc_lo, exec_lo, s0
	s_cbranch_vccnz .LBB12_2990
; %bb.2989:
	s_wait_xcnt 0x0
	v_cvt_i32_f64_e32 v4, v[56:57]
	global_store_b32 v[2:3], v4, off
.LBB12_2990:
	s_mov_b32 s0, 0
.LBB12_2991:
	s_delay_alu instid0(SALU_CYCLE_1)
	s_and_not1_b32 vcc_lo, exec_lo, s0
	s_cbranch_vccnz .LBB12_2993
; %bb.2992:
	s_wait_xcnt 0x0
	v_cvt_i32_f64_e32 v4, v[56:57]
	global_store_b16 v[2:3], v4, off
.LBB12_2993:
	s_mov_b32 s0, 0
.LBB12_2994:
	s_delay_alu instid0(SALU_CYCLE_1)
	s_and_not1_b32 vcc_lo, exec_lo, s0
	s_cbranch_vccnz .LBB12_2999
; %bb.2995:
	s_cmp_gt_i32 s2, 0
	s_mov_b32 s0, -1
	s_cbranch_scc0 .LBB12_2997
; %bb.2996:
	s_wait_xcnt 0x0
	v_cvt_i32_f64_e32 v4, v[56:57]
	s_mov_b32 s0, 0
	global_store_b8 v[2:3], v4, off
.LBB12_2997:
	s_and_not1_b32 vcc_lo, exec_lo, s0
	s_cbranch_vccnz .LBB12_2999
; %bb.2998:
	s_wait_xcnt 0x0
	v_trunc_f64_e32 v[4:5], v[56:57]
	s_delay_alu instid0(VALU_DEP_1) | instskip(NEXT) | instid1(VALU_DEP_1)
	v_ldexp_f64 v[6:7], v[4:5], 0xffffffe0
	v_floor_f64_e32 v[6:7], v[6:7]
	s_delay_alu instid0(VALU_DEP_1) | instskip(NEXT) | instid1(VALU_DEP_1)
	v_fmamk_f64 v[4:5], v[6:7], 0xc1f00000, v[4:5]
	v_cvt_u32_f64_e32 v4, v[4:5]
	global_store_b8 v[2:3], v4, off
.LBB12_2999:
	s_mov_b32 s4, -1
.LBB12_3000:
	s_delay_alu instid0(SALU_CYCLE_1)
	s_and_not1_b32 vcc_lo, exec_lo, s4
	s_cbranch_vccnz .LBB12_3196
; %bb.3001:
	v_mov_b32_e32 v63, 0
	s_cmp_lt_i32 s2, 11
	s_wait_xcnt 0x0
	s_delay_alu instid0(VALU_DEP_1)
	v_add_nc_u64_e32 v[2:3], s[36:37], v[62:63]
	s_cbranch_scc1 .LBB12_3079
; %bb.3002:
	s_mov_b32 s5, -1
	s_mov_b32 s3, 0
	s_cmp_gt_i32 s2, 25
	s_mov_b32 s4, 0
	s_mov_b32 s0, 0
	s_cbranch_scc0 .LBB12_3035
; %bb.3003:
	s_cmp_gt_i32 s2, 28
	s_cbranch_scc0 .LBB12_3018
; %bb.3004:
	s_cmp_gt_i32 s2, 43
	;; [unrolled: 3-line block ×3, first 2 shown]
	s_cbranch_scc0 .LBB12_3008
; %bb.3006:
	s_mov_b32 s0, -1
	s_mov_b32 s5, 0
	s_cmp_eq_u32 s2, 46
	s_cbranch_scc0 .LBB12_3008
; %bb.3007:
	v_cvt_f32_f64_e32 v4, v[60:61]
	s_mov_b32 s0, 0
	s_mov_b32 s4, -1
	s_delay_alu instid0(VALU_DEP_1) | instskip(SKIP_1) | instid1(VALU_DEP_2)
	v_bfe_u32 v5, v4, 16, 1
	v_cmp_o_f32_e32 vcc_lo, v4, v4
	v_add3_u32 v5, v4, v5, 0x7fff
	s_delay_alu instid0(VALU_DEP_1) | instskip(NEXT) | instid1(VALU_DEP_1)
	v_lshrrev_b32_e32 v5, 16, v5
	v_cndmask_b32_e32 v4, 0x7fc0, v5, vcc_lo
	global_store_b32 v[2:3], v4, off
.LBB12_3008:
	s_and_b32 vcc_lo, exec_lo, s5
	s_cbranch_vccz .LBB12_3013
; %bb.3009:
	s_cmp_eq_u32 s2, 44
	s_mov_b32 s0, -1
	s_cbranch_scc0 .LBB12_3013
; %bb.3010:
	s_wait_xcnt 0x0
	v_cvt_f32_f64_e32 v4, v[60:61]
	v_mov_b32_e32 v5, 0xff
	s_mov_b32 s4, exec_lo
	s_delay_alu instid0(VALU_DEP_2) | instskip(NEXT) | instid1(VALU_DEP_1)
	v_bfe_u32 v6, v4, 23, 8
	v_cmpx_ne_u32_e32 0xff, v6
	s_cbranch_execz .LBB12_3012
; %bb.3011:
	v_and_b32_e32 v5, 0x400000, v4
	v_and_or_b32 v6, 0x3fffff, v4, v6
	v_lshrrev_b32_e32 v4, 23, v4
	s_delay_alu instid0(VALU_DEP_3) | instskip(NEXT) | instid1(VALU_DEP_3)
	v_cmp_ne_u32_e32 vcc_lo, 0, v5
	v_cmp_ne_u32_e64 s0, 0, v6
	s_and_b32 s0, vcc_lo, s0
	s_delay_alu instid0(SALU_CYCLE_1) | instskip(NEXT) | instid1(VALU_DEP_1)
	v_cndmask_b32_e64 v5, 0, 1, s0
	v_add_nc_u32_e32 v5, v4, v5
.LBB12_3012:
	s_or_b32 exec_lo, exec_lo, s4
	s_mov_b32 s0, 0
	s_mov_b32 s4, -1
	global_store_b8 v[2:3], v5, off
.LBB12_3013:
	s_mov_b32 s5, 0
.LBB12_3014:
	s_delay_alu instid0(SALU_CYCLE_1)
	s_and_b32 vcc_lo, exec_lo, s5
	s_cbranch_vccz .LBB12_3017
; %bb.3015:
	s_cmp_eq_u32 s2, 29
	s_mov_b32 s0, -1
	s_cbranch_scc0 .LBB12_3017
; %bb.3016:
	s_wait_xcnt 0x0
	v_trunc_f64_e32 v[4:5], v[60:61]
	s_mov_b32 s0, 0
	s_mov_b32 s4, -1
	s_delay_alu instid0(VALU_DEP_1) | instskip(NEXT) | instid1(VALU_DEP_1)
	v_ldexp_f64 v[6:7], v[4:5], 0xffffffe0
	v_floor_f64_e32 v[6:7], v[6:7]
	s_delay_alu instid0(VALU_DEP_1) | instskip(SKIP_1) | instid1(VALU_DEP_2)
	v_fmamk_f64 v[4:5], v[6:7], 0xc1f00000, v[4:5]
	v_cvt_u32_f64_e32 v7, v[6:7]
	v_cvt_u32_f64_e32 v6, v[4:5]
	global_store_b64 v[2:3], v[6:7], off
.LBB12_3017:
	s_mov_b32 s5, 0
.LBB12_3018:
	s_delay_alu instid0(SALU_CYCLE_1)
	s_and_b32 vcc_lo, exec_lo, s5
	s_cbranch_vccz .LBB12_3034
; %bb.3019:
	s_cmp_lt_i32 s2, 27
	s_mov_b32 s4, -1
	s_cbranch_scc1 .LBB12_3025
; %bb.3020:
	s_cmp_gt_i32 s2, 27
	s_cbranch_scc0 .LBB12_3022
; %bb.3021:
	s_wait_xcnt 0x0
	v_cvt_u32_f64_e32 v4, v[60:61]
	s_mov_b32 s4, 0
	global_store_b32 v[2:3], v4, off
.LBB12_3022:
	s_and_not1_b32 vcc_lo, exec_lo, s4
	s_cbranch_vccnz .LBB12_3024
; %bb.3023:
	s_wait_xcnt 0x0
	v_cvt_u32_f64_e32 v4, v[60:61]
	global_store_b16 v[2:3], v4, off
.LBB12_3024:
	s_mov_b32 s4, 0
.LBB12_3025:
	s_delay_alu instid0(SALU_CYCLE_1)
	s_and_not1_b32 vcc_lo, exec_lo, s4
	s_cbranch_vccnz .LBB12_3033
; %bb.3026:
	s_wait_xcnt 0x0
	v_cvt_f32_f64_e32 v4, v[60:61]
	v_mov_b32_e32 v6, 0x80
	s_mov_b32 s4, exec_lo
	s_delay_alu instid0(VALU_DEP_2) | instskip(NEXT) | instid1(VALU_DEP_1)
	v_and_b32_e32 v5, 0x7fffffff, v4
	v_cmpx_gt_u32_e32 0x43800000, v5
	s_cbranch_execz .LBB12_3032
; %bb.3027:
	v_cmp_lt_u32_e32 vcc_lo, 0x3bffffff, v5
	s_mov_b32 s5, 0
                                        ; implicit-def: $vgpr5
	s_and_saveexec_b32 s6, vcc_lo
	s_delay_alu instid0(SALU_CYCLE_1)
	s_xor_b32 s6, exec_lo, s6
	s_cbranch_execz .LBB12_3209
; %bb.3028:
	v_bfe_u32 v5, v4, 20, 1
	s_mov_b32 s5, exec_lo
	s_delay_alu instid0(VALU_DEP_1) | instskip(NEXT) | instid1(VALU_DEP_1)
	v_add3_u32 v5, v4, v5, 0x487ffff
	v_lshrrev_b32_e32 v5, 20, v5
	s_and_not1_saveexec_b32 s6, s6
	s_cbranch_execnz .LBB12_3210
.LBB12_3029:
	s_or_b32 exec_lo, exec_lo, s6
	v_mov_b32_e32 v6, 0
	s_and_saveexec_b32 s6, s5
.LBB12_3030:
	v_lshrrev_b32_e32 v4, 24, v4
	s_delay_alu instid0(VALU_DEP_1)
	v_and_or_b32 v6, 0x80, v4, v5
.LBB12_3031:
	s_or_b32 exec_lo, exec_lo, s6
.LBB12_3032:
	s_delay_alu instid0(SALU_CYCLE_1)
	s_or_b32 exec_lo, exec_lo, s4
	global_store_b8 v[2:3], v6, off
.LBB12_3033:
	s_mov_b32 s4, -1
.LBB12_3034:
	s_mov_b32 s5, 0
.LBB12_3035:
	s_delay_alu instid0(SALU_CYCLE_1)
	s_and_b32 vcc_lo, exec_lo, s5
	s_cbranch_vccz .LBB12_3075
; %bb.3036:
	s_cmp_gt_i32 s2, 22
	s_mov_b32 s3, -1
	s_cbranch_scc0 .LBB12_3068
; %bb.3037:
	s_cmp_lt_i32 s2, 24
	s_cbranch_scc1 .LBB12_3057
; %bb.3038:
	s_cmp_gt_i32 s2, 24
	s_cbranch_scc0 .LBB12_3046
; %bb.3039:
	s_wait_xcnt 0x0
	v_cvt_f32_f64_e32 v4, v[60:61]
	v_mov_b32_e32 v6, 0x80
	s_mov_b32 s3, exec_lo
	s_delay_alu instid0(VALU_DEP_2) | instskip(NEXT) | instid1(VALU_DEP_1)
	v_and_b32_e32 v5, 0x7fffffff, v4
	v_cmpx_gt_u32_e32 0x47800000, v5
	s_cbranch_execz .LBB12_3045
; %bb.3040:
	v_cmp_lt_u32_e32 vcc_lo, 0x37ffffff, v5
	s_mov_b32 s4, 0
                                        ; implicit-def: $vgpr5
	s_and_saveexec_b32 s5, vcc_lo
	s_delay_alu instid0(SALU_CYCLE_1)
	s_xor_b32 s5, exec_lo, s5
	s_cbranch_execz .LBB12_3212
; %bb.3041:
	v_bfe_u32 v5, v4, 21, 1
	s_mov_b32 s4, exec_lo
	s_delay_alu instid0(VALU_DEP_1) | instskip(NEXT) | instid1(VALU_DEP_1)
	v_add3_u32 v5, v4, v5, 0x88fffff
	v_lshrrev_b32_e32 v5, 21, v5
	s_and_not1_saveexec_b32 s5, s5
	s_cbranch_execnz .LBB12_3213
.LBB12_3042:
	s_or_b32 exec_lo, exec_lo, s5
	v_mov_b32_e32 v6, 0
	s_and_saveexec_b32 s5, s4
.LBB12_3043:
	v_lshrrev_b32_e32 v4, 24, v4
	s_delay_alu instid0(VALU_DEP_1)
	v_and_or_b32 v6, 0x80, v4, v5
.LBB12_3044:
	s_or_b32 exec_lo, exec_lo, s5
.LBB12_3045:
	s_delay_alu instid0(SALU_CYCLE_1)
	s_or_b32 exec_lo, exec_lo, s3
	s_mov_b32 s3, 0
	global_store_b8 v[2:3], v6, off
.LBB12_3046:
	s_and_b32 vcc_lo, exec_lo, s3
	s_cbranch_vccz .LBB12_3056
; %bb.3047:
	s_wait_xcnt 0x0
	v_cvt_f32_f64_e32 v4, v[60:61]
	s_mov_b32 s3, exec_lo
                                        ; implicit-def: $vgpr5
	s_delay_alu instid0(VALU_DEP_1) | instskip(NEXT) | instid1(VALU_DEP_1)
	v_and_b32_e32 v6, 0x7fffffff, v4
	v_cmpx_gt_u32_e32 0x43f00000, v6
	s_xor_b32 s3, exec_lo, s3
	s_cbranch_execz .LBB12_3053
; %bb.3048:
	s_mov_b32 s4, exec_lo
                                        ; implicit-def: $vgpr5
	v_cmpx_lt_u32_e32 0x3c7fffff, v6
	s_xor_b32 s4, exec_lo, s4
; %bb.3049:
	v_bfe_u32 v5, v4, 20, 1
	s_delay_alu instid0(VALU_DEP_1) | instskip(NEXT) | instid1(VALU_DEP_1)
	v_add3_u32 v5, v4, v5, 0x407ffff
	v_and_b32_e32 v6, 0xff00000, v5
	v_lshrrev_b32_e32 v5, 20, v5
	s_delay_alu instid0(VALU_DEP_2) | instskip(NEXT) | instid1(VALU_DEP_2)
	v_cmp_ne_u32_e32 vcc_lo, 0x7f00000, v6
	v_cndmask_b32_e32 v5, 0x7e, v5, vcc_lo
; %bb.3050:
	s_and_not1_saveexec_b32 s4, s4
; %bb.3051:
	v_add_f32_e64 v5, 0x46800000, |v4|
; %bb.3052:
	s_or_b32 exec_lo, exec_lo, s4
                                        ; implicit-def: $vgpr6
.LBB12_3053:
	s_and_not1_saveexec_b32 s3, s3
; %bb.3054:
	v_mov_b32_e32 v5, 0x7f
	v_cmp_lt_u32_e32 vcc_lo, 0x7f800000, v6
	s_delay_alu instid0(VALU_DEP_2)
	v_cndmask_b32_e32 v5, 0x7e, v5, vcc_lo
; %bb.3055:
	s_or_b32 exec_lo, exec_lo, s3
	v_lshrrev_b32_e32 v4, 24, v4
	s_delay_alu instid0(VALU_DEP_1)
	v_and_or_b32 v4, 0x80, v4, v5
	global_store_b8 v[2:3], v4, off
.LBB12_3056:
	s_mov_b32 s3, 0
.LBB12_3057:
	s_delay_alu instid0(SALU_CYCLE_1)
	s_and_not1_b32 vcc_lo, exec_lo, s3
	s_cbranch_vccnz .LBB12_3067
; %bb.3058:
	s_wait_xcnt 0x0
	v_cvt_f32_f64_e32 v4, v[60:61]
	s_mov_b32 s3, exec_lo
                                        ; implicit-def: $vgpr5
	s_delay_alu instid0(VALU_DEP_1) | instskip(NEXT) | instid1(VALU_DEP_1)
	v_and_b32_e32 v6, 0x7fffffff, v4
	v_cmpx_gt_u32_e32 0x47800000, v6
	s_xor_b32 s3, exec_lo, s3
	s_cbranch_execz .LBB12_3064
; %bb.3059:
	s_mov_b32 s4, exec_lo
                                        ; implicit-def: $vgpr5
	v_cmpx_lt_u32_e32 0x387fffff, v6
	s_xor_b32 s4, exec_lo, s4
; %bb.3060:
	v_bfe_u32 v5, v4, 21, 1
	s_delay_alu instid0(VALU_DEP_1) | instskip(NEXT) | instid1(VALU_DEP_1)
	v_add3_u32 v5, v4, v5, 0x80fffff
	v_lshrrev_b32_e32 v5, 21, v5
; %bb.3061:
	s_and_not1_saveexec_b32 s4, s4
; %bb.3062:
	v_add_f32_e64 v5, 0x43000000, |v4|
; %bb.3063:
	s_or_b32 exec_lo, exec_lo, s4
                                        ; implicit-def: $vgpr6
.LBB12_3064:
	s_and_not1_saveexec_b32 s3, s3
; %bb.3065:
	v_mov_b32_e32 v5, 0x7f
	v_cmp_lt_u32_e32 vcc_lo, 0x7f800000, v6
	s_delay_alu instid0(VALU_DEP_2)
	v_cndmask_b32_e32 v5, 0x7c, v5, vcc_lo
; %bb.3066:
	s_or_b32 exec_lo, exec_lo, s3
	v_lshrrev_b32_e32 v4, 24, v4
	s_delay_alu instid0(VALU_DEP_1)
	v_and_or_b32 v4, 0x80, v4, v5
	global_store_b8 v[2:3], v4, off
.LBB12_3067:
	s_mov_b32 s3, 0
	s_mov_b32 s4, -1
.LBB12_3068:
	s_and_not1_b32 vcc_lo, exec_lo, s3
	s_mov_b32 s3, 0
	s_cbranch_vccnz .LBB12_3075
; %bb.3069:
	s_cmp_gt_i32 s2, 14
	s_mov_b32 s3, -1
	s_cbranch_scc0 .LBB12_3073
; %bb.3070:
	s_cmp_eq_u32 s2, 15
	s_mov_b32 s0, -1
	s_cbranch_scc0 .LBB12_3072
; %bb.3071:
	s_wait_xcnt 0x0
	v_cvt_f32_f64_e32 v4, v[60:61]
	s_mov_b32 s0, 0
	s_mov_b32 s4, -1
	s_delay_alu instid0(VALU_DEP_1) | instskip(SKIP_1) | instid1(VALU_DEP_2)
	v_bfe_u32 v5, v4, 16, 1
	v_cmp_o_f32_e32 vcc_lo, v4, v4
	v_add3_u32 v5, v4, v5, 0x7fff
	s_delay_alu instid0(VALU_DEP_1) | instskip(NEXT) | instid1(VALU_DEP_1)
	v_lshrrev_b32_e32 v5, 16, v5
	v_cndmask_b32_e32 v4, 0x7fc0, v5, vcc_lo
	global_store_b16 v[2:3], v4, off
.LBB12_3072:
	s_mov_b32 s3, 0
.LBB12_3073:
	s_delay_alu instid0(SALU_CYCLE_1)
	s_and_b32 vcc_lo, exec_lo, s3
	s_mov_b32 s3, 0
	s_cbranch_vccz .LBB12_3075
; %bb.3074:
	s_cmp_lg_u32 s2, 11
	s_mov_b32 s3, -1
	s_cselect_b32 s0, -1, 0
.LBB12_3075:
	s_delay_alu instid0(SALU_CYCLE_1)
	s_and_b32 vcc_lo, exec_lo, s0
	s_cbranch_vccnz .LBB12_3211
; %bb.3076:
	s_and_not1_b32 vcc_lo, exec_lo, s3
	s_cbranch_vccnz .LBB12_3078
.LBB12_3077:
	v_cmp_neq_f64_e32 vcc_lo, 0, v[60:61]
	s_mov_b32 s4, -1
	s_wait_xcnt 0x0
	v_cndmask_b32_e64 v4, 0, 1, vcc_lo
	global_store_b8 v[2:3], v4, off
.LBB12_3078:
	s_mov_b32 s0, 0
	s_branch .LBB12_3080
.LBB12_3079:
	s_mov_b32 s0, -1
	s_mov_b32 s4, 0
.LBB12_3080:
	s_and_b32 vcc_lo, exec_lo, s0
	s_cbranch_vccz .LBB12_3119
; %bb.3081:
	s_cmp_lt_i32 s2, 5
	s_mov_b32 s0, -1
	s_cbranch_scc1 .LBB12_3102
; %bb.3082:
	s_cmp_lt_i32 s2, 8
	s_cbranch_scc1 .LBB12_3092
; %bb.3083:
	s_cmp_lt_i32 s2, 9
	s_cbranch_scc1 .LBB12_3089
; %bb.3084:
	s_cmp_gt_i32 s2, 9
	s_cbranch_scc0 .LBB12_3086
; %bb.3085:
	v_mov_b32_e32 v62, 0
	s_mov_b32 s0, 0
	s_delay_alu instid0(VALU_DEP_1)
	v_mov_b32_e32 v63, v62
	global_store_b128 v[2:3], v[60:63], off
.LBB12_3086:
	s_and_not1_b32 vcc_lo, exec_lo, s0
	s_cbranch_vccnz .LBB12_3088
; %bb.3087:
	s_wait_xcnt 0x0
	v_cvt_f32_f64_e32 v4, v[60:61]
	v_mov_b32_e32 v5, 0
	global_store_b64 v[2:3], v[4:5], off
.LBB12_3088:
	s_mov_b32 s0, 0
.LBB12_3089:
	s_delay_alu instid0(SALU_CYCLE_1)
	s_and_not1_b32 vcc_lo, exec_lo, s0
	s_cbranch_vccnz .LBB12_3091
; %bb.3090:
	s_wait_xcnt 0x0
	v_and_or_b32 v4, 0x1ff, v61, v60
	v_lshrrev_b32_e32 v5, 8, v61
	v_bfe_u32 v6, v61, 20, 11
	s_delay_alu instid0(VALU_DEP_3) | instskip(NEXT) | instid1(VALU_DEP_2)
	v_cmp_ne_u32_e32 vcc_lo, 0, v4
	v_sub_nc_u32_e32 v7, 0x3f1, v6
	v_add_nc_u32_e32 v6, 0xfffffc10, v6
	v_cndmask_b32_e64 v4, 0, 1, vcc_lo
	s_delay_alu instid0(VALU_DEP_1) | instskip(NEXT) | instid1(VALU_DEP_4)
	v_and_or_b32 v4, 0xffe, v5, v4
	v_med3_i32 v5, v7, 0, 13
	s_delay_alu instid0(VALU_DEP_2) | instskip(NEXT) | instid1(VALU_DEP_1)
	v_or_b32_e32 v7, 0x1000, v4
	v_lshrrev_b32_e32 v8, v5, v7
	s_delay_alu instid0(VALU_DEP_1) | instskip(NEXT) | instid1(VALU_DEP_1)
	v_lshlrev_b32_e32 v5, v5, v8
	v_cmp_ne_u32_e32 vcc_lo, v5, v7
	v_lshl_or_b32 v7, v6, 12, v4
	v_cndmask_b32_e64 v5, 0, 1, vcc_lo
	v_cmp_gt_i32_e32 vcc_lo, 1, v6
	s_delay_alu instid0(VALU_DEP_2) | instskip(NEXT) | instid1(VALU_DEP_1)
	v_or_b32_e32 v5, v8, v5
	v_cndmask_b32_e32 v5, v7, v5, vcc_lo
	s_delay_alu instid0(VALU_DEP_1) | instskip(NEXT) | instid1(VALU_DEP_1)
	v_dual_lshrrev_b32 v5, 2, v5 :: v_dual_bitop2_b32 v7, 7, v5 bitop3:0x40
	v_cmp_lt_i32_e32 vcc_lo, 5, v7
	v_cndmask_b32_e64 v8, 0, 1, vcc_lo
	v_cmp_eq_u32_e32 vcc_lo, 3, v7
	v_cndmask_b32_e64 v7, 0, 1, vcc_lo
	v_cmp_ne_u32_e32 vcc_lo, 0, v4
	s_delay_alu instid0(VALU_DEP_2) | instskip(NEXT) | instid1(VALU_DEP_1)
	v_or_b32_e32 v7, v7, v8
	v_dual_mov_b32 v8, 0x7e00 :: v_dual_add_nc_u32 v5, v5, v7
	s_delay_alu instid0(VALU_DEP_1) | instskip(SKIP_2) | instid1(VALU_DEP_4)
	v_cndmask_b32_e32 v4, 0x7c00, v8, vcc_lo
	v_cmp_gt_i32_e32 vcc_lo, 31, v6
	v_lshrrev_b32_e32 v7, 16, v61
	v_cndmask_b32_e32 v5, 0x7c00, v5, vcc_lo
	v_cmp_eq_u32_e32 vcc_lo, 0x40f, v6
	s_delay_alu instid0(VALU_DEP_2) | instskip(NEXT) | instid1(VALU_DEP_4)
	v_cndmask_b32_e32 v4, v5, v4, vcc_lo
	v_and_b32_e32 v5, 0x8000, v7
	s_delay_alu instid0(VALU_DEP_1)
	v_bitop3_b32 v4, v5, 0xffff, v4 bitop3:0xc8
	global_store_b32 v[2:3], v4, off
.LBB12_3091:
	s_mov_b32 s0, 0
.LBB12_3092:
	s_delay_alu instid0(SALU_CYCLE_1)
	s_and_not1_b32 vcc_lo, exec_lo, s0
	s_cbranch_vccnz .LBB12_3101
; %bb.3093:
	s_cmp_lt_i32 s2, 6
	s_mov_b32 s0, -1
	s_cbranch_scc1 .LBB12_3099
; %bb.3094:
	s_cmp_gt_i32 s2, 6
	s_cbranch_scc0 .LBB12_3096
; %bb.3095:
	s_mov_b32 s0, 0
	global_store_b64 v[2:3], v[60:61], off
.LBB12_3096:
	s_and_not1_b32 vcc_lo, exec_lo, s0
	s_cbranch_vccnz .LBB12_3098
; %bb.3097:
	s_wait_xcnt 0x0
	v_cvt_f32_f64_e32 v4, v[60:61]
	global_store_b32 v[2:3], v4, off
.LBB12_3098:
	s_mov_b32 s0, 0
.LBB12_3099:
	s_delay_alu instid0(SALU_CYCLE_1)
	s_and_not1_b32 vcc_lo, exec_lo, s0
	s_cbranch_vccnz .LBB12_3101
; %bb.3100:
	s_wait_xcnt 0x0
	v_and_or_b32 v4, 0x1ff, v61, v60
	v_lshrrev_b32_e32 v5, 8, v61
	v_bfe_u32 v6, v61, 20, 11
	s_delay_alu instid0(VALU_DEP_3) | instskip(NEXT) | instid1(VALU_DEP_2)
	v_cmp_ne_u32_e32 vcc_lo, 0, v4
	v_sub_nc_u32_e32 v7, 0x3f1, v6
	v_add_nc_u32_e32 v6, 0xfffffc10, v6
	v_cndmask_b32_e64 v4, 0, 1, vcc_lo
	s_delay_alu instid0(VALU_DEP_1) | instskip(NEXT) | instid1(VALU_DEP_4)
	v_and_or_b32 v4, 0xffe, v5, v4
	v_med3_i32 v5, v7, 0, 13
	s_delay_alu instid0(VALU_DEP_2) | instskip(NEXT) | instid1(VALU_DEP_1)
	v_or_b32_e32 v7, 0x1000, v4
	v_lshrrev_b32_e32 v8, v5, v7
	s_delay_alu instid0(VALU_DEP_1) | instskip(NEXT) | instid1(VALU_DEP_1)
	v_lshlrev_b32_e32 v5, v5, v8
	v_cmp_ne_u32_e32 vcc_lo, v5, v7
	v_lshl_or_b32 v7, v6, 12, v4
	v_cndmask_b32_e64 v5, 0, 1, vcc_lo
	v_cmp_gt_i32_e32 vcc_lo, 1, v6
	s_delay_alu instid0(VALU_DEP_2) | instskip(NEXT) | instid1(VALU_DEP_1)
	v_or_b32_e32 v5, v8, v5
	v_cndmask_b32_e32 v5, v7, v5, vcc_lo
	s_delay_alu instid0(VALU_DEP_1) | instskip(NEXT) | instid1(VALU_DEP_1)
	v_dual_lshrrev_b32 v5, 2, v5 :: v_dual_bitop2_b32 v7, 7, v5 bitop3:0x40
	v_cmp_lt_i32_e32 vcc_lo, 5, v7
	v_cndmask_b32_e64 v8, 0, 1, vcc_lo
	v_cmp_eq_u32_e32 vcc_lo, 3, v7
	v_cndmask_b32_e64 v7, 0, 1, vcc_lo
	v_cmp_ne_u32_e32 vcc_lo, 0, v4
	s_delay_alu instid0(VALU_DEP_2) | instskip(NEXT) | instid1(VALU_DEP_1)
	v_or_b32_e32 v7, v7, v8
	v_dual_mov_b32 v8, 0x7e00 :: v_dual_add_nc_u32 v5, v5, v7
	s_delay_alu instid0(VALU_DEP_1) | instskip(SKIP_1) | instid1(VALU_DEP_3)
	v_cndmask_b32_e32 v4, 0x7c00, v8, vcc_lo
	v_cmp_gt_i32_e32 vcc_lo, 31, v6
	v_cndmask_b32_e32 v5, 0x7c00, v5, vcc_lo
	v_cmp_eq_u32_e32 vcc_lo, 0x40f, v6
	s_delay_alu instid0(VALU_DEP_2) | instskip(NEXT) | instid1(VALU_DEP_1)
	v_dual_cndmask_b32 v4, v5, v4 :: v_dual_lshrrev_b32 v5, 16, v61
	v_and_or_b32 v4, 0x8000, v5, v4
	global_store_b16 v[2:3], v4, off
.LBB12_3101:
	s_mov_b32 s0, 0
.LBB12_3102:
	s_delay_alu instid0(SALU_CYCLE_1)
	s_and_not1_b32 vcc_lo, exec_lo, s0
	s_cbranch_vccnz .LBB12_3118
; %bb.3103:
	s_cmp_lt_i32 s2, 2
	s_mov_b32 s0, -1
	s_cbranch_scc1 .LBB12_3113
; %bb.3104:
	s_cmp_lt_i32 s2, 3
	s_cbranch_scc1 .LBB12_3110
; %bb.3105:
	s_cmp_gt_i32 s2, 3
	s_cbranch_scc0 .LBB12_3107
; %bb.3106:
	s_wait_xcnt 0x0
	v_trunc_f64_e32 v[4:5], v[60:61]
	s_mov_b32 s0, 0
	s_delay_alu instid0(VALU_DEP_1) | instskip(NEXT) | instid1(VALU_DEP_1)
	v_ldexp_f64 v[6:7], v[4:5], 0xffffffe0
	v_floor_f64_e32 v[6:7], v[6:7]
	s_delay_alu instid0(VALU_DEP_1) | instskip(SKIP_1) | instid1(VALU_DEP_2)
	v_fmamk_f64 v[4:5], v[6:7], 0xc1f00000, v[4:5]
	v_cvt_i32_f64_e32 v7, v[6:7]
	v_cvt_u32_f64_e32 v6, v[4:5]
	global_store_b64 v[2:3], v[6:7], off
.LBB12_3107:
	s_and_not1_b32 vcc_lo, exec_lo, s0
	s_cbranch_vccnz .LBB12_3109
; %bb.3108:
	s_wait_xcnt 0x0
	v_cvt_i32_f64_e32 v4, v[60:61]
	global_store_b32 v[2:3], v4, off
.LBB12_3109:
	s_mov_b32 s0, 0
.LBB12_3110:
	s_delay_alu instid0(SALU_CYCLE_1)
	s_and_not1_b32 vcc_lo, exec_lo, s0
	s_cbranch_vccnz .LBB12_3112
; %bb.3111:
	s_wait_xcnt 0x0
	v_cvt_i32_f64_e32 v4, v[60:61]
	global_store_b16 v[2:3], v4, off
.LBB12_3112:
	s_mov_b32 s0, 0
.LBB12_3113:
	s_delay_alu instid0(SALU_CYCLE_1)
	s_and_not1_b32 vcc_lo, exec_lo, s0
	s_cbranch_vccnz .LBB12_3118
; %bb.3114:
	s_cmp_gt_i32 s2, 0
	s_mov_b32 s0, -1
	s_cbranch_scc0 .LBB12_3116
; %bb.3115:
	s_wait_xcnt 0x0
	v_cvt_i32_f64_e32 v4, v[60:61]
	s_mov_b32 s0, 0
	global_store_b8 v[2:3], v4, off
.LBB12_3116:
	s_and_not1_b32 vcc_lo, exec_lo, s0
	s_cbranch_vccnz .LBB12_3118
; %bb.3117:
	s_wait_xcnt 0x0
	v_trunc_f64_e32 v[4:5], v[60:61]
	s_delay_alu instid0(VALU_DEP_1) | instskip(NEXT) | instid1(VALU_DEP_1)
	v_ldexp_f64 v[6:7], v[4:5], 0xffffffe0
	v_floor_f64_e32 v[6:7], v[6:7]
	s_delay_alu instid0(VALU_DEP_1) | instskip(NEXT) | instid1(VALU_DEP_1)
	v_fmamk_f64 v[4:5], v[6:7], 0xc1f00000, v[4:5]
	v_cvt_u32_f64_e32 v4, v[4:5]
	global_store_b8 v[2:3], v4, off
.LBB12_3118:
	s_mov_b32 s4, -1
.LBB12_3119:
	s_delay_alu instid0(SALU_CYCLE_1)
	s_and_not1_b32 vcc_lo, exec_lo, s4
	s_cbranch_vccnz .LBB12_3196
; %bb.3120:
	v_mov_b32_e32 v73, 0
	s_cmp_lt_i32 s2, 11
	s_wait_xcnt 0x0
	s_delay_alu instid0(VALU_DEP_1)
	v_add_nc_u64_e32 v[4:5], s[36:37], v[72:73]
	s_cbranch_scc1 .LBB12_3197
; %bb.3121:
	s_mov_b32 s4, -1
	s_mov_b32 s3, 0
	s_cmp_gt_i32 s2, 25
	s_mov_b32 s0, 0
	s_cbranch_scc0 .LBB12_3154
; %bb.3122:
	s_cmp_gt_i32 s2, 28
	s_cbranch_scc0 .LBB12_3138
; %bb.3123:
	s_cmp_gt_i32 s2, 43
	;; [unrolled: 3-line block ×3, first 2 shown]
	s_cbranch_scc0 .LBB12_3128
; %bb.3125:
	s_cmp_eq_u32 s2, 46
	s_mov_b32 s0, -1
	s_cbranch_scc0 .LBB12_3127
; %bb.3126:
	v_cvt_f32_f64_e32 v2, v[0:1]
	s_mov_b32 s0, 0
	s_delay_alu instid0(VALU_DEP_1) | instskip(SKIP_1) | instid1(VALU_DEP_2)
	v_bfe_u32 v3, v2, 16, 1
	v_cmp_o_f32_e32 vcc_lo, v2, v2
	v_add3_u32 v3, v2, v3, 0x7fff
	s_delay_alu instid0(VALU_DEP_1) | instskip(NEXT) | instid1(VALU_DEP_1)
	v_lshrrev_b32_e32 v3, 16, v3
	v_cndmask_b32_e32 v2, 0x7fc0, v3, vcc_lo
	global_store_b32 v[4:5], v2, off
.LBB12_3127:
	s_mov_b32 s4, 0
.LBB12_3128:
	s_delay_alu instid0(SALU_CYCLE_1)
	s_and_b32 vcc_lo, exec_lo, s4
	s_cbranch_vccz .LBB12_3133
; %bb.3129:
	s_cmp_eq_u32 s2, 44
	s_mov_b32 s0, -1
	s_cbranch_scc0 .LBB12_3133
; %bb.3130:
	s_wait_xcnt 0x0
	v_cvt_f32_f64_e32 v2, v[0:1]
	v_mov_b32_e32 v3, 0xff
	s_mov_b32 s4, exec_lo
	s_delay_alu instid0(VALU_DEP_2) | instskip(NEXT) | instid1(VALU_DEP_1)
	v_bfe_u32 v6, v2, 23, 8
	v_cmpx_ne_u32_e32 0xff, v6
	s_cbranch_execz .LBB12_3132
; %bb.3131:
	v_and_b32_e32 v3, 0x400000, v2
	v_and_or_b32 v6, 0x3fffff, v2, v6
	v_lshrrev_b32_e32 v2, 23, v2
	s_delay_alu instid0(VALU_DEP_3) | instskip(NEXT) | instid1(VALU_DEP_3)
	v_cmp_ne_u32_e32 vcc_lo, 0, v3
	v_cmp_ne_u32_e64 s0, 0, v6
	s_and_b32 s0, vcc_lo, s0
	s_delay_alu instid0(SALU_CYCLE_1) | instskip(NEXT) | instid1(VALU_DEP_1)
	v_cndmask_b32_e64 v3, 0, 1, s0
	v_add_nc_u32_e32 v3, v2, v3
.LBB12_3132:
	s_or_b32 exec_lo, exec_lo, s4
	s_mov_b32 s0, 0
	global_store_b8 v[4:5], v3, off
.LBB12_3133:
	s_mov_b32 s4, 0
.LBB12_3134:
	s_delay_alu instid0(SALU_CYCLE_1)
	s_and_b32 vcc_lo, exec_lo, s4
	s_cbranch_vccz .LBB12_3137
; %bb.3135:
	s_cmp_eq_u32 s2, 29
	s_mov_b32 s0, -1
	s_cbranch_scc0 .LBB12_3137
; %bb.3136:
	s_wait_xcnt 0x0
	v_trunc_f64_e32 v[2:3], v[0:1]
	s_mov_b32 s0, 0
	s_delay_alu instid0(VALU_DEP_1) | instskip(NEXT) | instid1(VALU_DEP_1)
	v_ldexp_f64 v[6:7], v[2:3], 0xffffffe0
	v_floor_f64_e32 v[6:7], v[6:7]
	s_delay_alu instid0(VALU_DEP_1) | instskip(SKIP_1) | instid1(VALU_DEP_2)
	v_fmamk_f64 v[2:3], v[6:7], 0xc1f00000, v[2:3]
	v_cvt_u32_f64_e32 v7, v[6:7]
	v_cvt_u32_f64_e32 v6, v[2:3]
	global_store_b64 v[4:5], v[6:7], off
.LBB12_3137:
	s_mov_b32 s4, 0
.LBB12_3138:
	s_delay_alu instid0(SALU_CYCLE_1)
	s_and_b32 vcc_lo, exec_lo, s4
	s_cbranch_vccz .LBB12_3153
; %bb.3139:
	s_cmp_lt_i32 s2, 27
	s_mov_b32 s4, -1
	s_cbranch_scc1 .LBB12_3145
; %bb.3140:
	s_wait_xcnt 0x0
	v_cvt_u32_f64_e32 v2, v[0:1]
	s_cmp_gt_i32 s2, 27
	s_cbranch_scc0 .LBB12_3142
; %bb.3141:
	s_mov_b32 s4, 0
	global_store_b32 v[4:5], v2, off
.LBB12_3142:
	s_and_not1_b32 vcc_lo, exec_lo, s4
	s_cbranch_vccnz .LBB12_3144
; %bb.3143:
	global_store_b16 v[4:5], v2, off
.LBB12_3144:
	s_mov_b32 s4, 0
.LBB12_3145:
	s_delay_alu instid0(SALU_CYCLE_1)
	s_and_not1_b32 vcc_lo, exec_lo, s4
	s_cbranch_vccnz .LBB12_3153
; %bb.3146:
	s_wait_xcnt 0x0
	v_cvt_f32_f64_e32 v2, v[0:1]
	v_mov_b32_e32 v6, 0x80
	s_mov_b32 s4, exec_lo
	s_delay_alu instid0(VALU_DEP_2) | instskip(NEXT) | instid1(VALU_DEP_1)
	v_and_b32_e32 v3, 0x7fffffff, v2
	v_cmpx_gt_u32_e32 0x43800000, v3
	s_cbranch_execz .LBB12_3152
; %bb.3147:
	v_cmp_lt_u32_e32 vcc_lo, 0x3bffffff, v3
	s_mov_b32 s5, 0
                                        ; implicit-def: $vgpr3
	s_and_saveexec_b32 s6, vcc_lo
	s_delay_alu instid0(SALU_CYCLE_1)
	s_xor_b32 s6, exec_lo, s6
	s_cbranch_execz .LBB12_3214
; %bb.3148:
	v_bfe_u32 v3, v2, 20, 1
	s_mov_b32 s5, exec_lo
	s_delay_alu instid0(VALU_DEP_1) | instskip(NEXT) | instid1(VALU_DEP_1)
	v_add3_u32 v3, v2, v3, 0x487ffff
	v_lshrrev_b32_e32 v3, 20, v3
	s_and_not1_saveexec_b32 s6, s6
	s_cbranch_execnz .LBB12_3215
.LBB12_3149:
	s_or_b32 exec_lo, exec_lo, s6
	v_mov_b32_e32 v6, 0
	s_and_saveexec_b32 s6, s5
.LBB12_3150:
	v_lshrrev_b32_e32 v2, 24, v2
	s_delay_alu instid0(VALU_DEP_1)
	v_and_or_b32 v6, 0x80, v2, v3
.LBB12_3151:
	s_or_b32 exec_lo, exec_lo, s6
.LBB12_3152:
	s_delay_alu instid0(SALU_CYCLE_1)
	s_or_b32 exec_lo, exec_lo, s4
	global_store_b8 v[4:5], v6, off
.LBB12_3153:
	s_mov_b32 s4, 0
.LBB12_3154:
	s_delay_alu instid0(SALU_CYCLE_1)
	s_and_b32 vcc_lo, exec_lo, s4
	s_cbranch_vccz .LBB12_3194
; %bb.3155:
	s_cmp_gt_i32 s2, 22
	s_mov_b32 s3, -1
	s_cbranch_scc0 .LBB12_3187
; %bb.3156:
	s_cmp_lt_i32 s2, 24
	s_cbranch_scc1 .LBB12_3176
; %bb.3157:
	s_cmp_gt_i32 s2, 24
	s_cbranch_scc0 .LBB12_3165
; %bb.3158:
	s_wait_xcnt 0x0
	v_cvt_f32_f64_e32 v2, v[0:1]
	v_mov_b32_e32 v6, 0x80
	s_mov_b32 s3, exec_lo
	s_delay_alu instid0(VALU_DEP_2) | instskip(NEXT) | instid1(VALU_DEP_1)
	v_and_b32_e32 v3, 0x7fffffff, v2
	v_cmpx_gt_u32_e32 0x47800000, v3
	s_cbranch_execz .LBB12_3164
; %bb.3159:
	v_cmp_lt_u32_e32 vcc_lo, 0x37ffffff, v3
	s_mov_b32 s4, 0
                                        ; implicit-def: $vgpr3
	s_and_saveexec_b32 s5, vcc_lo
	s_delay_alu instid0(SALU_CYCLE_1)
	s_xor_b32 s5, exec_lo, s5
	s_cbranch_execz .LBB12_3217
; %bb.3160:
	v_bfe_u32 v3, v2, 21, 1
	s_mov_b32 s4, exec_lo
	s_delay_alu instid0(VALU_DEP_1) | instskip(NEXT) | instid1(VALU_DEP_1)
	v_add3_u32 v3, v2, v3, 0x88fffff
	v_lshrrev_b32_e32 v3, 21, v3
	s_and_not1_saveexec_b32 s5, s5
	s_cbranch_execnz .LBB12_3218
.LBB12_3161:
	s_or_b32 exec_lo, exec_lo, s5
	v_mov_b32_e32 v6, 0
	s_and_saveexec_b32 s5, s4
.LBB12_3162:
	v_lshrrev_b32_e32 v2, 24, v2
	s_delay_alu instid0(VALU_DEP_1)
	v_and_or_b32 v6, 0x80, v2, v3
.LBB12_3163:
	s_or_b32 exec_lo, exec_lo, s5
.LBB12_3164:
	s_delay_alu instid0(SALU_CYCLE_1)
	s_or_b32 exec_lo, exec_lo, s3
	s_mov_b32 s3, 0
	global_store_b8 v[4:5], v6, off
.LBB12_3165:
	s_and_b32 vcc_lo, exec_lo, s3
	s_cbranch_vccz .LBB12_3175
; %bb.3166:
	s_wait_xcnt 0x0
	v_cvt_f32_f64_e32 v2, v[0:1]
	s_mov_b32 s3, exec_lo
                                        ; implicit-def: $vgpr3
	s_delay_alu instid0(VALU_DEP_1) | instskip(NEXT) | instid1(VALU_DEP_1)
	v_and_b32_e32 v6, 0x7fffffff, v2
	v_cmpx_gt_u32_e32 0x43f00000, v6
	s_xor_b32 s3, exec_lo, s3
	s_cbranch_execz .LBB12_3172
; %bb.3167:
	s_mov_b32 s4, exec_lo
                                        ; implicit-def: $vgpr3
	v_cmpx_lt_u32_e32 0x3c7fffff, v6
	s_xor_b32 s4, exec_lo, s4
; %bb.3168:
	v_bfe_u32 v3, v2, 20, 1
	s_delay_alu instid0(VALU_DEP_1) | instskip(NEXT) | instid1(VALU_DEP_1)
	v_add3_u32 v3, v2, v3, 0x407ffff
	v_and_b32_e32 v6, 0xff00000, v3
	v_lshrrev_b32_e32 v3, 20, v3
	s_delay_alu instid0(VALU_DEP_2) | instskip(NEXT) | instid1(VALU_DEP_2)
	v_cmp_ne_u32_e32 vcc_lo, 0x7f00000, v6
	v_cndmask_b32_e32 v3, 0x7e, v3, vcc_lo
; %bb.3169:
	s_and_not1_saveexec_b32 s4, s4
; %bb.3170:
	v_add_f32_e64 v3, 0x46800000, |v2|
; %bb.3171:
	s_or_b32 exec_lo, exec_lo, s4
                                        ; implicit-def: $vgpr6
.LBB12_3172:
	s_and_not1_saveexec_b32 s3, s3
; %bb.3173:
	v_mov_b32_e32 v3, 0x7f
	v_cmp_lt_u32_e32 vcc_lo, 0x7f800000, v6
	s_delay_alu instid0(VALU_DEP_2)
	v_cndmask_b32_e32 v3, 0x7e, v3, vcc_lo
; %bb.3174:
	s_or_b32 exec_lo, exec_lo, s3
	v_lshrrev_b32_e32 v2, 24, v2
	s_delay_alu instid0(VALU_DEP_1)
	v_and_or_b32 v2, 0x80, v2, v3
	global_store_b8 v[4:5], v2, off
.LBB12_3175:
	s_mov_b32 s3, 0
.LBB12_3176:
	s_delay_alu instid0(SALU_CYCLE_1)
	s_and_not1_b32 vcc_lo, exec_lo, s3
	s_cbranch_vccnz .LBB12_3186
; %bb.3177:
	s_wait_xcnt 0x0
	v_cvt_f32_f64_e32 v2, v[0:1]
	s_mov_b32 s3, exec_lo
                                        ; implicit-def: $vgpr3
	s_delay_alu instid0(VALU_DEP_1) | instskip(NEXT) | instid1(VALU_DEP_1)
	v_and_b32_e32 v6, 0x7fffffff, v2
	v_cmpx_gt_u32_e32 0x47800000, v6
	s_xor_b32 s3, exec_lo, s3
	s_cbranch_execz .LBB12_3183
; %bb.3178:
	s_mov_b32 s4, exec_lo
                                        ; implicit-def: $vgpr3
	v_cmpx_lt_u32_e32 0x387fffff, v6
	s_xor_b32 s4, exec_lo, s4
; %bb.3179:
	v_bfe_u32 v3, v2, 21, 1
	s_delay_alu instid0(VALU_DEP_1) | instskip(NEXT) | instid1(VALU_DEP_1)
	v_add3_u32 v3, v2, v3, 0x80fffff
	v_lshrrev_b32_e32 v3, 21, v3
; %bb.3180:
	s_and_not1_saveexec_b32 s4, s4
; %bb.3181:
	v_add_f32_e64 v3, 0x43000000, |v2|
; %bb.3182:
	s_or_b32 exec_lo, exec_lo, s4
                                        ; implicit-def: $vgpr6
.LBB12_3183:
	s_and_not1_saveexec_b32 s3, s3
; %bb.3184:
	v_mov_b32_e32 v3, 0x7f
	v_cmp_lt_u32_e32 vcc_lo, 0x7f800000, v6
	s_delay_alu instid0(VALU_DEP_2)
	v_cndmask_b32_e32 v3, 0x7c, v3, vcc_lo
; %bb.3185:
	s_or_b32 exec_lo, exec_lo, s3
	v_lshrrev_b32_e32 v2, 24, v2
	s_delay_alu instid0(VALU_DEP_1)
	v_and_or_b32 v2, 0x80, v2, v3
	global_store_b8 v[4:5], v2, off
.LBB12_3186:
	s_mov_b32 s3, 0
.LBB12_3187:
	s_delay_alu instid0(SALU_CYCLE_1)
	s_and_not1_b32 vcc_lo, exec_lo, s3
	s_mov_b32 s3, 0
	s_cbranch_vccnz .LBB12_3194
; %bb.3188:
	s_cmp_gt_i32 s2, 14
	s_mov_b32 s3, -1
	s_cbranch_scc0 .LBB12_3192
; %bb.3189:
	s_cmp_eq_u32 s2, 15
	s_mov_b32 s0, -1
	s_cbranch_scc0 .LBB12_3191
; %bb.3190:
	s_wait_xcnt 0x0
	v_cvt_f32_f64_e32 v2, v[0:1]
	s_mov_b32 s0, 0
	s_delay_alu instid0(VALU_DEP_1) | instskip(SKIP_1) | instid1(VALU_DEP_2)
	v_bfe_u32 v3, v2, 16, 1
	v_cmp_o_f32_e32 vcc_lo, v2, v2
	v_add3_u32 v3, v2, v3, 0x7fff
	s_delay_alu instid0(VALU_DEP_1) | instskip(NEXT) | instid1(VALU_DEP_1)
	v_lshrrev_b32_e32 v3, 16, v3
	v_cndmask_b32_e32 v2, 0x7fc0, v3, vcc_lo
	global_store_b16 v[4:5], v2, off
.LBB12_3191:
	s_mov_b32 s3, 0
.LBB12_3192:
	s_delay_alu instid0(SALU_CYCLE_1)
	s_and_b32 vcc_lo, exec_lo, s3
	s_mov_b32 s3, 0
	s_cbranch_vccz .LBB12_3194
; %bb.3193:
	s_cmp_lg_u32 s2, 11
	s_mov_b32 s3, -1
	s_cselect_b32 s0, -1, 0
.LBB12_3194:
	s_delay_alu instid0(SALU_CYCLE_1)
	s_and_b32 vcc_lo, exec_lo, s0
	s_cbranch_vccnz .LBB12_3216
.LBB12_3195:
	s_mov_b32 s0, 0
	s_branch .LBB12_2716
.LBB12_3196:
	s_mov_b32 s0, 0
	s_mov_b32 s3, 0
                                        ; implicit-def: $vgpr4_vgpr5
                                        ; implicit-def: $sgpr1
	s_branch .LBB12_2716
.LBB12_3197:
	s_mov_b32 s3, 0
	s_mov_b32 s0, -1
	s_branch .LBB12_2716
.LBB12_3198:
	s_or_b32 s48, s48, exec_lo
	s_trap 2
	s_cbranch_execz .LBB12_2661
	s_branch .LBB12_2662
.LBB12_3199:
	s_and_not1_saveexec_b32 s6, s6
	s_cbranch_execz .LBB12_2791
.LBB12_3200:
	v_add_f32_e64 v5, 0x46000000, |v4|
	s_and_not1_b32 s5, s5, exec_lo
	s_delay_alu instid0(VALU_DEP_1) | instskip(NEXT) | instid1(VALU_DEP_1)
	v_and_b32_e32 v5, 0xff, v5
	v_cmp_ne_u32_e32 vcc_lo, 0, v5
	s_and_b32 s7, vcc_lo, exec_lo
	s_delay_alu instid0(SALU_CYCLE_1)
	s_or_b32 s5, s5, s7
	s_or_b32 exec_lo, exec_lo, s6
	v_mov_b32_e32 v6, 0
	s_and_saveexec_b32 s6, s5
	s_cbranch_execnz .LBB12_2792
	s_branch .LBB12_2793
.LBB12_3201:
	s_or_b32 s48, s48, exec_lo
	s_trap 2
	s_cbranch_execz .LBB12_2839
	s_branch .LBB12_2840
.LBB12_3202:
	s_and_not1_saveexec_b32 s5, s5
	s_cbranch_execz .LBB12_2804
.LBB12_3203:
	v_add_f32_e64 v5, 0x42800000, |v4|
	s_and_not1_b32 s4, s4, exec_lo
	s_delay_alu instid0(VALU_DEP_1) | instskip(NEXT) | instid1(VALU_DEP_1)
	v_and_b32_e32 v5, 0xff, v5
	v_cmp_ne_u32_e32 vcc_lo, 0, v5
	s_and_b32 s6, vcc_lo, exec_lo
	s_delay_alu instid0(SALU_CYCLE_1)
	s_or_b32 s4, s4, s6
	s_or_b32 exec_lo, exec_lo, s5
	v_mov_b32_e32 v6, 0
	s_and_saveexec_b32 s5, s4
	s_cbranch_execnz .LBB12_2805
	s_branch .LBB12_2806
.LBB12_3204:
	s_and_not1_saveexec_b32 s6, s6
	s_cbranch_execz .LBB12_2910
.LBB12_3205:
	v_add_f32_e64 v5, 0x46000000, |v4|
	s_and_not1_b32 s5, s5, exec_lo
	s_delay_alu instid0(VALU_DEP_1) | instskip(NEXT) | instid1(VALU_DEP_1)
	v_and_b32_e32 v5, 0xff, v5
	v_cmp_ne_u32_e32 vcc_lo, 0, v5
	s_and_b32 s7, vcc_lo, exec_lo
	s_delay_alu instid0(SALU_CYCLE_1)
	s_or_b32 s5, s5, s7
	s_or_b32 exec_lo, exec_lo, s6
	v_mov_b32_e32 v6, 0
	s_and_saveexec_b32 s6, s5
	s_cbranch_execnz .LBB12_2911
	s_branch .LBB12_2912
.LBB12_3206:
	s_or_b32 s48, s48, exec_lo
	s_trap 2
	s_cbranch_execz .LBB12_2958
	s_branch .LBB12_2959
.LBB12_3207:
	s_and_not1_saveexec_b32 s5, s5
	s_cbranch_execz .LBB12_2923
.LBB12_3208:
	v_add_f32_e64 v5, 0x42800000, |v4|
	s_and_not1_b32 s4, s4, exec_lo
	s_delay_alu instid0(VALU_DEP_1) | instskip(NEXT) | instid1(VALU_DEP_1)
	v_and_b32_e32 v5, 0xff, v5
	v_cmp_ne_u32_e32 vcc_lo, 0, v5
	s_and_b32 s6, vcc_lo, exec_lo
	s_delay_alu instid0(SALU_CYCLE_1)
	s_or_b32 s4, s4, s6
	s_or_b32 exec_lo, exec_lo, s5
	v_mov_b32_e32 v6, 0
	s_and_saveexec_b32 s5, s4
	s_cbranch_execnz .LBB12_2924
	s_branch .LBB12_2925
.LBB12_3209:
	s_and_not1_saveexec_b32 s6, s6
	s_cbranch_execz .LBB12_3029
.LBB12_3210:
	v_add_f32_e64 v5, 0x46000000, |v4|
	s_and_not1_b32 s5, s5, exec_lo
	s_delay_alu instid0(VALU_DEP_1) | instskip(NEXT) | instid1(VALU_DEP_1)
	v_and_b32_e32 v5, 0xff, v5
	v_cmp_ne_u32_e32 vcc_lo, 0, v5
	s_and_b32 s7, vcc_lo, exec_lo
	s_delay_alu instid0(SALU_CYCLE_1)
	s_or_b32 s5, s5, s7
	s_or_b32 exec_lo, exec_lo, s6
	v_mov_b32_e32 v6, 0
	s_and_saveexec_b32 s6, s5
	s_cbranch_execnz .LBB12_3030
	s_branch .LBB12_3031
.LBB12_3211:
	s_or_b32 s48, s48, exec_lo
	s_trap 2
	s_cbranch_execz .LBB12_3077
	s_branch .LBB12_3078
.LBB12_3212:
	s_and_not1_saveexec_b32 s5, s5
	s_cbranch_execz .LBB12_3042
.LBB12_3213:
	v_add_f32_e64 v5, 0x42800000, |v4|
	s_and_not1_b32 s4, s4, exec_lo
	s_delay_alu instid0(VALU_DEP_1) | instskip(NEXT) | instid1(VALU_DEP_1)
	v_and_b32_e32 v5, 0xff, v5
	v_cmp_ne_u32_e32 vcc_lo, 0, v5
	s_and_b32 s6, vcc_lo, exec_lo
	s_delay_alu instid0(SALU_CYCLE_1)
	s_or_b32 s4, s4, s6
	s_or_b32 exec_lo, exec_lo, s5
	v_mov_b32_e32 v6, 0
	s_and_saveexec_b32 s5, s4
	s_cbranch_execnz .LBB12_3043
	s_branch .LBB12_3044
.LBB12_3214:
	s_and_not1_saveexec_b32 s6, s6
	s_cbranch_execz .LBB12_3149
.LBB12_3215:
	v_add_f32_e64 v3, 0x46000000, |v2|
	s_and_not1_b32 s5, s5, exec_lo
	s_delay_alu instid0(VALU_DEP_1) | instskip(NEXT) | instid1(VALU_DEP_1)
	v_and_b32_e32 v3, 0xff, v3
	v_cmp_ne_u32_e32 vcc_lo, 0, v3
	s_and_b32 s7, vcc_lo, exec_lo
	s_delay_alu instid0(SALU_CYCLE_1)
	s_or_b32 s5, s5, s7
	s_or_b32 exec_lo, exec_lo, s6
	v_mov_b32_e32 v6, 0
	s_and_saveexec_b32 s6, s5
	s_cbranch_execnz .LBB12_3150
	s_branch .LBB12_3151
.LBB12_3216:
	s_mov_b32 s3, 0
	s_or_b32 s48, s48, exec_lo
	s_trap 2
	s_branch .LBB12_3195
.LBB12_3217:
	s_and_not1_saveexec_b32 s5, s5
	s_cbranch_execz .LBB12_3161
.LBB12_3218:
	v_add_f32_e64 v3, 0x42800000, |v2|
	s_and_not1_b32 s4, s4, exec_lo
	s_delay_alu instid0(VALU_DEP_1) | instskip(NEXT) | instid1(VALU_DEP_1)
	v_and_b32_e32 v3, 0xff, v3
	v_cmp_ne_u32_e32 vcc_lo, 0, v3
	s_and_b32 s6, vcc_lo, exec_lo
	s_delay_alu instid0(SALU_CYCLE_1)
	s_or_b32 s4, s4, s6
	s_or_b32 exec_lo, exec_lo, s5
	v_mov_b32_e32 v6, 0
	s_and_saveexec_b32 s5, s4
	s_cbranch_execnz .LBB12_3162
	s_branch .LBB12_3163
	.section	.rodata,"a",@progbits
	.p2align	6, 0x0
	.amdhsa_kernel _ZN2at6native32elementwise_kernel_manual_unrollILi128ELi4EZNS0_15gpu_kernel_implIN12_GLOBAL__N_110CalcIgammaIdEEEEvRNS_18TensorIteratorBaseERKT_EUlibE0_EEviT1_
		.amdhsa_group_segment_fixed_size 0
		.amdhsa_private_segment_fixed_size 240
		.amdhsa_kernarg_size 432
		.amdhsa_user_sgpr_count 2
		.amdhsa_user_sgpr_dispatch_ptr 0
		.amdhsa_user_sgpr_queue_ptr 0
		.amdhsa_user_sgpr_kernarg_segment_ptr 1
		.amdhsa_user_sgpr_dispatch_id 0
		.amdhsa_user_sgpr_kernarg_preload_length 0
		.amdhsa_user_sgpr_kernarg_preload_offset 0
		.amdhsa_user_sgpr_private_segment_size 0
		.amdhsa_wavefront_size32 1
		.amdhsa_uses_dynamic_stack 0
		.amdhsa_enable_private_segment 1
		.amdhsa_system_sgpr_workgroup_id_x 1
		.amdhsa_system_sgpr_workgroup_id_y 0
		.amdhsa_system_sgpr_workgroup_id_z 0
		.amdhsa_system_sgpr_workgroup_info 0
		.amdhsa_system_vgpr_workitem_id 0
		.amdhsa_next_free_vgpr 120
		.amdhsa_next_free_sgpr 84
		.amdhsa_named_barrier_count 0
		.amdhsa_reserve_vcc 1
		.amdhsa_float_round_mode_32 0
		.amdhsa_float_round_mode_16_64 0
		.amdhsa_float_denorm_mode_32 3
		.amdhsa_float_denorm_mode_16_64 3
		.amdhsa_fp16_overflow 0
		.amdhsa_memory_ordered 1
		.amdhsa_forward_progress 1
		.amdhsa_inst_pref_size 255
		.amdhsa_round_robin_scheduling 0
		.amdhsa_exception_fp_ieee_invalid_op 0
		.amdhsa_exception_fp_denorm_src 0
		.amdhsa_exception_fp_ieee_div_zero 0
		.amdhsa_exception_fp_ieee_overflow 0
		.amdhsa_exception_fp_ieee_underflow 0
		.amdhsa_exception_fp_ieee_inexact 0
		.amdhsa_exception_int_div_zero 0
	.end_amdhsa_kernel
	.section	.text._ZN2at6native32elementwise_kernel_manual_unrollILi128ELi4EZNS0_15gpu_kernel_implIN12_GLOBAL__N_110CalcIgammaIdEEEEvRNS_18TensorIteratorBaseERKT_EUlibE0_EEviT1_,"axG",@progbits,_ZN2at6native32elementwise_kernel_manual_unrollILi128ELi4EZNS0_15gpu_kernel_implIN12_GLOBAL__N_110CalcIgammaIdEEEEvRNS_18TensorIteratorBaseERKT_EUlibE0_EEviT1_,comdat
.Lfunc_end12:
	.size	_ZN2at6native32elementwise_kernel_manual_unrollILi128ELi4EZNS0_15gpu_kernel_implIN12_GLOBAL__N_110CalcIgammaIdEEEEvRNS_18TensorIteratorBaseERKT_EUlibE0_EEviT1_, .Lfunc_end12-_ZN2at6native32elementwise_kernel_manual_unrollILi128ELi4EZNS0_15gpu_kernel_implIN12_GLOBAL__N_110CalcIgammaIdEEEEvRNS_18TensorIteratorBaseERKT_EUlibE0_EEviT1_
                                        ; -- End function
	.set _ZN2at6native32elementwise_kernel_manual_unrollILi128ELi4EZNS0_15gpu_kernel_implIN12_GLOBAL__N_110CalcIgammaIdEEEEvRNS_18TensorIteratorBaseERKT_EUlibE0_EEviT1_.num_vgpr, max(92, .L_ZN12_GLOBAL__N_111calc_igammaIdEET_S1_S1_.num_vgpr, .L_ZN12_GLOBAL__N_112calc_igammacIdEET_S1_S1_.num_vgpr)
	.set _ZN2at6native32elementwise_kernel_manual_unrollILi128ELi4EZNS0_15gpu_kernel_implIN12_GLOBAL__N_110CalcIgammaIdEEEEvRNS_18TensorIteratorBaseERKT_EUlibE0_EEviT1_.num_agpr, max(0, .L_ZN12_GLOBAL__N_111calc_igammaIdEET_S1_S1_.num_agpr, .L_ZN12_GLOBAL__N_112calc_igammacIdEET_S1_S1_.num_agpr)
	.set _ZN2at6native32elementwise_kernel_manual_unrollILi128ELi4EZNS0_15gpu_kernel_implIN12_GLOBAL__N_110CalcIgammaIdEEEEvRNS_18TensorIteratorBaseERKT_EUlibE0_EEviT1_.numbered_sgpr, max(84, .L_ZN12_GLOBAL__N_111calc_igammaIdEET_S1_S1_.numbered_sgpr, .L_ZN12_GLOBAL__N_112calc_igammacIdEET_S1_S1_.numbered_sgpr)
	.set _ZN2at6native32elementwise_kernel_manual_unrollILi128ELi4EZNS0_15gpu_kernel_implIN12_GLOBAL__N_110CalcIgammaIdEEEEvRNS_18TensorIteratorBaseERKT_EUlibE0_EEviT1_.num_named_barrier, max(0, .L_ZN12_GLOBAL__N_111calc_igammaIdEET_S1_S1_.num_named_barrier, .L_ZN12_GLOBAL__N_112calc_igammacIdEET_S1_S1_.num_named_barrier)
	.set _ZN2at6native32elementwise_kernel_manual_unrollILi128ELi4EZNS0_15gpu_kernel_implIN12_GLOBAL__N_110CalcIgammaIdEEEEvRNS_18TensorIteratorBaseERKT_EUlibE0_EEviT1_.private_seg_size, 0+max(.L_ZN12_GLOBAL__N_111calc_igammaIdEET_S1_S1_.private_seg_size, .L_ZN12_GLOBAL__N_112calc_igammacIdEET_S1_S1_.private_seg_size)
	.set _ZN2at6native32elementwise_kernel_manual_unrollILi128ELi4EZNS0_15gpu_kernel_implIN12_GLOBAL__N_110CalcIgammaIdEEEEvRNS_18TensorIteratorBaseERKT_EUlibE0_EEviT1_.uses_vcc, or(1, .L_ZN12_GLOBAL__N_111calc_igammaIdEET_S1_S1_.uses_vcc, .L_ZN12_GLOBAL__N_112calc_igammacIdEET_S1_S1_.uses_vcc)
	.set _ZN2at6native32elementwise_kernel_manual_unrollILi128ELi4EZNS0_15gpu_kernel_implIN12_GLOBAL__N_110CalcIgammaIdEEEEvRNS_18TensorIteratorBaseERKT_EUlibE0_EEviT1_.uses_flat_scratch, or(0, .L_ZN12_GLOBAL__N_111calc_igammaIdEET_S1_S1_.uses_flat_scratch, .L_ZN12_GLOBAL__N_112calc_igammacIdEET_S1_S1_.uses_flat_scratch)
	.set _ZN2at6native32elementwise_kernel_manual_unrollILi128ELi4EZNS0_15gpu_kernel_implIN12_GLOBAL__N_110CalcIgammaIdEEEEvRNS_18TensorIteratorBaseERKT_EUlibE0_EEviT1_.has_dyn_sized_stack, or(0, .L_ZN12_GLOBAL__N_111calc_igammaIdEET_S1_S1_.has_dyn_sized_stack, .L_ZN12_GLOBAL__N_112calc_igammacIdEET_S1_S1_.has_dyn_sized_stack)
	.set _ZN2at6native32elementwise_kernel_manual_unrollILi128ELi4EZNS0_15gpu_kernel_implIN12_GLOBAL__N_110CalcIgammaIdEEEEvRNS_18TensorIteratorBaseERKT_EUlibE0_EEviT1_.has_recursion, or(0, .L_ZN12_GLOBAL__N_111calc_igammaIdEET_S1_S1_.has_recursion, .L_ZN12_GLOBAL__N_112calc_igammacIdEET_S1_S1_.has_recursion)
	.set _ZN2at6native32elementwise_kernel_manual_unrollILi128ELi4EZNS0_15gpu_kernel_implIN12_GLOBAL__N_110CalcIgammaIdEEEEvRNS_18TensorIteratorBaseERKT_EUlibE0_EEviT1_.has_indirect_call, or(0, .L_ZN12_GLOBAL__N_111calc_igammaIdEET_S1_S1_.has_indirect_call, .L_ZN12_GLOBAL__N_112calc_igammacIdEET_S1_S1_.has_indirect_call)
	.section	.AMDGPU.csdata,"",@progbits
; Kernel info:
; codeLenInByte = 65628
; TotalNumSgprs: 86
; NumVgprs: 120
; ScratchSize: 240
; MemoryBound: 1
; FloatMode: 240
; IeeeMode: 1
; LDSByteSize: 0 bytes/workgroup (compile time only)
; SGPRBlocks: 0
; VGPRBlocks: 7
; NumSGPRsForWavesPerEU: 86
; NumVGPRsForWavesPerEU: 120
; NamedBarCnt: 0
; Occupancy: 8
; WaveLimiterHint : 1
; COMPUTE_PGM_RSRC2:SCRATCH_EN: 1
; COMPUTE_PGM_RSRC2:USER_SGPR: 2
; COMPUTE_PGM_RSRC2:TRAP_HANDLER: 0
; COMPUTE_PGM_RSRC2:TGID_X_EN: 1
; COMPUTE_PGM_RSRC2:TGID_Y_EN: 0
; COMPUTE_PGM_RSRC2:TGID_Z_EN: 0
; COMPUTE_PGM_RSRC2:TIDIG_COMP_CNT: 0
	.text
	.p2align	2                               ; -- Begin function _ZN12_GLOBAL__N_130_igam_helper_asymptotic_seriesIfEET_S1_S1_b
	.type	_ZN12_GLOBAL__N_130_igam_helper_asymptotic_seriesIfEET_S1_S1_b,@function
_ZN12_GLOBAL__N_130_igam_helper_asymptotic_seriesIfEET_S1_S1_b: ; @_ZN12_GLOBAL__N_130_igam_helper_asymptotic_seriesIfEET_S1_S1_b
; %bb.0:
	s_wait_loadcnt_dscnt 0x0
	s_wait_kmcnt 0x0
	v_div_scale_f32 v3, null, v0, v0, v1
	v_div_scale_f32 v13, vcc_lo, v1, v0, v1
	s_mov_b32 s4, 0
	v_rcp_f32_e32 v5, v3
	s_mov_b32 s6, s4
	s_mov_b32 s7, s4
	;; [unrolled: 1-line block ×3, first 2 shown]
	s_mov_b32 s1, exec_lo
	v_mov_b32_e32 v18, 1.0
	s_delay_alu instid0(TRANS32_DEP_1) | instskip(NEXT) | instid1(VALU_DEP_1)
	v_fma_f32 v6, -v3, v5, 1.0
	v_dual_sub_f32 v4, v1, v0 :: v_dual_fmac_f32 v5, v6, v5
	s_delay_alu instid0(VALU_DEP_1) | instskip(SKIP_1) | instid1(VALU_DEP_2)
	v_div_scale_f32 v7, null, v0, v0, v4
	v_div_scale_f32 v14, s0, v4, v0, v4
	v_rcp_f32_e32 v12, v7
	v_nop
	s_delay_alu instid0(TRANS32_DEP_1) | instskip(NEXT) | instid1(VALU_DEP_1)
	v_fma_f32 v6, -v7, v12, 1.0
	v_dual_mul_f32 v15, v13, v5 :: v_dual_fmac_f32 v12, v6, v12
	s_delay_alu instid0(VALU_DEP_1) | instskip(NEXT) | instid1(VALU_DEP_1)
	v_dual_fma_f32 v8, -v3, v15, v13 :: v_dual_mul_f32 v16, v14, v12
	v_dual_mov_b32 v6, 0 :: v_dual_fmac_f32 v15, v8, v5
	v_mov_b64_e32 v[10:11], s[6:7]
	v_mov_b64_e32 v[8:9], s[4:5]
	s_delay_alu instid0(VALU_DEP_4)
	v_fma_f32 v17, -v7, v16, v14
	s_clause 0x1
	scratch_store_b32 off, v6, s32 offset:96
	scratch_store_b128 off, v[8:11], s32 offset:80
	v_dual_fma_f32 v3, -v3, v15, v13 :: v_dual_fmac_f32 v16, v17, v12
	v_and_b32_e32 v13, 1, v2
	s_clause 0x5
	scratch_store_b128 off, v[8:11], s32 offset:64
	scratch_store_b128 off, v[8:11], s32 offset:48
	scratch_store_b128 off, v[8:11], s32
	scratch_store_b128 off, v[8:11], s32 offset:16
	scratch_store_b128 off, v[8:11], s32 offset:32
	scratch_store_b32 off, v18, s32
	v_div_fmas_f32 v2, v3, v5, v15
	v_fma_f32 v3, -v7, v16, v14
	s_mov_b32 vcc_lo, s0
	v_cmp_eq_u32_e64 s0, 1, v13
	s_delay_alu instid0(VALU_DEP_3) | instskip(NEXT) | instid1(VALU_DEP_3)
	v_div_fixup_f32 v2, v2, v0, v1
	v_div_fmas_f32 v3, v3, v12, v16
	s_delay_alu instid0(VALU_DEP_1) | instskip(SKIP_1) | instid1(VALU_DEP_3)
	v_div_fixup_f32 v1, v3, v0, v4
	s_wait_xcnt 0x0
	v_cmpx_nlt_f32_e32 1.0, v2
	s_xor_b32 s2, exec_lo, s1
	s_cbranch_execz .LBB13_4
; %bb.1:
	s_mov_b32 s3, exec_lo
	v_cmpx_gt_f32_e32 1.0, v2
	s_cbranch_execz .LBB13_3
; %bb.2:
	v_add_f32_e32 v4, 1.0, v1
	s_mov_b32 s1, 0x3e9b6dac
	s_delay_alu instid0(VALU_DEP_1) | instskip(NEXT) | instid1(VALU_DEP_1)
	v_cvt_f64_f32_e32 v[2:3], v4
	v_frexp_exp_i32_f64_e32 v2, v[2:3]
	v_frexp_mant_f32_e32 v3, v4
	s_delay_alu instid0(VALU_DEP_1) | instskip(NEXT) | instid1(VALU_DEP_3)
	v_cmp_gt_f32_e32 vcc_lo, 0x3f2aaaab, v3
	v_subrev_co_ci_u32_e64 v8, null, 0, v2, vcc_lo
	v_cmp_neq_f32_e32 vcc_lo, 0x7f800000, v1
	s_delay_alu instid0(VALU_DEP_2) | instskip(SKIP_1) | instid1(VALU_DEP_1)
	v_sub_nc_u32_e32 v3, 0, v8
	v_add_f32_e32 v2, -1.0, v4
	v_sub_f32_e32 v5, v2, v4
	s_delay_alu instid0(VALU_DEP_3) | instskip(NEXT) | instid1(VALU_DEP_2)
	v_ldexp_f32 v4, v4, v3
	v_dual_add_f32 v5, 1.0, v5 :: v_dual_sub_f32 v2, v1, v2
	s_delay_alu instid0(VALU_DEP_2) | instskip(NEXT) | instid1(VALU_DEP_1)
	v_dual_add_f32 v6, 1.0, v4 :: v_dual_add_f32 v7, -1.0, v4
	v_dual_add_f32 v2, v2, v5 :: v_dual_add_f32 v5, -1.0, v6
	s_delay_alu instid0(VALU_DEP_1) | instskip(NEXT) | instid1(VALU_DEP_2)
	v_ldexp_f32 v2, v2, v3
	v_dual_sub_f32 v3, v4, v5 :: v_dual_add_f32 v5, 1.0, v7
	s_delay_alu instid0(VALU_DEP_1) | instskip(NEXT) | instid1(VALU_DEP_1)
	v_dual_add_f32 v9, v2, v3 :: v_dual_sub_f32 v3, v4, v5
	v_add_f32_e32 v11, v2, v3
	s_delay_alu instid0(VALU_DEP_1) | instskip(NEXT) | instid1(VALU_DEP_1)
	v_dual_add_f32 v10, v6, v9 :: v_dual_add_f32 v3, v7, v11
	v_rcp_f32_e32 v12, v10
	v_nop
	s_delay_alu instid0(TRANS32_DEP_1) | instskip(NEXT) | instid1(VALU_DEP_1)
	v_dual_sub_f32 v14, v3, v7 :: v_dual_mul_f32 v13, v3, v12
	v_dual_sub_f32 v2, v10, v6 :: v_dual_mul_f32 v4, v10, v13
	s_delay_alu instid0(VALU_DEP_1) | instskip(NEXT) | instid1(VALU_DEP_2)
	v_sub_f32_e32 v9, v9, v2
	v_fma_f32 v6, v13, v10, -v4
	s_delay_alu instid0(VALU_DEP_1) | instskip(NEXT) | instid1(VALU_DEP_1)
	v_fmac_f32_e32 v6, v13, v9
	v_add_f32_e32 v2, v4, v6
	s_delay_alu instid0(VALU_DEP_1) | instskip(NEXT) | instid1(VALU_DEP_1)
	v_dual_sub_f32 v5, v3, v2 :: v_dual_mov_b32 v7, v2
	v_pk_add_f32 v[2:3], v[2:3], v[4:5] neg_lo:[0,1] neg_hi:[0,1]
	s_delay_alu instid0(VALU_DEP_1) | instskip(SKIP_1) | instid1(VALU_DEP_1)
	v_pk_add_f32 v[2:3], v[2:3], v[6:7] neg_lo:[0,1] neg_hi:[0,1]
	v_sub_f32_e32 v4, v11, v14
	v_add_f32_e32 v3, v4, v3
	s_delay_alu instid0(VALU_DEP_1) | instskip(NEXT) | instid1(VALU_DEP_1)
	v_add_f32_e32 v11, v2, v3
	v_add_f32_e32 v3, v5, v11
	s_delay_alu instid0(VALU_DEP_1) | instskip(NEXT) | instid1(VALU_DEP_1)
	v_mul_f32_e32 v14, v12, v3
	v_mul_f32_e32 v6, v10, v14
	s_delay_alu instid0(VALU_DEP_1) | instskip(NEXT) | instid1(VALU_DEP_1)
	v_fma_f32 v4, v14, v10, -v6
	v_dual_fmac_f32 v4, v14, v9 :: v_dual_sub_f32 v9, v5, v3
	s_delay_alu instid0(VALU_DEP_1) | instskip(NEXT) | instid1(VALU_DEP_1)
	v_add_f32_e32 v2, v6, v4
	v_dual_sub_f32 v7, v3, v2 :: v_dual_mov_b32 v5, v2
	s_delay_alu instid0(VALU_DEP_1) | instskip(NEXT) | instid1(VALU_DEP_4)
	v_pk_add_f32 v[2:3], v[2:3], v[6:7] neg_lo:[0,1] neg_hi:[0,1]
	v_add_f32_e32 v6, v11, v9
	s_delay_alu instid0(VALU_DEP_2) | instskip(SKIP_1) | instid1(VALU_DEP_2)
	v_pk_add_f32 v[2:3], v[2:3], v[4:5] neg_lo:[0,1] neg_hi:[0,1]
	v_cvt_f32_i32_e32 v4, v8
	v_dual_add_f32 v3, v6, v3 :: v_dual_add_f32 v6, v13, v14
	s_delay_alu instid0(VALU_DEP_1) | instskip(NEXT) | instid1(VALU_DEP_1)
	v_add_f32_e32 v2, v2, v3
	v_dual_sub_f32 v3, v6, v13 :: v_dual_add_f32 v2, v7, v2
	s_delay_alu instid0(VALU_DEP_1) | instskip(NEXT) | instid1(VALU_DEP_1)
	v_dual_sub_f32 v3, v14, v3 :: v_dual_mul_f32 v2, v12, v2
	v_dual_add_f32 v9, v3, v2 :: v_dual_mov_b32 v2, 0x3f317218
	s_delay_alu instid0(VALU_DEP_1) | instskip(NEXT) | instid1(VALU_DEP_1)
	v_add_f32_e32 v7, v6, v9
	v_mul_f32_e32 v3, v7, v7
	s_delay_alu instid0(VALU_DEP_1) | instskip(NEXT) | instid1(VALU_DEP_1)
	v_dual_fmaak_f32 v10, s1, v3, 0x3ecc95a3 :: v_dual_mul_f32 v5, v7, v3
	v_fmaak_f32 v3, v3, v10, 0x3f2aaada
	s_delay_alu instid0(VALU_DEP_1) | instskip(SKIP_1) | instid1(VALU_DEP_2)
	v_pk_mul_f32 v[2:3], v[4:5], v[2:3]
	v_ldexp_f32 v5, v7, 1
	v_fma_f32 v8, 0x3f317218, v4, -v2
	s_delay_alu instid0(VALU_DEP_1) | instskip(SKIP_1) | instid1(VALU_DEP_2)
	v_fmamk_f32 v4, v4, 0xb102e308, v8
	v_sub_f32_e32 v8, v7, v6
	v_pk_add_f32 v[6:7], v[2:3], v[4:5]
	s_delay_alu instid0(VALU_DEP_1) | instskip(NEXT) | instid1(VALU_DEP_1)
	v_dual_sub_f32 v5, v7, v5 :: v_dual_sub_f32 v8, v9, v8
	v_sub_f32_e32 v5, v3, v5
	s_delay_alu instid0(VALU_DEP_2) | instskip(SKIP_2) | instid1(VALU_DEP_3)
	v_ldexp_f32 v9, v8, 1
	v_mov_b32_e32 v8, v2
	v_pk_add_f32 v[2:3], v[6:7], v[2:3] neg_lo:[0,1] neg_hi:[0,1]
	v_dual_add_f32 v9, v9, v5 :: v_dual_mov_b32 v5, v6
	s_delay_alu instid0(VALU_DEP_1) | instskip(NEXT) | instid1(VALU_DEP_1)
	v_pk_add_f32 v[10:11], v[6:7], v[8:9]
	v_dual_mov_b32 v16, v7 :: v_dual_mov_b32 v3, v11
	s_delay_alu instid0(VALU_DEP_1) | instskip(NEXT) | instid1(VALU_DEP_1)
	v_pk_add_f32 v[12:13], v[4:5], v[2:3]
	v_dual_mov_b32 v12, v11 :: v_dual_mov_b32 v8, v13
	v_pk_add_f32 v[2:3], v[4:5], v[2:3] neg_lo:[0,1] neg_hi:[0,1]
	v_mov_b32_e32 v3, v13
	s_delay_alu instid0(VALU_DEP_3) | instskip(SKIP_1) | instid1(VALU_DEP_2)
	v_pk_add_f32 v[14:15], v[8:9], v[6:7] neg_lo:[0,1] neg_hi:[0,1]
	v_dual_mov_b32 v7, v6 :: v_dual_mov_b32 v6, v9
	v_dual_mov_b32 v9, v14 :: v_dual_mov_b32 v17, v14
	s_delay_alu instid0(VALU_DEP_1) | instskip(NEXT) | instid1(VALU_DEP_2)
	v_pk_add_f32 v[10:11], v[10:11], v[8:9] neg_lo:[0,1] neg_hi:[0,1]
	v_pk_add_f32 v[4:5], v[12:13], v[16:17] neg_lo:[0,1] neg_hi:[0,1]
	v_mov_b32_e32 v10, v2
	s_delay_alu instid0(VALU_DEP_2) | instskip(NEXT) | instid1(VALU_DEP_1)
	v_pk_add_f32 v[4:5], v[6:7], v[4:5] neg_lo:[0,1] neg_hi:[0,1]
	v_pk_add_f32 v[6:7], v[10:11], v[4:5]
	s_delay_alu instid0(VALU_DEP_1) | instskip(NEXT) | instid1(VALU_DEP_1)
	v_mov_b32_e32 v10, v7
	v_pk_add_f32 v[10:11], v[6:7], v[10:11]
	s_delay_alu instid0(VALU_DEP_1) | instskip(NEXT) | instid1(VALU_DEP_1)
	v_pk_add_f32 v[8:9], v[8:9], v[10:11]
	v_mov_b32_e32 v7, v8
	s_delay_alu instid0(VALU_DEP_1) | instskip(NEXT) | instid1(VALU_DEP_1)
	v_pk_add_f32 v[12:13], v[6:7], v[2:3] neg_lo:[0,1] neg_hi:[0,1]
	v_sub_f32_e32 v3, v6, v12
	s_delay_alu instid0(VALU_DEP_1) | instskip(SKIP_1) | instid1(VALU_DEP_1)
	v_sub_f32_e32 v2, v2, v3
	v_mov_b32_e32 v5, v10
	v_pk_add_f32 v[4:5], v[4:5], v[12:13] neg_lo:[0,1] neg_hi:[0,1]
	s_delay_alu instid0(VALU_DEP_1) | instskip(NEXT) | instid1(VALU_DEP_1)
	v_add_f32_e32 v2, v4, v2
	v_add_f32_e32 v2, v2, v5
	s_delay_alu instid0(VALU_DEP_1) | instskip(NEXT) | instid1(VALU_DEP_1)
	v_add_f32_e32 v2, v8, v2
	v_cndmask_b32_e32 v2, 0x7f800000, v2, vcc_lo
	v_cmp_ngt_f32_e32 vcc_lo, -1.0, v1
	s_delay_alu instid0(VALU_DEP_2) | instskip(SKIP_1) | instid1(VALU_DEP_2)
	v_cndmask_b32_e32 v2, 0x7fc00000, v2, vcc_lo
	v_cmp_neq_f32_e32 vcc_lo, -1.0, v1
	v_cndmask_b32_e32 v2, 0xff800000, v2, vcc_lo
	v_cmp_gt_f32_e64 vcc_lo, 0x33800000, |v1|
	s_delay_alu instid0(VALU_DEP_2) | instskip(NEXT) | instid1(VALU_DEP_1)
	v_cndmask_b32_e32 v2, v2, v1, vcc_lo
	v_sub_f32_e32 v1, v2, v1
	s_delay_alu instid0(VALU_DEP_1) | instskip(NEXT) | instid1(VALU_DEP_1)
	v_mul_f32_e32 v1, -2.0, v1
	v_mul_f32_e32 v2, 0x4f800000, v1
	v_cmp_gt_f32_e32 vcc_lo, 0xf800000, v1
	s_delay_alu instid0(VALU_DEP_2) | instskip(NEXT) | instid1(VALU_DEP_1)
	v_cndmask_b32_e32 v1, v1, v2, vcc_lo
	v_sqrt_f32_e32 v2, v1
	v_nop
	s_delay_alu instid0(TRANS32_DEP_1) | instskip(NEXT) | instid1(VALU_DEP_1)
	v_dual_add_nc_u32 v3, -1, v2 :: v_dual_add_nc_u32 v4, 1, v2
	v_dual_fma_f32 v5, -v3, v2, v1 :: v_dual_fma_f32 v6, -v4, v2, v1
	s_delay_alu instid0(VALU_DEP_1) | instskip(NEXT) | instid1(VALU_DEP_1)
	v_cmp_ge_f32_e64 s1, 0, v5
	v_cndmask_b32_e64 v2, v2, v3, s1
	s_delay_alu instid0(VALU_DEP_3) | instskip(NEXT) | instid1(VALU_DEP_1)
	v_cmp_lt_f32_e64 s1, 0, v6
	v_cndmask_b32_e64 v2, v2, v4, s1
	s_delay_alu instid0(VALU_DEP_1) | instskip(NEXT) | instid1(VALU_DEP_1)
	v_mul_f32_e32 v3, 0x37800000, v2
	v_cndmask_b32_e32 v2, v2, v3, vcc_lo
	v_cmp_class_f32_e64 vcc_lo, v1, 0x260
	s_delay_alu instid0(VALU_DEP_2) | instskip(NEXT) | instid1(VALU_DEP_1)
	v_cndmask_b32_e32 v1, v2, v1, vcc_lo
	v_xor_b32_e32 v6, 0x80000000, v1
.LBB13_3:
	s_or_b32 exec_lo, exec_lo, s3
                                        ; implicit-def: $vgpr1
.LBB13_4:
	s_and_not1_saveexec_b32 s2, s2
	s_cbranch_execz .LBB13_6
; %bb.5:
	v_add_f32_e32 v4, 1.0, v1
	s_mov_b32 s1, 0x3e9b6dac
	s_delay_alu instid0(VALU_DEP_1) | instskip(NEXT) | instid1(VALU_DEP_1)
	v_cvt_f64_f32_e32 v[2:3], v4
	v_frexp_exp_i32_f64_e32 v2, v[2:3]
	v_frexp_mant_f32_e32 v3, v4
	s_delay_alu instid0(VALU_DEP_1) | instskip(NEXT) | instid1(VALU_DEP_3)
	v_cmp_gt_f32_e32 vcc_lo, 0x3f2aaaab, v3
	v_subrev_co_ci_u32_e64 v8, null, 0, v2, vcc_lo
	v_cmp_neq_f32_e32 vcc_lo, 0x7f800000, v1
	s_delay_alu instid0(VALU_DEP_2) | instskip(SKIP_1) | instid1(VALU_DEP_1)
	v_sub_nc_u32_e32 v3, 0, v8
	v_add_f32_e32 v2, -1.0, v4
	v_sub_f32_e32 v5, v2, v4
	s_delay_alu instid0(VALU_DEP_3) | instskip(NEXT) | instid1(VALU_DEP_2)
	v_ldexp_f32 v4, v4, v3
	v_dual_add_f32 v5, 1.0, v5 :: v_dual_sub_f32 v2, v1, v2
	s_delay_alu instid0(VALU_DEP_2) | instskip(NEXT) | instid1(VALU_DEP_1)
	v_dual_add_f32 v6, 1.0, v4 :: v_dual_add_f32 v7, -1.0, v4
	v_dual_add_f32 v2, v2, v5 :: v_dual_add_f32 v5, -1.0, v6
	s_delay_alu instid0(VALU_DEP_1) | instskip(NEXT) | instid1(VALU_DEP_2)
	v_ldexp_f32 v2, v2, v3
	v_dual_sub_f32 v3, v4, v5 :: v_dual_add_f32 v5, 1.0, v7
	s_delay_alu instid0(VALU_DEP_1) | instskip(NEXT) | instid1(VALU_DEP_1)
	v_dual_add_f32 v9, v2, v3 :: v_dual_sub_f32 v3, v4, v5
	v_add_f32_e32 v11, v2, v3
	s_delay_alu instid0(VALU_DEP_1) | instskip(NEXT) | instid1(VALU_DEP_1)
	v_dual_add_f32 v10, v6, v9 :: v_dual_add_f32 v3, v7, v11
	v_rcp_f32_e32 v12, v10
	v_nop
	s_delay_alu instid0(TRANS32_DEP_1) | instskip(NEXT) | instid1(VALU_DEP_1)
	v_dual_sub_f32 v14, v3, v7 :: v_dual_mul_f32 v13, v3, v12
	v_dual_sub_f32 v2, v10, v6 :: v_dual_mul_f32 v4, v10, v13
	s_delay_alu instid0(VALU_DEP_1) | instskip(NEXT) | instid1(VALU_DEP_2)
	v_sub_f32_e32 v9, v9, v2
	v_fma_f32 v6, v13, v10, -v4
	s_delay_alu instid0(VALU_DEP_1) | instskip(NEXT) | instid1(VALU_DEP_1)
	v_fmac_f32_e32 v6, v13, v9
	v_add_f32_e32 v2, v4, v6
	s_delay_alu instid0(VALU_DEP_1) | instskip(NEXT) | instid1(VALU_DEP_1)
	v_dual_sub_f32 v5, v3, v2 :: v_dual_mov_b32 v7, v2
	v_pk_add_f32 v[2:3], v[2:3], v[4:5] neg_lo:[0,1] neg_hi:[0,1]
	s_delay_alu instid0(VALU_DEP_1) | instskip(SKIP_1) | instid1(VALU_DEP_1)
	v_pk_add_f32 v[2:3], v[2:3], v[6:7] neg_lo:[0,1] neg_hi:[0,1]
	v_sub_f32_e32 v4, v11, v14
	v_add_f32_e32 v3, v4, v3
	s_delay_alu instid0(VALU_DEP_1) | instskip(NEXT) | instid1(VALU_DEP_1)
	v_add_f32_e32 v11, v2, v3
	v_add_f32_e32 v3, v5, v11
	s_delay_alu instid0(VALU_DEP_1) | instskip(NEXT) | instid1(VALU_DEP_1)
	v_mul_f32_e32 v14, v12, v3
	v_mul_f32_e32 v6, v10, v14
	s_delay_alu instid0(VALU_DEP_1) | instskip(NEXT) | instid1(VALU_DEP_1)
	v_fma_f32 v4, v14, v10, -v6
	v_dual_fmac_f32 v4, v14, v9 :: v_dual_sub_f32 v9, v5, v3
	s_delay_alu instid0(VALU_DEP_1) | instskip(NEXT) | instid1(VALU_DEP_1)
	v_add_f32_e32 v2, v6, v4
	v_dual_sub_f32 v7, v3, v2 :: v_dual_mov_b32 v5, v2
	s_delay_alu instid0(VALU_DEP_1) | instskip(NEXT) | instid1(VALU_DEP_4)
	v_pk_add_f32 v[2:3], v[2:3], v[6:7] neg_lo:[0,1] neg_hi:[0,1]
	v_add_f32_e32 v6, v11, v9
	s_delay_alu instid0(VALU_DEP_2) | instskip(SKIP_1) | instid1(VALU_DEP_2)
	v_pk_add_f32 v[2:3], v[2:3], v[4:5] neg_lo:[0,1] neg_hi:[0,1]
	v_cvt_f32_i32_e32 v4, v8
	v_dual_add_f32 v3, v6, v3 :: v_dual_add_f32 v6, v13, v14
	s_delay_alu instid0(VALU_DEP_1) | instskip(NEXT) | instid1(VALU_DEP_1)
	v_add_f32_e32 v2, v2, v3
	v_dual_sub_f32 v3, v6, v13 :: v_dual_add_f32 v2, v7, v2
	s_delay_alu instid0(VALU_DEP_1) | instskip(NEXT) | instid1(VALU_DEP_1)
	v_dual_sub_f32 v3, v14, v3 :: v_dual_mul_f32 v2, v12, v2
	v_dual_add_f32 v9, v3, v2 :: v_dual_mov_b32 v2, 0x3f317218
	s_delay_alu instid0(VALU_DEP_1) | instskip(NEXT) | instid1(VALU_DEP_1)
	v_add_f32_e32 v7, v6, v9
	v_mul_f32_e32 v3, v7, v7
	s_delay_alu instid0(VALU_DEP_1) | instskip(NEXT) | instid1(VALU_DEP_1)
	v_dual_fmaak_f32 v10, s1, v3, 0x3ecc95a3 :: v_dual_mul_f32 v5, v7, v3
	v_fmaak_f32 v3, v3, v10, 0x3f2aaada
	s_delay_alu instid0(VALU_DEP_1) | instskip(SKIP_1) | instid1(VALU_DEP_2)
	v_pk_mul_f32 v[2:3], v[4:5], v[2:3]
	v_ldexp_f32 v5, v7, 1
	v_fma_f32 v8, 0x3f317218, v4, -v2
	s_delay_alu instid0(VALU_DEP_1) | instskip(SKIP_1) | instid1(VALU_DEP_2)
	v_fmamk_f32 v4, v4, 0xb102e308, v8
	v_sub_f32_e32 v8, v7, v6
	v_pk_add_f32 v[6:7], v[2:3], v[4:5]
	s_delay_alu instid0(VALU_DEP_1) | instskip(NEXT) | instid1(VALU_DEP_1)
	v_dual_sub_f32 v5, v7, v5 :: v_dual_sub_f32 v8, v9, v8
	v_sub_f32_e32 v5, v3, v5
	s_delay_alu instid0(VALU_DEP_2) | instskip(SKIP_2) | instid1(VALU_DEP_3)
	v_ldexp_f32 v9, v8, 1
	v_mov_b32_e32 v8, v2
	v_pk_add_f32 v[2:3], v[6:7], v[2:3] neg_lo:[0,1] neg_hi:[0,1]
	v_dual_add_f32 v9, v9, v5 :: v_dual_mov_b32 v5, v6
	s_delay_alu instid0(VALU_DEP_1) | instskip(NEXT) | instid1(VALU_DEP_1)
	v_pk_add_f32 v[10:11], v[6:7], v[8:9]
	v_dual_mov_b32 v16, v7 :: v_dual_mov_b32 v3, v11
	s_delay_alu instid0(VALU_DEP_1) | instskip(NEXT) | instid1(VALU_DEP_1)
	v_pk_add_f32 v[12:13], v[4:5], v[2:3]
	v_dual_mov_b32 v12, v11 :: v_dual_mov_b32 v8, v13
	v_pk_add_f32 v[2:3], v[4:5], v[2:3] neg_lo:[0,1] neg_hi:[0,1]
	v_mov_b32_e32 v3, v13
	s_delay_alu instid0(VALU_DEP_3) | instskip(SKIP_1) | instid1(VALU_DEP_2)
	v_pk_add_f32 v[14:15], v[8:9], v[6:7] neg_lo:[0,1] neg_hi:[0,1]
	v_dual_mov_b32 v7, v6 :: v_dual_mov_b32 v6, v9
	v_dual_mov_b32 v9, v14 :: v_dual_mov_b32 v17, v14
	s_delay_alu instid0(VALU_DEP_1) | instskip(NEXT) | instid1(VALU_DEP_2)
	v_pk_add_f32 v[10:11], v[10:11], v[8:9] neg_lo:[0,1] neg_hi:[0,1]
	v_pk_add_f32 v[4:5], v[12:13], v[16:17] neg_lo:[0,1] neg_hi:[0,1]
	v_mov_b32_e32 v10, v2
	s_delay_alu instid0(VALU_DEP_2) | instskip(NEXT) | instid1(VALU_DEP_1)
	v_pk_add_f32 v[4:5], v[6:7], v[4:5] neg_lo:[0,1] neg_hi:[0,1]
	v_pk_add_f32 v[6:7], v[10:11], v[4:5]
	s_delay_alu instid0(VALU_DEP_1) | instskip(NEXT) | instid1(VALU_DEP_1)
	v_mov_b32_e32 v10, v7
	v_pk_add_f32 v[10:11], v[6:7], v[10:11]
	s_delay_alu instid0(VALU_DEP_1) | instskip(NEXT) | instid1(VALU_DEP_1)
	v_pk_add_f32 v[8:9], v[8:9], v[10:11]
	v_mov_b32_e32 v7, v8
	s_delay_alu instid0(VALU_DEP_1) | instskip(NEXT) | instid1(VALU_DEP_1)
	v_pk_add_f32 v[12:13], v[6:7], v[2:3] neg_lo:[0,1] neg_hi:[0,1]
	v_sub_f32_e32 v3, v6, v12
	s_delay_alu instid0(VALU_DEP_1) | instskip(SKIP_1) | instid1(VALU_DEP_1)
	v_sub_f32_e32 v2, v2, v3
	v_mov_b32_e32 v5, v10
	v_pk_add_f32 v[4:5], v[4:5], v[12:13] neg_lo:[0,1] neg_hi:[0,1]
	s_delay_alu instid0(VALU_DEP_1) | instskip(NEXT) | instid1(VALU_DEP_1)
	v_add_f32_e32 v2, v4, v2
	v_add_f32_e32 v2, v2, v5
	s_delay_alu instid0(VALU_DEP_1) | instskip(NEXT) | instid1(VALU_DEP_1)
	v_add_f32_e32 v2, v8, v2
	v_cndmask_b32_e32 v2, 0x7f800000, v2, vcc_lo
	v_cmp_ngt_f32_e32 vcc_lo, -1.0, v1
	s_delay_alu instid0(VALU_DEP_2) | instskip(SKIP_1) | instid1(VALU_DEP_2)
	v_cndmask_b32_e32 v2, 0x7fc00000, v2, vcc_lo
	v_cmp_neq_f32_e32 vcc_lo, -1.0, v1
	v_cndmask_b32_e32 v2, 0xff800000, v2, vcc_lo
	v_cmp_gt_f32_e64 vcc_lo, 0x33800000, |v1|
	s_delay_alu instid0(VALU_DEP_2) | instskip(NEXT) | instid1(VALU_DEP_1)
	v_cndmask_b32_e32 v2, v2, v1, vcc_lo
	v_sub_f32_e32 v1, v2, v1
	s_delay_alu instid0(VALU_DEP_1) | instskip(NEXT) | instid1(VALU_DEP_1)
	v_mul_f32_e32 v1, -2.0, v1
	v_mul_f32_e32 v2, 0x4f800000, v1
	v_cmp_gt_f32_e32 vcc_lo, 0xf800000, v1
	s_delay_alu instid0(VALU_DEP_2) | instskip(NEXT) | instid1(VALU_DEP_1)
	v_cndmask_b32_e32 v1, v1, v2, vcc_lo
	v_sqrt_f32_e32 v2, v1
	v_nop
	s_delay_alu instid0(TRANS32_DEP_1) | instskip(NEXT) | instid1(VALU_DEP_1)
	v_dual_add_nc_u32 v3, -1, v2 :: v_dual_add_nc_u32 v4, 1, v2
	v_dual_fma_f32 v5, -v3, v2, v1 :: v_dual_fma_f32 v6, -v4, v2, v1
	s_delay_alu instid0(VALU_DEP_1) | instskip(NEXT) | instid1(VALU_DEP_1)
	v_cmp_ge_f32_e64 s1, 0, v5
	v_cndmask_b32_e64 v2, v2, v3, s1
	s_delay_alu instid0(VALU_DEP_3) | instskip(NEXT) | instid1(VALU_DEP_1)
	v_cmp_lt_f32_e64 s1, 0, v6
	v_cndmask_b32_e64 v2, v2, v4, s1
	s_delay_alu instid0(VALU_DEP_1) | instskip(NEXT) | instid1(VALU_DEP_1)
	v_mul_f32_e32 v3, 0x37800000, v2
	v_cndmask_b32_e32 v2, v2, v3, vcc_lo
	v_cmp_class_f32_e64 vcc_lo, v1, 0x260
	s_delay_alu instid0(VALU_DEP_2)
	v_cndmask_b32_e32 v6, v2, v1, vcc_lo
.LBB13_6:
	s_or_b32 exec_lo, exec_lo, s2
	v_dual_mov_b32 v9, 0x7f800000 :: v_dual_mov_b32 v8, 1.0
	v_dual_mov_b32 v3, 0 :: v_dual_mov_b32 v2, 0
	v_dual_mov_b32 v7, 0 :: v_dual_mov_b32 v1, 0
	s_or_b32 s10, s32, 4
	s_mov_b32 s1, 0
	s_get_pc_i64 s[4:5]
	s_add_nc_u64 s[4:5], s[4:5], __const._ZN12_GLOBAL__N_130_igam_helper_asymptotic_seriesIfEET_S1_S1_b.d@rel64+8
	s_get_pc_i64 s[6:7]
	s_add_nc_u64 s[6:7], s[6:7], __const._ZN12_GLOBAL__N_130_igam_helper_asymptotic_seriesIfEET_S1_S1_b.d@rel64+108
	;; [unrolled: 2-line block ×3, first 2 shown]
	s_branch .LBB13_11
.LBB13_7:                               ;   in Loop: Header=BB13_11 Depth=1
                                        ; implicit-def: $vgpr7
                                        ; implicit-def: $vgpr9
                                        ; implicit-def: $vgpr8
                                        ; implicit-def: $sgpr4_sgpr5
                                        ; implicit-def: $sgpr6_sgpr7
.LBB13_8:                               ;   in Loop: Header=BB13_11 Depth=1
	s_or_not1_b32 s8, s8, exec_lo
.LBB13_9:                               ;   in Loop: Header=BB13_11 Depth=1
	s_or_b32 exec_lo, exec_lo, s12
	s_delay_alu instid0(SALU_CYCLE_1)
	s_or_not1_b32 s8, s8, exec_lo
.LBB13_10:                              ;   in Loop: Header=BB13_11 Depth=1
	s_or_b32 exec_lo, exec_lo, s11
	s_delay_alu instid0(SALU_CYCLE_1) | instskip(NEXT) | instid1(SALU_CYCLE_1)
	s_and_b32 s8, exec_lo, s8
	s_or_b32 s1, s8, s1
	s_delay_alu instid0(SALU_CYCLE_1)
	s_and_not1_b32 exec_lo, exec_lo, s1
	s_cbranch_execz .LBB13_31
.LBB13_11:                              ; =>This Loop Header: Depth=1
                                        ;     Child Loop BB13_13 Depth 2
                                        ;     Child Loop BB13_22 Depth 2
	v_mul_u64_e32 v[4:5], 0x64, v[2:3]
	s_mov_b32 s11, 0
	s_mov_b32 s12, s10
	s_mov_b32 s13, 1
	s_delay_alu instid0(VALU_DEP_1) | instskip(NEXT) | instid1(VALU_DEP_1)
	v_add_nc_u64_e32 v[4:5], s[2:3], v[4:5]
	v_readfirstlane_b32 s8, v4
	s_delay_alu instid0(VALU_DEP_2)
	v_readfirstlane_b32 s9, v5
	s_load_b32 s8, s[8:9], 0x0
	s_wait_kmcnt 0x0
	v_mov_b32_e32 v10, s8
	s_mov_b64 s[8:9], s[4:5]
	s_branch .LBB13_13
.LBB13_12:                              ;   in Loop: Header=BB13_13 Depth=2
	s_wait_xcnt 0x0
	s_or_b32 exec_lo, exec_lo, s14
	s_load_b32 s14, s[8:9], 0x0
	s_add_co_i32 s15, s13, 1
	s_cmp_gt_u32 s13, 23
	s_wait_xcnt 0x0
	s_add_nc_u64 s[8:9], s[8:9], 4
	s_cselect_b32 s13, -1, 0
	s_add_co_i32 s12, s12, 4
	s_wait_loadcnt 0x0
	s_wait_kmcnt 0x0
	v_dual_fmac_f32 v10, s14, v11 :: v_dual_mul_f32 v11, s14, v11
	s_delay_alu instid0(VALU_DEP_1) | instskip(NEXT) | instid1(VALU_DEP_1)
	v_mul_f32_e64 v12, 0x33800000, |v10|
	v_cmp_lt_f32_e64 s14, |v11|, v12
	s_or_b32 s13, s14, s13
	s_delay_alu instid0(SALU_CYCLE_1) | instskip(NEXT) | instid1(SALU_CYCLE_1)
	s_and_b32 s13, exec_lo, s13
	s_or_b32 s11, s13, s11
	s_mov_b32 s13, s15
	s_and_not1_b32 exec_lo, exec_lo, s11
	s_cbranch_execz .LBB13_17
.LBB13_13:                              ;   Parent Loop BB13_11 Depth=1
                                        ; =>  This Inner Loop Header: Depth=2
	s_mov_b32 s14, exec_lo
                                        ; implicit-def: $vgpr11
	v_cmpx_le_i32_e64 s13, v7
	s_xor_b32 s14, exec_lo, s14
	s_cbranch_execz .LBB13_15
; %bb.14:                               ;   in Loop: Header=BB13_13 Depth=2
	scratch_load_b32 v11, off, s12
.LBB13_15:                              ;   in Loop: Header=BB13_13 Depth=2
	s_wait_xcnt 0x0
	s_and_not1_saveexec_b32 s14, s14
	s_cbranch_execz .LBB13_12
; %bb.16:                               ;   in Loop: Header=BB13_13 Depth=2
	s_wait_loadcnt 0x0
	scratch_load_b32 v11, off, s12 offset:-4
	v_add_nc_u32_e32 v7, 1, v7
	s_wait_loadcnt 0x0
	v_mul_f32_e32 v11, v6, v11
	scratch_store_b32 off, v11, s12
	s_branch .LBB13_12
.LBB13_17:                              ;   in Loop: Header=BB13_11 Depth=1
	s_or_b32 exec_lo, exec_lo, s11
	v_mul_f32_e32 v10, v8, v10
	s_mov_b32 s8, -1
	s_delay_alu instid0(VALU_DEP_1)
	v_cmp_ngt_f32_e64 s9, |v10|, v9
                                        ; implicit-def: $vgpr9
	s_and_saveexec_b32 s11, s9
	s_cbranch_execz .LBB13_10
; %bb.18:                               ;   in Loop: Header=BB13_11 Depth=1
	v_add_f32_e32 v1, v1, v10
	s_delay_alu instid0(VALU_DEP_1) | instskip(NEXT) | instid1(VALU_DEP_1)
	v_mul_f32_e64 v9, 0x33800000, |v1|
	v_cmp_nlt_f32_e64 s9, |v10|, v9
                                        ; implicit-def: $vgpr9
	s_and_saveexec_b32 s12, s9
	s_cbranch_execz .LBB13_9
; %bb.19:                               ;   in Loop: Header=BB13_11 Depth=1
	v_cmp_ne_u32_e32 vcc_lo, 24, v2
	s_cbranch_vccz .LBB13_7
; %bb.20:                               ;   in Loop: Header=BB13_11 Depth=1
	v_readfirstlane_b32 s8, v4
	v_readfirstlane_b32 s9, v5
	s_mov_b32 s15, 1
	s_mov_b32 s13, 0
	;; [unrolled: 1-line block ×3, first 2 shown]
	s_load_b32 s8, s[8:9], 0x64
	s_wait_kmcnt 0x0
	v_mov_b32_e32 v4, s8
	s_mov_b64 s[8:9], s[6:7]
	s_branch .LBB13_22
.LBB13_21:                              ;   in Loop: Header=BB13_22 Depth=2
	s_wait_xcnt 0x0
	s_or_b32 exec_lo, exec_lo, s16
	s_load_b32 s16, s[8:9], 0x0
	s_add_co_i32 s17, s15, 1
	s_cmp_gt_u32 s15, 23
	s_wait_xcnt 0x0
	s_add_nc_u64 s[8:9], s[8:9], 4
	s_cselect_b32 s15, -1, 0
	s_add_co_i32 s14, s14, 4
	s_wait_loadcnt 0x0
	s_wait_kmcnt 0x0
	v_dual_fmac_f32 v4, s16, v5 :: v_dual_mul_f32 v5, s16, v5
	s_delay_alu instid0(VALU_DEP_1) | instskip(NEXT) | instid1(VALU_DEP_1)
	v_mul_f32_e64 v9, 0x33800000, |v4|
	v_cmp_lt_f32_e64 s16, |v5|, v9
	s_or_b32 s15, s16, s15
	s_delay_alu instid0(SALU_CYCLE_1) | instskip(NEXT) | instid1(SALU_CYCLE_1)
	s_and_b32 s15, exec_lo, s15
	s_or_b32 s13, s15, s13
	s_mov_b32 s15, s17
	s_and_not1_b32 exec_lo, exec_lo, s13
	s_cbranch_execz .LBB13_26
.LBB13_22:                              ;   Parent Loop BB13_11 Depth=1
                                        ; =>  This Inner Loop Header: Depth=2
	s_mov_b32 s16, exec_lo
                                        ; implicit-def: $vgpr5
	v_cmpx_le_i32_e64 s15, v7
	s_xor_b32 s16, exec_lo, s16
	s_cbranch_execz .LBB13_24
; %bb.23:                               ;   in Loop: Header=BB13_22 Depth=2
	scratch_load_b32 v5, off, s14
.LBB13_24:                              ;   in Loop: Header=BB13_22 Depth=2
	s_wait_xcnt 0x0
	s_and_not1_saveexec_b32 s16, s16
	s_cbranch_execz .LBB13_21
; %bb.25:                               ;   in Loop: Header=BB13_22 Depth=2
	s_wait_loadcnt 0x0
	scratch_load_b32 v5, off, s14 offset:-4
	s_wait_loadcnt 0x0
	v_dual_add_nc_u32 v7, 1, v7 :: v_dual_mul_f32 v5, v6, v5
	scratch_store_b32 off, v5, s14
	s_branch .LBB13_21
.LBB13_26:                              ;   in Loop: Header=BB13_11 Depth=1
	s_or_b32 exec_lo, exec_lo, s13
	v_div_scale_f32 v5, null, v0, v0, v8
	s_mov_b32 s8, -1
	s_mov_b32 s9, exec_lo
	v_rcp_f32_e32 v9, v5
	v_nop
	s_delay_alu instid0(TRANS32_DEP_1) | instskip(NEXT) | instid1(VALU_DEP_1)
	v_fma_f32 v11, -v5, v9, 1.0
	v_fmac_f32_e32 v9, v11, v9
	v_div_scale_f32 v11, vcc_lo, v8, v0, v8
	s_delay_alu instid0(VALU_DEP_1) | instskip(NEXT) | instid1(VALU_DEP_1)
	v_mul_f32_e32 v12, v11, v9
	v_fma_f32 v13, -v5, v12, v11
	s_delay_alu instid0(VALU_DEP_1) | instskip(NEXT) | instid1(VALU_DEP_1)
	v_fmac_f32_e32 v12, v13, v9
	v_fma_f32 v5, -v5, v12, v11
	s_delay_alu instid0(VALU_DEP_1) | instskip(NEXT) | instid1(VALU_DEP_1)
	v_div_fmas_f32 v5, v5, v9, v12
	v_div_fixup_f32 v5, v5, v0, v8
                                        ; implicit-def: $vgpr8
	s_delay_alu instid0(VALU_DEP_1) | instskip(NEXT) | instid1(VALU_DEP_1)
	v_mul_f32_e32 v4, v5, v4
	v_cmpx_ngt_f32_e64 |v4|, |v10|
	s_cbranch_execz .LBB13_30
; %bb.27:                               ;   in Loop: Header=BB13_11 Depth=1
	v_add_f32_e32 v1, v1, v4
	s_mov_b32 s13, -1
	s_delay_alu instid0(VALU_DEP_1) | instskip(NEXT) | instid1(VALU_DEP_1)
	v_mul_f32_e64 v8, 0x33800000, |v1|
	v_cmp_nlt_f32_e64 s14, |v4|, v8
                                        ; implicit-def: $vgpr8
	s_and_saveexec_b32 s8, s14
	s_cbranch_execz .LBB13_29
; %bb.28:                               ;   in Loop: Header=BB13_11 Depth=1
	v_div_scale_f32 v8, null, v0, v0, v5
	v_div_scale_f32 v11, vcc_lo, v5, v0, v5
	s_add_nc_u64 s[4:5], s[4:5], 0xc8
	v_rcp_f32_e32 v9, v8
	s_add_nc_u64 s[6:7], s[6:7], 0xc8
	s_xor_b32 s13, exec_lo, -1
	v_add_nc_u32_e32 v2, 2, v2
	s_delay_alu instid0(TRANS32_DEP_1) | instskip(NEXT) | instid1(VALU_DEP_1)
	v_fma_f32 v10, -v8, v9, 1.0
	v_fmac_f32_e32 v9, v10, v9
	s_delay_alu instid0(VALU_DEP_1) | instskip(NEXT) | instid1(VALU_DEP_1)
	v_mul_f32_e32 v10, v11, v9
	v_fma_f32 v12, -v8, v10, v11
	s_delay_alu instid0(VALU_DEP_1) | instskip(NEXT) | instid1(VALU_DEP_1)
	v_fmac_f32_e32 v10, v12, v9
	v_fma_f32 v8, -v8, v10, v11
	s_delay_alu instid0(VALU_DEP_1) | instskip(NEXT) | instid1(VALU_DEP_1)
	v_div_fmas_f32 v8, v8, v9, v10
	v_div_fixup_f32 v8, v8, v0, v5
.LBB13_29:                              ;   in Loop: Header=BB13_11 Depth=1
	s_or_b32 exec_lo, exec_lo, s8
	s_delay_alu instid0(SALU_CYCLE_1)
	s_or_not1_b32 s8, s13, exec_lo
.LBB13_30:                              ;   in Loop: Header=BB13_11 Depth=1
	s_or_b32 exec_lo, exec_lo, s9
	v_and_b32_e32 v9, 0x7fffffff, v4
	s_branch .LBB13_8
.LBB13_31:
	s_or_b32 exec_lo, exec_lo, s1
	v_cvt_f64_f32_e32 v[2:3], v0
	v_cvt_f64_f32_e32 v[4:5], v6
	s_mov_b64 s[2:3], 0x3e5ade156a5dcb37
	s_delay_alu instid0(VALU_DEP_2) | instskip(SKIP_1) | instid1(VALU_DEP_2)
	v_dual_mul_f64 v[8:9], -0.5, v[2:3] :: v_dual_mul_f32 v0, 0.5, v0
	v_mul_f64_e32 v[2:3], 0x401921fb54411744, v[2:3]
	v_mul_f64_e32 v[8:9], v[8:9], v[4:5]
	s_delay_alu instid0(VALU_DEP_2) | instskip(NEXT) | instid1(VALU_DEP_2)
	v_cmp_gt_f64_e32 vcc_lo, 0x10000000, v[2:3]
	v_mul_f64_e32 v[4:5], v[8:9], v[4:5]
	v_cndmask_b32_e64 v7, 0, 0x100, vcc_lo
	s_delay_alu instid0(VALU_DEP_1) | instskip(NEXT) | instid1(VALU_DEP_3)
	v_ldexp_f64 v[2:3], v[2:3], v7
	v_mul_f64_e32 v[8:9], 0x3ff71547652b82fe, v[4:5]
	v_cmp_nlt_f64_e64 s1, 0x40900000, v[4:5]
	s_delay_alu instid0(VALU_DEP_3) | instskip(NEXT) | instid1(VALU_DEP_2)
	v_rsq_f64_e32 v[10:11], v[2:3]
	v_rndne_f64_e32 v[8:9], v[8:9]
	s_delay_alu instid0(VALU_DEP_1) | instskip(SKIP_1) | instid1(VALU_DEP_2)
	v_fmamk_f64 v[12:13], v[8:9], 0xbfe62e42fefa39ef, v[4:5]
	v_cvt_i32_f64_e32 v7, v[8:9]
	v_fmamk_f64 v[12:13], v[8:9], 0xbc7abc9e3b39803f, v[12:13]
	s_delay_alu instid0(VALU_DEP_1) | instskip(SKIP_1) | instid1(VALU_DEP_2)
	v_fmaak_f64 v[16:17], s[2:3], v[12:13], 0x3e928af3fca7ab0c
	v_cmp_ngt_f64_e64 s2, 0xc090cc00, v[4:5]
	v_fmaak_f64 v[16:17], v[12:13], v[16:17], 0x3ec71dee623fde64
	s_delay_alu instid0(VALU_DEP_1) | instskip(NEXT) | instid1(VALU_DEP_1)
	v_fmaak_f64 v[16:17], v[12:13], v[16:17], 0x3efa01997c89e6b0
	v_fmaak_f64 v[16:17], v[12:13], v[16:17], 0x3f2a01a014761f6e
	s_delay_alu instid0(VALU_DEP_1) | instskip(NEXT) | instid1(VALU_DEP_1)
	v_fmaak_f64 v[16:17], v[12:13], v[16:17], 0x3f56c16c1852b7b0
	;; [unrolled: 3-line block ×4, first 2 shown]
	v_fma_f64 v[16:17], v[12:13], v[16:17], 1.0
	s_delay_alu instid0(VALU_DEP_1) | instskip(SKIP_2) | instid1(VALU_DEP_1)
	v_fma_f64 v[8:9], v[12:13], v[16:17], 1.0
	v_cndmask_b32_e64 v16, 1, -1, s0
	s_and_b32 s0, s2, s1
	v_cvt_f64_i32_e32 v[4:5], v16
	s_delay_alu instid0(VALU_DEP_3) | instskip(NEXT) | instid1(TRANS32_DEP_1)
	v_ldexp_f64 v[8:9], v[8:9], v7
	v_mul_f64_e32 v[14:15], v[2:3], v[10:11]
	s_delay_alu instid0(VALU_DEP_2) | instskip(NEXT) | instid1(VALU_DEP_3)
	v_dual_mul_f64 v[10:11], 0.5, v[10:11] :: v_dual_cndmask_b32 v8, 0, v8, s0
	v_cndmask_b32_e64 v7, 0x7ff00000, v9, s1
	s_delay_alu instid0(VALU_DEP_2) | instskip(NEXT) | instid1(VALU_DEP_2)
	v_fma_f64 v[18:19], -v[10:11], v[14:15], 0.5
	v_cndmask_b32_e64 v9, 0, v7, s2
	s_delay_alu instid0(VALU_DEP_1) | instskip(NEXT) | instid1(VALU_DEP_3)
	v_mul_f64_e32 v[4:5], v[8:9], v[4:5]
	v_fmac_f64_e32 v[14:15], v[14:15], v[18:19]
	v_fmac_f64_e32 v[10:11], v[10:11], v[18:19]
	s_delay_alu instid0(VALU_DEP_2) | instskip(NEXT) | instid1(VALU_DEP_1)
	v_fma_f64 v[18:19], -v[14:15], v[14:15], v[2:3]
	v_fmac_f64_e32 v[14:15], v[18:19], v[10:11]
	s_delay_alu instid0(VALU_DEP_1) | instskip(NEXT) | instid1(VALU_DEP_1)
	v_fma_f64 v[12:13], -v[14:15], v[14:15], v[2:3]
	v_fmac_f64_e32 v[14:15], v[12:13], v[10:11]
	v_cvt_f64_f32_e32 v[10:11], v1
	v_cndmask_b32_e64 v1, 0, 0xffffff80, vcc_lo
	v_cmp_class_f64_e64 vcc_lo, v[2:3], 0x260
	s_delay_alu instid0(VALU_DEP_2) | instskip(NEXT) | instid1(VALU_DEP_4)
	v_ldexp_f64 v[8:9], v[14:15], v1
	v_mul_f64_e32 v[4:5], v[4:5], v[10:11]
	s_delay_alu instid0(VALU_DEP_2) | instskip(SKIP_2) | instid1(VALU_DEP_3)
	v_dual_cndmask_b32 v3, v9, v3 :: v_dual_cndmask_b32 v2, v8, v2
	v_cmp_gt_f32_e32 vcc_lo, 0xf800000, v0
	v_mul_f32_e32 v1, 0x4f800000, v0
	v_div_scale_f64 v[8:9], null, v[2:3], v[2:3], v[4:5]
	s_delay_alu instid0(VALU_DEP_2) | instskip(NEXT) | instid1(VALU_DEP_2)
	v_cndmask_b32_e32 v7, v0, v1, vcc_lo
	v_rcp_f64_e32 v[10:11], v[8:9]
	v_nop
	s_delay_alu instid0(TRANS32_DEP_1) | instskip(NEXT) | instid1(VALU_DEP_1)
	v_fma_f64 v[12:13], -v[8:9], v[10:11], 1.0
	v_fmac_f64_e32 v[10:11], v[10:11], v[12:13]
	v_sqrt_f32_e32 v12, v7
	v_nop
	s_delay_alu instid0(TRANS32_DEP_1) | instskip(NEXT) | instid1(VALU_DEP_1)
	v_dual_add_nc_u32 v13, -1, v12 :: v_dual_add_nc_u32 v14, 1, v12
	v_dual_fma_f32 v15, -v13, v12, v7 :: v_dual_fma_f32 v17, -v14, v12, v7
	s_delay_alu instid0(VALU_DEP_1) | instskip(NEXT) | instid1(VALU_DEP_1)
	v_cmp_ge_f32_e64 s0, 0, v15
	v_cndmask_b32_e64 v12, v12, v13, s0
	s_delay_alu instid0(VALU_DEP_3) | instskip(NEXT) | instid1(VALU_DEP_1)
	v_cmp_lt_f32_e64 s0, 0, v17
	v_cndmask_b32_e64 v12, v12, v14, s0
	v_cvt_f32_i32_e32 v14, v16
	s_mov_b32 s0, 0xb9d6f8c4
	v_fma_f64 v[0:1], -v[8:9], v[10:11], 1.0
	s_delay_alu instid0(VALU_DEP_2) | instskip(NEXT) | instid1(VALU_DEP_1)
	v_dual_mul_f32 v13, 0x37800000, v12 :: v_dual_mul_f32 v6, v6, v14
	v_cndmask_b32_e32 v12, v12, v13, vcc_lo
	v_cmp_class_f32_e64 vcc_lo, v7, 0x260
	s_delay_alu instid0(VALU_DEP_2) | instskip(NEXT) | instid1(VALU_DEP_1)
	v_cndmask_b32_e32 v7, v12, v7, vcc_lo
	v_mul_f32_e32 v16, v7, v6
	v_div_scale_f64 v[6:7], vcc_lo, v[4:5], v[2:3], v[4:5]
	v_fmac_f64_e32 v[10:11], v[10:11], v[0:1]
	s_delay_alu instid0(VALU_DEP_3) | instskip(NEXT) | instid1(VALU_DEP_1)
	v_add_f32_e64 v0, |v16|, 2.0
	v_rcp_f32_e32 v12, v0
	v_nop
	v_add_f32_e64 v0, |v16|, -2.0
	s_delay_alu instid0(TRANS32_DEP_1) | instid1(VALU_DEP_1)
	v_mul_f32_e32 v13, v0, v12
	s_delay_alu instid0(VALU_DEP_1) | instskip(NEXT) | instid1(VALU_DEP_1)
	v_add_f32_e32 v0, 1.0, v13
	v_fma_f32 v0, v0, -2.0, |v16|
	s_delay_alu instid0(VALU_DEP_1) | instskip(SKIP_1) | instid1(VALU_DEP_2)
	v_fma_f32 v14, -v13, |v16|, v0
	v_mul_f64_e32 v[0:1], v[6:7], v[10:11]
	v_fmac_f32_e32 v13, v12, v14
	v_mul_f32_e64 v14, v16, -v16
	s_delay_alu instid0(VALU_DEP_1) | instskip(NEXT) | instid1(VALU_DEP_1)
	v_mul_f32_e32 v15, 0x3fb8aa3b, v14
	v_fma_f32 v17, 0x3fb8aa3b, v14, -v15
	v_rndne_f32_e32 v18, v15
	v_fmaak_f32 v12, s0, v13, 0xbaa2d753
	v_cmp_ngt_f32_e64 s0, 0xc2ce8ed0, v14
	s_delay_alu instid0(VALU_DEP_3) | instskip(NEXT) | instid1(VALU_DEP_1)
	v_dual_fma_f64 v[6:7], -v[8:9], v[0:1], v[6:7] :: v_dual_sub_f32 v15, v15, v18
	v_div_fmas_f64 v[0:1], v[6:7], v[10:11], v[0:1]
	v_cmp_nlt_f32_e64 vcc_lo, 0x4120ddfc, |v16|
	v_fmamk_f32 v17, v14, 0x32a5705f, v17
	s_delay_alu instid0(VALU_DEP_1) | instskip(SKIP_1) | instid1(VALU_DEP_1)
	v_add_f32_e32 v15, v15, v17
	v_add_f32_e64 v17, |v16|, |v16|
	v_dual_fmaak_f32 v12, v13, v12, 0x3aad2fb4 :: v_dual_add_f32 v9, 1.0, v17
	s_delay_alu instid0(VALU_DEP_1) | instskip(NEXT) | instid1(VALU_DEP_2)
	v_fmaak_f32 v12, v13, v12, 0x3c0da267
	v_rcp_f32_e32 v9, v9
	s_delay_alu instid0(VALU_DEP_1) | instskip(NEXT) | instid1(VALU_DEP_1)
	v_fmaak_f32 v12, v13, v12, 0xbc0415b1
	v_fmaak_f32 v12, v13, v12, 0xbd5e0a18
	s_delay_alu instid0(VALU_DEP_1) | instskip(SKIP_1) | instid1(VALU_DEP_2)
	v_fmaak_f32 v12, v13, v12, 0x3e27fe2a
	v_div_fixup_f64 v[0:1], v[0:1], v[2:3], v[4:5]
	v_fmaak_f32 v8, v13, v12, 0xbe2a03fd
	v_exp_f32_e32 v12, v15
	v_nop
	v_cvt_i32_f32_e32 v15, v18
	s_delay_alu instid0(VALU_DEP_3)
	v_fmaak_f32 v8, v13, v8, 0xbdbdfb0b
	s_delay_alu instid0(TRANS32_DEP_1) | instid1(VALU_DEP_2)
	v_ldexp_f32 v12, v12, v15
	s_delay_alu instid0(VALU_DEP_2) | instskip(NEXT) | instid1(VALU_DEP_2)
	v_fmaak_f32 v15, v13, v8, 0x3e8dd01c
	v_cndmask_b32_e64 v8, 0, v12, s0
	v_cmp_nlt_f32_e64 s0, 0x42b17218, v14
	s_delay_alu instid0(VALU_DEP_3) | instskip(NEXT) | instid1(VALU_DEP_2)
	v_fma_f32 v13, v15, v9, v9
	v_cndmask_b32_e64 v8, 0x7f800000, v8, s0
	s_delay_alu instid0(VALU_DEP_2) | instskip(SKIP_1) | instid1(VALU_DEP_1)
	v_fma_f32 v17, -v13, v17, 1.0
	v_dual_sub_f32 v15, v15, v13 :: v_dual_fma_f32 v14, -v16, v16, -v14
	v_dual_mov_b32 v12, v8 :: v_dual_add_f32 v15, v17, v15
	s_delay_alu instid0(VALU_DEP_1) | instskip(NEXT) | instid1(VALU_DEP_1)
	v_pk_fma_f32 v[6:7], v[8:9], v[14:15], v[12:13]
	v_mul_f32_e32 v6, v6, v7
	s_delay_alu instid0(VALU_DEP_1) | instskip(SKIP_1) | instid1(VALU_DEP_2)
	v_cndmask_b32_e32 v6, 0, v6, vcc_lo
	v_cmp_gt_f32_e32 vcc_lo, 0, v16
	v_sub_f32_e32 v7, 2.0, v6
	s_delay_alu instid0(VALU_DEP_1) | instskip(NEXT) | instid1(VALU_DEP_1)
	v_cndmask_b32_e32 v6, v6, v7, vcc_lo
	v_mul_f32_e32 v6, 0.5, v6
	s_delay_alu instid0(VALU_DEP_1) | instskip(NEXT) | instid1(VALU_DEP_1)
	v_cvt_f64_f32_e32 v[2:3], v6
	v_add_f64_e32 v[0:1], v[0:1], v[2:3]
	s_delay_alu instid0(VALU_DEP_1)
	v_cvt_f32_f64_e32 v0, v[0:1]
	s_set_pc_i64 s[30:31]
.Lfunc_end13:
	.size	_ZN12_GLOBAL__N_130_igam_helper_asymptotic_seriesIfEET_S1_S1_b, .Lfunc_end13-_ZN12_GLOBAL__N_130_igam_helper_asymptotic_seriesIfEET_S1_S1_b
                                        ; -- End function
	.set .L_ZN12_GLOBAL__N_130_igam_helper_asymptotic_seriesIfEET_S1_S1_b.num_vgpr, 20
	.set .L_ZN12_GLOBAL__N_130_igam_helper_asymptotic_seriesIfEET_S1_S1_b.num_agpr, 0
	.set .L_ZN12_GLOBAL__N_130_igam_helper_asymptotic_seriesIfEET_S1_S1_b.numbered_sgpr, 33
	.set .L_ZN12_GLOBAL__N_130_igam_helper_asymptotic_seriesIfEET_S1_S1_b.num_named_barrier, 0
	.set .L_ZN12_GLOBAL__N_130_igam_helper_asymptotic_seriesIfEET_S1_S1_b.private_seg_size, 112
	.set .L_ZN12_GLOBAL__N_130_igam_helper_asymptotic_seriesIfEET_S1_S1_b.uses_vcc, 1
	.set .L_ZN12_GLOBAL__N_130_igam_helper_asymptotic_seriesIfEET_S1_S1_b.uses_flat_scratch, 1
	.set .L_ZN12_GLOBAL__N_130_igam_helper_asymptotic_seriesIfEET_S1_S1_b.has_dyn_sized_stack, 0
	.set .L_ZN12_GLOBAL__N_130_igam_helper_asymptotic_seriesIfEET_S1_S1_b.has_recursion, 0
	.set .L_ZN12_GLOBAL__N_130_igam_helper_asymptotic_seriesIfEET_S1_S1_b.has_indirect_call, 0
	.section	.AMDGPU.csdata,"",@progbits
; Function info:
; codeLenInByte = 4556
; TotalNumSgprs: 35
; NumVgprs: 20
; ScratchSize: 112
; MemoryBound: 0
	.text
	.p2align	2                               ; -- Begin function _ZN12_GLOBAL__N_116_igam_helper_facIfEET_S1_S1_
	.type	_ZN12_GLOBAL__N_116_igam_helper_facIfEET_S1_S1_,@function
_ZN12_GLOBAL__N_116_igam_helper_facIfEET_S1_S1_: ; @_ZN12_GLOBAL__N_116_igam_helper_facIfEET_S1_S1_
; %bb.0:
	s_wait_loadcnt_dscnt 0x0
	s_wait_kmcnt 0x0
	v_cvt_f64_f32_e64 v[2:3], |v0|
	v_sub_f32_e32 v8, v0, v1
	s_delay_alu instid0(VALU_DEP_1) | instskip(NEXT) | instid1(VALU_DEP_3)
	v_cvt_f64_f32_e64 v[4:5], |v8|
	v_mul_f64_e32 v[2:3], 0x3fd999999999999a, v[2:3]
	s_delay_alu instid0(VALU_DEP_1) | instskip(SKIP_1) | instid1(SALU_CYCLE_1)
	v_cmp_nlt_f64_e32 vcc_lo, v[2:3], v[4:5]
                                        ; implicit-def: $vgpr2
	s_and_saveexec_b32 s0, vcc_lo
	s_xor_b32 s3, exec_lo, s0
	s_cbranch_execnz .LBB14_3
; %bb.1:
	s_and_not1_saveexec_b32 s2, s3
	s_cbranch_execnz .LBB14_12
.LBB14_2:
	s_or_b32 exec_lo, exec_lo, s2
	s_delay_alu instid0(VALU_DEP_1)
	v_mov_b32_e32 v0, v2
	s_set_pc_i64 s[30:31]
.LBB14_3:
	s_get_pc_i64 s[4:5]
	s_add_nc_u64 s[4:5], s[4:5], __const._ZN12_GLOBAL__N_123lanczos_sum_expg_scaledIfEET_S1_.lanczos_sum_expg_scaled_num@rel64+4
	s_get_pc_i64 s[6:7]
	s_add_nc_u64 s[6:7], s[6:7], __const._ZN12_GLOBAL__N_123lanczos_sum_expg_scaledIfEET_S1_.lanczos_sum_expg_scaled_denom@rel64+4
	v_mov_b64_e32 v[6:7], 1
	v_mov_b64_e32 v[4:5], s[4:5]
	;; [unrolled: 1-line block ×3, first 2 shown]
	v_cmp_gt_f32_e64 s0, |v0|, 1.0
	v_mov_b32_e32 v9, v0
	s_and_saveexec_b32 s1, s0
	s_cbranch_execz .LBB14_5
; %bb.4:
	v_div_scale_f32 v2, null, v0, v0, 1.0
	v_div_scale_f32 v5, vcc_lo, 1.0, v0, 1.0
	s_get_pc_i64 s[4:5]
	s_add_nc_u64 s[4:5], s[4:5], __const._ZN12_GLOBAL__N_123lanczos_sum_expg_scaledIfEET_S1_.lanczos_sum_expg_scaled_num@rel64+52
	v_rcp_f32_e32 v3, v2
	s_get_pc_i64 s[6:7]
	s_add_nc_u64 s[6:7], s[6:7], __const._ZN12_GLOBAL__N_123lanczos_sum_expg_scaledIfEET_S1_.lanczos_sum_expg_scaled_denom@rel64+52
	v_nop
	s_delay_alu instid0(TRANS32_DEP_1) | instskip(NEXT) | instid1(VALU_DEP_1)
	v_fma_f32 v4, -v2, v3, 1.0
	v_fmac_f32_e32 v3, v4, v3
	s_delay_alu instid0(VALU_DEP_1) | instskip(NEXT) | instid1(VALU_DEP_1)
	v_mul_f32_e32 v4, v5, v3
	v_fma_f32 v6, -v2, v4, v5
	s_delay_alu instid0(VALU_DEP_1) | instskip(SKIP_1) | instid1(VALU_DEP_2)
	v_fmac_f32_e32 v4, v6, v3
	v_mov_b64_e32 v[6:7], -1
	v_fma_f32 v2, -v2, v4, v5
	s_delay_alu instid0(VALU_DEP_1) | instskip(SKIP_1) | instid1(VALU_DEP_2)
	v_div_fmas_f32 v2, v2, v3, v4
	v_mov_b64_e32 v[4:5], s[4:5]
	v_div_fixup_f32 v9, v2, v0, 1.0
	v_mov_b64_e32 v[2:3], s[6:7]
.LBB14_5:
	s_or_b32 exec_lo, exec_lo, s1
	v_lshlrev_b64_e32 v[6:7], 2, v[6:7]
	s_delay_alu instid0(VALU_DEP_1) | instskip(NEXT) | instid1(VALU_DEP_3)
	v_add_nc_u64_e32 v[10:11], v[4:5], v[6:7]
	v_add_nc_u64_e32 v[18:19], v[2:3], v[6:7]
	s_clause 0x1
	global_load_b32 v52, v[4:5], off
	global_load_b32 v53, v[10:11], off
	v_add_nc_u64_e32 v[12:13], v[10:11], v[6:7]
	v_add_nc_u64_e32 v[20:21], v[18:19], v[6:7]
	s_delay_alu instid0(VALU_DEP_2) | instskip(NEXT) | instid1(VALU_DEP_2)
	v_add_nc_u64_e32 v[14:15], v[12:13], v[6:7]
	v_add_nc_u64_e32 v[22:23], v[20:21], v[6:7]
	s_clause 0x1
	global_load_b32 v54, v[12:13], off
	global_load_b32 v55, v[14:15], off
	v_add_nc_u64_e32 v[16:17], v[14:15], v[6:7]
	v_add_nc_u64_e32 v[24:25], v[22:23], v[6:7]
	s_delay_alu instid0(VALU_DEP_2)
	v_add_nc_u64_e32 v[26:27], v[16:17], v[6:7]
	global_load_b32 v64, v[16:17], off
	v_add_nc_u64_e32 v[28:29], v[24:25], v[6:7]
	v_add_nc_u64_e32 v[30:31], v[26:27], v[6:7]
	s_clause 0x1
	global_load_b32 v65, v[26:27], off
	global_load_b32 v66, v[30:31], off
	s_wait_xcnt 0x6
	v_add_nc_u64_e32 v[4:5], v[30:31], v[6:7]
	v_add_nc_u64_e32 v[32:33], v[28:29], v[6:7]
	s_wait_xcnt 0x5
	s_delay_alu instid0(VALU_DEP_2)
	v_add_nc_u64_e32 v[10:11], v[4:5], v[6:7]
	global_load_b32 v67, v[4:5], off
	v_add_nc_u64_e32 v[34:35], v[32:33], v[6:7]
	s_wait_xcnt 0x5
	v_add_nc_u64_e32 v[12:13], v[10:11], v[6:7]
	s_clause 0x1
	global_load_b32 v68, v[10:11], off
	global_load_b32 v69, v[12:13], off
	s_wait_xcnt 0x6
	v_add_nc_u64_e32 v[14:15], v[12:13], v[6:7]
	v_add_nc_u64_e32 v[36:37], v[34:35], v[6:7]
	s_wait_xcnt 0x2
	s_delay_alu instid0(VALU_DEP_2) | instskip(NEXT) | instid1(VALU_DEP_2)
	v_add_nc_u64_e32 v[4:5], v[14:15], v[6:7]
	v_add_nc_u64_e32 v[26:27], v[36:37], v[6:7]
	global_load_b32 v13, v[2:3], off
	global_load_b32 v70, v[14:15], off
	;; [unrolled: 1-line block ×3, first 2 shown]
	v_add_nc_u64_e32 v[48:49], v[4:5], v[6:7]
	v_add_nc_u64_e32 v[30:31], v[26:27], v[6:7]
	s_delay_alu instid0(VALU_DEP_1) | instskip(NEXT) | instid1(VALU_DEP_1)
	v_add_nc_u64_e32 v[38:39], v[30:31], v[6:7]
	v_add_nc_u64_e32 v[50:51], v[38:39], v[6:7]
	global_load_b32 v2, v[48:49], off
	s_clause 0x9
	global_load_b32 v17, v[18:19], off
	global_load_b32 v16, v[20:21], off
	;; [unrolled: 1-line block ×12, first 2 shown]
	s_wait_loadcnt 0x18
	v_fmac_f32_e32 v53, v9, v52
	s_wait_loadcnt 0x17
	s_delay_alu instid0(VALU_DEP_1) | instskip(SKIP_1) | instid1(VALU_DEP_1)
	v_fmac_f32_e32 v54, v9, v53
	s_wait_loadcnt 0x16
	v_fmac_f32_e32 v55, v9, v54
	s_wait_loadcnt 0x15
	s_delay_alu instid0(VALU_DEP_1) | instskip(SKIP_1) | instid1(VALU_DEP_1)
	v_fmac_f32_e32 v64, v9, v55
	s_wait_loadcnt 0x14
	v_fmac_f32_e32 v65, v9, v64
	s_wait_loadcnt 0x13
	s_delay_alu instid0(VALU_DEP_1) | instskip(SKIP_1) | instid1(VALU_DEP_1)
	v_fmac_f32_e32 v66, v9, v65
	s_wait_loadcnt 0x12
	v_fmac_f32_e32 v67, v9, v66
	s_wait_loadcnt 0x11
	s_delay_alu instid0(VALU_DEP_1) | instskip(SKIP_1) | instid1(VALU_DEP_1)
	v_fmac_f32_e32 v68, v9, v67
	s_wait_loadcnt 0x10
	v_fmac_f32_e32 v69, v9, v68
	s_wait_loadcnt 0xe
	s_delay_alu instid0(VALU_DEP_1) | instskip(SKIP_1) | instid1(VALU_DEP_1)
	v_fmac_f32_e32 v70, v9, v69
	s_wait_loadcnt 0xd
	v_fmac_f32_e32 v71, v9, v70
	s_wait_loadcnt 0xc
	s_delay_alu instid0(VALU_DEP_1)
	v_fmac_f32_e32 v2, v9, v71
	s_wait_xcnt 0x0
	s_and_saveexec_b32 s2, s0
	s_cbranch_execz .LBB14_7
; %bb.6:
	v_cmp_eq_f32_e32 vcc_lo, 1.0, v0
	s_mov_b32 s0, 0x3e76c4e1
	v_cndmask_b32_e64 v34, 0, 1.0, vcc_lo
	s_delay_alu instid0(VALU_DEP_1) | instskip(SKIP_1) | instid1(VALU_DEP_1)
	v_cmp_neq_f32_e32 vcc_lo, 0, v34
	v_cndmask_b32_e32 v35, 1.0, v0, vcc_lo
	v_frexp_mant_f32_e64 v18, |v35|
	s_delay_alu instid0(VALU_DEP_1) | instskip(SKIP_1) | instid1(VALU_DEP_1)
	v_cmp_gt_f32_e32 vcc_lo, 0x3f2aaaab, v18
	v_cndmask_b32_e64 v19, 1.0, 2.0, vcc_lo
	v_mul_f32_e32 v18, v18, v19
	s_delay_alu instid0(VALU_DEP_1) | instskip(NEXT) | instid1(VALU_DEP_1)
	v_dual_add_f32 v21, 1.0, v18 :: v_dual_add_f32 v19, -1.0, v18
	v_rcp_f32_e32 v24, v21
	v_add_f32_e32 v22, -1.0, v21
	s_delay_alu instid0(TRANS32_DEP_1) | instid1(VALU_DEP_1)
	v_dual_sub_f32 v18, v18, v22 :: v_dual_mul_f32 v25, v19, v24
	s_delay_alu instid0(VALU_DEP_1) | instskip(NEXT) | instid1(VALU_DEP_1)
	v_mul_f32_e32 v20, v21, v25
	v_fma_f32 v22, v25, v21, -v20
	s_delay_alu instid0(VALU_DEP_1) | instskip(NEXT) | instid1(VALU_DEP_1)
	v_fmac_f32_e32 v22, v25, v18
	v_add_f32_e32 v18, v20, v22
	s_delay_alu instid0(VALU_DEP_1) | instskip(NEXT) | instid1(VALU_DEP_1)
	v_dual_sub_f32 v21, v19, v18 :: v_dual_mov_b32 v23, v18
	v_pk_add_f32 v[18:19], v[18:19], v[20:21] neg_lo:[0,1] neg_hi:[0,1]
	s_delay_alu instid0(VALU_DEP_1) | instskip(NEXT) | instid1(VALU_DEP_1)
	v_pk_add_f32 v[18:19], v[18:19], v[22:23] neg_lo:[0,1] neg_hi:[0,1]
	v_add_f32_e32 v18, v18, v19
	s_delay_alu instid0(VALU_DEP_1) | instskip(NEXT) | instid1(VALU_DEP_1)
	v_add_f32_e32 v18, v21, v18
	v_mul_f32_e32 v19, v24, v18
	s_delay_alu instid0(VALU_DEP_1) | instskip(NEXT) | instid1(VALU_DEP_1)
	v_add_f32_e32 v18, v25, v19
	v_sub_f32_e32 v20, v18, v25
	s_delay_alu instid0(VALU_DEP_1) | instskip(NEXT) | instid1(VALU_DEP_1)
	v_sub_f32_e32 v30, v19, v20
	v_add_f32_e32 v20, v30, v30
	v_mul_f32_e32 v21, v18, v18
	s_delay_alu instid0(VALU_DEP_1) | instskip(NEXT) | instid1(VALU_DEP_1)
	v_fma_f32 v19, v18, v18, -v21
	v_fmac_f32_e32 v19, v18, v20
	s_delay_alu instid0(VALU_DEP_1) | instskip(NEXT) | instid1(VALU_DEP_1)
	v_add_f32_e32 v20, v21, v19
	v_dual_fmaak_f32 v22, s0, v20, 0x3e91f4c4 :: v_dual_sub_f32 v21, v20, v21
	s_delay_alu instid0(VALU_DEP_1) | instskip(SKIP_1) | instid1(VALU_DEP_2)
	v_fmaak_f32 v24, v20, v22, 0x3ecccdef
	v_cvt_f64_f32_e64 v[22:23], |v35|
	v_dual_mul_f32 v25, v20, v24 :: v_dual_sub_f32 v28, v19, v21
	s_delay_alu instid0(VALU_DEP_1) | instskip(NEXT) | instid1(VALU_DEP_1)
	v_fma_f32 v19, v20, v24, -v25
	v_fmac_f32_e32 v19, v28, v24
	s_delay_alu instid0(VALU_DEP_1) | instskip(NEXT) | instid1(VALU_DEP_1)
	v_add_f32_e32 v21, v25, v19
	v_sub_f32_e32 v24, v21, v25
	v_add_f32_e32 v25, 0x3f2aaaaa, v21
	s_delay_alu instid0(VALU_DEP_1) | instskip(SKIP_1) | instid1(VALU_DEP_2)
	v_dual_sub_f32 v19, v19, v24 :: v_dual_add_f32 v24, 0xbf2aaaaa, v25
	v_frexp_exp_i32_f64_e32 v29, v[22:23]
	v_add_f32_e32 v19, 0x31739010, v19
	s_delay_alu instid0(VALU_DEP_3) | instskip(NEXT) | instid1(VALU_DEP_1)
	v_sub_f32_e32 v21, v21, v24
	v_pk_mul_f32 v[22:23], v[18:19], v[20:21]
	s_delay_alu instid0(VALU_DEP_1) | instskip(NEXT) | instid1(VALU_DEP_1)
	v_fma_f32 v24, v20, v18, -v22
	v_fmac_f32_e32 v24, v20, v30
	s_delay_alu instid0(VALU_DEP_1) | instskip(SKIP_1) | instid1(VALU_DEP_1)
	v_fmac_f32_e32 v24, v28, v18
	v_pk_add_f32 v[26:27], v[18:19], v[20:21]
	v_mov_b32_e32 v23, v27
	v_subrev_co_ci_u32_e64 v19, null, 0, v29, vcc_lo
	s_delay_alu instid0(VALU_DEP_2) | instskip(NEXT) | instid1(VALU_DEP_2)
	v_pk_add_f32 v[20:21], v[22:23], v[24:25]
	v_cvt_f32_i32_e32 v19, v19
	s_delay_alu instid0(VALU_DEP_2) | instskip(NEXT) | instid1(VALU_DEP_3)
	v_mov_b32_e32 v26, v21
	v_dual_sub_f32 v23, v25, v21 :: v_dual_sub_f32 v25, v20, v22
	s_delay_alu instid0(VALU_DEP_2) | instskip(NEXT) | instid1(VALU_DEP_2)
	v_pk_mul_f32 v[28:29], v[20:21], v[26:27]
	v_sub_f32_e32 v24, v24, v25
	s_delay_alu instid0(VALU_DEP_2) | instskip(NEXT) | instid1(VALU_DEP_1)
	v_dual_fma_f32 v22, v20, v21, -v28 :: v_dual_add_f32 v23, v27, v23
	v_fmac_f32_e32 v22, v20, v23
	s_delay_alu instid0(VALU_DEP_1) | instskip(SKIP_2) | instid1(VALU_DEP_3)
	v_fmac_f32_e32 v22, v24, v21
	v_mul_f32_e32 v26, 0x3f317218, v19
	v_ldexp_f32 v21, v18, 1
	v_add_f32_e32 v27, v28, v22
	s_delay_alu instid0(VALU_DEP_3) | instskip(NEXT) | instid1(VALU_DEP_2)
	v_fma_f32 v20, 0x3f317218, v19, -v26
	v_dual_mov_b32 v29, v21 :: v_dual_mov_b32 v24, v27
	s_delay_alu instid0(VALU_DEP_2) | instskip(NEXT) | instid1(VALU_DEP_1)
	v_fmamk_f32 v20, v19, 0xb102e308, v20
	v_pk_add_f32 v[18:19], v[26:27], v[20:21]
	v_ldexp_f32 v21, v30, 1
	s_delay_alu instid0(VALU_DEP_2) | instskip(NEXT) | instid1(VALU_DEP_1)
	v_dual_mov_b32 v23, v27 :: v_dual_mov_b32 v25, v19
	v_pk_add_f32 v[24:25], v[24:25], v[28:29] neg_lo:[0,1] neg_hi:[0,1]
	s_delay_alu instid0(VALU_DEP_1) | instskip(NEXT) | instid1(VALU_DEP_1)
	v_pk_add_f32 v[22:23], v[22:23], v[24:25] neg_lo:[0,1] neg_hi:[0,1]
	v_add_f32_e32 v21, v21, v22
	s_delay_alu instid0(VALU_DEP_1) | instskip(NEXT) | instid1(VALU_DEP_1)
	v_dual_add_f32 v27, v21, v23 :: v_dual_mov_b32 v21, v18
	v_pk_add_f32 v[22:23], v[18:19], v[26:27]
	v_pk_add_f32 v[24:25], v[18:19], v[26:27] neg_lo:[0,1] neg_hi:[0,1]
	s_delay_alu instid0(VALU_DEP_2) | instskip(NEXT) | instid1(VALU_DEP_1)
	v_dual_mov_b32 v32, v19 :: v_dual_mov_b32 v25, v23
	v_pk_add_f32 v[28:29], v[20:21], v[24:25]
	s_delay_alu instid0(VALU_DEP_1) | instskip(SKIP_1) | instid1(VALU_DEP_2)
	v_dual_mov_b32 v28, v23 :: v_dual_mov_b32 v26, v29
	v_pk_add_f32 v[20:21], v[20:21], v[24:25] neg_lo:[0,1] neg_hi:[0,1]
	v_pk_add_f32 v[30:31], v[26:27], v[18:19] neg_lo:[0,1] neg_hi:[0,1]
	v_dual_mov_b32 v19, v18 :: v_dual_mov_b32 v18, v27
	s_delay_alu instid0(VALU_DEP_2) | instskip(NEXT) | instid1(VALU_DEP_1)
	v_dual_mov_b32 v27, v30 :: v_dual_mov_b32 v33, v30
	v_pk_add_f32 v[22:23], v[22:23], v[26:27] neg_lo:[0,1] neg_hi:[0,1]
	s_delay_alu instid0(VALU_DEP_2) | instskip(SKIP_1) | instid1(VALU_DEP_2)
	v_pk_add_f32 v[24:25], v[28:29], v[32:33] neg_lo:[0,1] neg_hi:[0,1]
	v_mov_b32_e32 v22, v20
	v_pk_add_f32 v[18:19], v[18:19], v[24:25] neg_lo:[0,1] neg_hi:[0,1]
	s_delay_alu instid0(VALU_DEP_1) | instskip(NEXT) | instid1(VALU_DEP_1)
	v_pk_add_f32 v[22:23], v[22:23], v[18:19]
	v_mov_b32_e32 v24, v23
	s_delay_alu instid0(VALU_DEP_1) | instskip(NEXT) | instid1(VALU_DEP_1)
	v_pk_add_f32 v[24:25], v[22:23], v[24:25]
	v_pk_add_f32 v[26:27], v[26:27], v[24:25]
	s_delay_alu instid0(VALU_DEP_1) | instskip(NEXT) | instid1(VALU_DEP_1)
	v_dual_mov_b32 v21, v29 :: v_dual_mov_b32 v23, v26
	v_pk_add_f32 v[28:29], v[22:23], v[20:21] neg_lo:[0,1] neg_hi:[0,1]
	s_delay_alu instid0(VALU_DEP_1) | instskip(NEXT) | instid1(VALU_DEP_1)
	v_dual_mov_b32 v19, v24 :: v_dual_sub_f32 v21, v22, v28
	v_pk_add_f32 v[18:19], v[18:19], v[28:29] neg_lo:[0,1] neg_hi:[0,1]
	s_delay_alu instid0(VALU_DEP_2) | instskip(NEXT) | instid1(VALU_DEP_1)
	v_sub_f32_e32 v20, v20, v21
	v_add_f32_e32 v18, v18, v20
	s_delay_alu instid0(VALU_DEP_1) | instskip(NEXT) | instid1(VALU_DEP_1)
	v_add_f32_e32 v18, v18, v19
	v_add_f32_e32 v19, v26, v18
	s_delay_alu instid0(VALU_DEP_1) | instskip(NEXT) | instid1(VALU_DEP_1)
	v_sub_f32_e32 v20, v19, v26
	v_sub_f32_e32 v18, v18, v20
	v_mul_f32_e32 v21, v34, v19
	s_delay_alu instid0(VALU_DEP_1) | instskip(NEXT) | instid1(VALU_DEP_1)
	v_fma_f32 v19, v34, v19, -v21
	v_fmac_f32_e32 v19, v34, v18
	v_cmp_class_f32_e64 vcc_lo, v21, 0x204
	s_delay_alu instid0(VALU_DEP_2) | instskip(NEXT) | instid1(VALU_DEP_1)
	v_add_f32_e32 v18, v21, v19
	v_cndmask_b32_e32 v20, v18, v21, vcc_lo
	s_delay_alu instid0(VALU_DEP_1) | instskip(NEXT) | instid1(VALU_DEP_4)
	v_cmp_eq_f32_e32 vcc_lo, 0x42b17218, v20
	v_cndmask_b32_e64 v22, 0, 0x37000000, vcc_lo
	s_delay_alu instid0(VALU_DEP_1) | instskip(NEXT) | instid1(VALU_DEP_1)
	v_sub_f32_e32 v23, v20, v22
	v_mul_f32_e32 v24, 0x3fb8aa3b, v23
	s_delay_alu instid0(VALU_DEP_1) | instskip(SKIP_1) | instid1(VALU_DEP_1)
	v_fma_f32 v25, 0x3fb8aa3b, v23, -v24
	v_rndne_f32_e32 v26, v24
	v_dual_fmamk_f32 v25, v23, 0x32a5705f, v25 :: v_dual_sub_f32 v24, v24, v26
	v_sub_f32_e32 v18, v18, v21
	v_cmp_neq_f32_e64 vcc_lo, 0x7f800000, |v20|
	v_trunc_f32_e32 v20, v34
	s_delay_alu instid0(VALU_DEP_3) | instskip(NEXT) | instid1(VALU_DEP_1)
	v_dual_add_f32 v24, v24, v25 :: v_dual_sub_f32 v18, v19, v18
	v_exp_f32_e32 v21, v24
	v_nop
	v_cvt_i32_f32_e32 v24, v26
	s_delay_alu instid0(VALU_DEP_3)
	v_cndmask_b32_e32 v18, 0, v18, vcc_lo
	v_cmp_ngt_f32_e32 vcc_lo, 0xc2ce8ed0, v23
	s_delay_alu instid0(TRANS32_DEP_1) | instid1(VALU_DEP_3)
	v_ldexp_f32 v19, v21, v24
	s_delay_alu instid0(VALU_DEP_1) | instskip(NEXT) | instid1(VALU_DEP_1)
	v_dual_mul_f32 v21, 0.5, v34 :: v_dual_cndmask_b32 v19, 0, v19, vcc_lo
	v_trunc_f32_e32 v24, v21
	v_cmp_nlt_f32_e32 vcc_lo, 0x42b17218, v23
	s_delay_alu instid0(VALU_DEP_2) | instskip(NEXT) | instid1(VALU_DEP_4)
	v_cmp_neq_f32_e64 s0, v24, v21
	v_cndmask_b32_e32 v19, 0x7f800000, v19, vcc_lo
	v_cmp_eq_f32_e32 vcc_lo, v20, v34
	s_delay_alu instid0(VALU_DEP_2) | instskip(SKIP_1) | instid1(SALU_CYCLE_1)
	v_cmp_class_f32_e64 s1, v19, 0x204
	s_and_b32 s0, vcc_lo, s0
	v_dual_cndmask_b32 v20, 1.0, v35, s0 :: v_dual_add_f32 v18, v22, v18
	s_delay_alu instid0(VALU_DEP_1) | instskip(NEXT) | instid1(VALU_DEP_1)
	v_fma_f32 v18, v19, v18, v19
	v_cndmask_b32_e64 v18, v18, v19, s1
	s_brev_b32 s1, -2
	s_delay_alu instid0(VALU_DEP_1) | instskip(SKIP_1) | instid1(VALU_DEP_2)
	v_bfi_b32 v18, 0x7fffffff, v18, v20
	v_bfi_b32 v20, s1, 0x7f800000, v35
	v_cndmask_b32_e32 v19, 0x7fc00000, v18, vcc_lo
	v_cmp_gt_f32_e32 vcc_lo, 0, v35
	s_delay_alu instid0(VALU_DEP_2) | instskip(NEXT) | instid1(VALU_DEP_4)
	v_cndmask_b32_e32 v18, v18, v19, vcc_lo
	v_cndmask_b32_e64 v19, 0x7f800000, v20, s0
	v_cmp_class_f32_e64 vcc_lo, v35, 0x204
	s_delay_alu instid0(VALU_DEP_2) | instskip(NEXT) | instid1(VALU_DEP_1)
	v_cndmask_b32_e32 v18, v18, v19, vcc_lo
	v_mul_f32_e32 v2, v18, v2
.LBB14_7:
	s_or_b32 exec_lo, exec_lo, s2
	s_wait_loadcnt 0xb
	v_fmac_f32_e32 v17, v9, v13
	v_add_f32_e32 v13, 0x40c0ca2e, v0
	s_delay_alu instid0(VALU_DEP_1) | instskip(SKIP_1) | instid1(VALU_DEP_3)
	v_add_f32_e32 v13, -0.5, v13
	s_wait_loadcnt 0xa
	v_fmac_f32_e32 v16, v9, v17
	s_wait_loadcnt 0x9
	s_delay_alu instid0(VALU_DEP_1) | instskip(SKIP_2) | instid1(VALU_DEP_2)
	v_fmac_f32_e32 v15, v9, v16
	v_div_scale_f32 v16, null, 0x402df854, 0x402df854, v13
	s_wait_loadcnt 0x8
	v_fmac_f32_e32 v14, v9, v15
	s_delay_alu instid0(VALU_DEP_2) | instskip(SKIP_1) | instid1(VALU_DEP_1)
	v_rcp_f32_e32 v15, v16
	s_wait_loadcnt 0x7
	v_fmac_f32_e32 v12, v9, v14
	s_delay_alu instid0(TRANS32_DEP_1) | instskip(SKIP_1) | instid1(VALU_DEP_2)
	v_fma_f32 v14, -v16, v15, 1.0
	s_wait_loadcnt 0x6
	v_fmac_f32_e32 v11, v9, v12
	v_div_scale_f32 v12, vcc_lo, v13, 0x402df854, v13
	s_wait_loadcnt 0x5
	s_delay_alu instid0(VALU_DEP_2) | instskip(SKIP_1) | instid1(VALU_DEP_1)
	v_fmac_f32_e32 v10, v9, v11
	s_wait_loadcnt 0x4
	v_fmac_f32_e32 v7, v9, v10
	s_wait_loadcnt 0x3
	s_delay_alu instid0(VALU_DEP_1) | instskip(SKIP_1) | instid1(VALU_DEP_1)
	v_fmac_f32_e32 v6, v9, v7
	s_wait_loadcnt 0x2
	v_dual_fmac_f32 v15, v14, v15 :: v_dual_fmac_f32 v5, v9, v6
	s_wait_loadcnt 0x1
	s_delay_alu instid0(VALU_DEP_1) | instskip(SKIP_1) | instid1(VALU_DEP_1)
	v_dual_mul_f32 v11, v12, v15 :: v_dual_fmac_f32 v4, v9, v5
	s_wait_loadcnt 0x0
	v_dual_fma_f32 v10, -v16, v11, v12 :: v_dual_fmac_f32 v3, v9, v4
	s_delay_alu instid0(VALU_DEP_1) | instskip(NEXT) | instid1(VALU_DEP_1)
	v_fmac_f32_e32 v11, v10, v15
	v_fma_f32 v6, -v16, v11, v12
	s_delay_alu instid0(VALU_DEP_1) | instskip(NEXT) | instid1(VALU_DEP_4)
	v_div_fmas_f32 v5, v6, v15, v11
	v_div_scale_f32 v10, vcc_lo, v2, v3, v2
	s_delay_alu instid0(VALU_DEP_2) | instskip(SKIP_1) | instid1(VALU_DEP_2)
	v_div_fixup_f32 v4, v5, 0x402df854, v13
	v_div_scale_f32 v5, null, v3, v3, v2
	v_mul_f32_e32 v6, 0x4f800000, v4
	s_delay_alu instid0(VALU_DEP_2) | instskip(SKIP_1) | instid1(TRANS32_DEP_1)
	v_rcp_f32_e32 v7, v5
	v_cmp_gt_f32_e64 s0, 0xf800000, v4
	v_fma_f32 v9, -v5, v7, 1.0
	s_delay_alu instid0(VALU_DEP_1) | instskip(NEXT) | instid1(VALU_DEP_1)
	v_dual_cndmask_b32 v4, v4, v6, s0 :: v_dual_fmac_f32 v7, v9, v7
	v_sqrt_f32_e32 v6, v4
	v_nop
	s_delay_alu instid0(TRANS32_DEP_1) | instskip(NEXT) | instid1(VALU_DEP_1)
	v_dual_add_nc_u32 v9, -1, v6 :: v_dual_add_nc_u32 v11, 1, v6
	v_dual_mul_f32 v12, v10, v7 :: v_dual_fma_f32 v14, -v9, v6, v4
	s_delay_alu instid0(VALU_DEP_1) | instskip(NEXT) | instid1(VALU_DEP_2)
	v_dual_fma_f32 v15, -v11, v6, v4 :: v_dual_fma_f32 v16, -v5, v12, v10
	v_cmp_ge_f32_e64 s1, 0, v14
	s_delay_alu instid0(VALU_DEP_1) | instskip(NEXT) | instid1(VALU_DEP_3)
	v_dual_fmac_f32 v12, v16, v7 :: v_dual_cndmask_b32 v6, v6, v9, s1
	v_cmp_lt_f32_e64 s1, 0, v15
	s_delay_alu instid0(VALU_DEP_1) | instskip(NEXT) | instid1(VALU_DEP_1)
	v_dual_fma_f32 v5, -v5, v12, v10 :: v_dual_cndmask_b32 v6, v6, v11, s1
	v_div_fmas_f32 v5, v5, v7, v12
	v_cmp_class_f32_e64 vcc_lo, v4, 0x260
	s_delay_alu instid0(VALU_DEP_3) | instskip(NEXT) | instid1(VALU_DEP_3)
	v_mul_f32_e32 v9, 0x37800000, v6
	v_div_fixup_f32 v2, v5, v3, v2
	s_delay_alu instid0(VALU_DEP_2) | instskip(SKIP_1) | instid1(VALU_DEP_2)
	v_cndmask_b32_e64 v6, v6, v9, s0
	v_cmp_ngt_f32_e64 s0, 0x43480000, v1
	v_cndmask_b32_e32 v3, v6, v4, vcc_lo
	s_delay_alu instid0(VALU_DEP_1) | instskip(NEXT) | instid1(VALU_DEP_1)
	v_div_scale_f32 v4, null, v2, v2, v3
	v_rcp_f32_e32 v5, v4
	v_nop
	s_delay_alu instid0(TRANS32_DEP_1) | instskip(NEXT) | instid1(VALU_DEP_1)
	v_fma_f32 v6, -v4, v5, 1.0
	v_fmac_f32_e32 v5, v6, v5
	v_div_scale_f32 v6, vcc_lo, v3, v2, v3
	s_delay_alu instid0(VALU_DEP_1) | instskip(NEXT) | instid1(VALU_DEP_1)
	v_mul_f32_e32 v7, v6, v5
	v_fma_f32 v9, -v4, v7, v6
	s_delay_alu instid0(VALU_DEP_1) | instskip(NEXT) | instid1(VALU_DEP_1)
	v_fmac_f32_e32 v7, v9, v5
	v_fma_f32 v4, -v4, v7, v6
	s_delay_alu instid0(VALU_DEP_1) | instskip(SKIP_1) | instid1(VALU_DEP_2)
	v_div_fmas_f32 v4, v4, v5, v7
	v_cmp_ngt_f32_e32 vcc_lo, 0x43480000, v0
	v_div_fixup_f32 v4, v4, v2, v3
	s_or_b32 s0, vcc_lo, s0
                                        ; implicit-def: $vgpr2
	s_delay_alu instid0(SALU_CYCLE_1) | instskip(NEXT) | instid1(SALU_CYCLE_1)
	s_and_saveexec_b32 s1, s0
	s_xor_b32 s1, exec_lo, s1
	s_cbranch_execz .LBB14_9
; %bb.8:
	v_sub_f32_e32 v2, v1, v0
	v_cvt_f64_f32_e32 v[10:11], v13
	s_mov_b32 s0, 0x3e9b6dac
	s_mov_b64 s[4:5], 0x3e5ade156a5dcb37
	s_delay_alu instid0(VALU_DEP_2) | instskip(NEXT) | instid1(VALU_DEP_1)
	v_add_f32_e32 v2, 0xc0c0ca2e, v2
	v_add_f32_e32 v2, 0.5, v2
	s_delay_alu instid0(VALU_DEP_1) | instskip(SKIP_1) | instid1(VALU_DEP_2)
	v_div_scale_f32 v3, null, v13, v13, v2
	v_div_scale_f32 v7, vcc_lo, v2, v13, v2
	v_rcp_f32_e32 v5, v3
	v_nop
	s_delay_alu instid0(TRANS32_DEP_1) | instskip(NEXT) | instid1(VALU_DEP_1)
	v_fma_f32 v6, -v3, v5, 1.0
	v_fmac_f32_e32 v5, v6, v5
	s_delay_alu instid0(VALU_DEP_1) | instskip(NEXT) | instid1(VALU_DEP_1)
	v_mul_f32_e32 v6, v7, v5
	v_fma_f32 v8, -v3, v6, v7
	s_delay_alu instid0(VALU_DEP_1) | instskip(NEXT) | instid1(VALU_DEP_1)
	v_fmac_f32_e32 v6, v8, v5
	v_fma_f32 v3, -v3, v6, v7
	s_delay_alu instid0(VALU_DEP_1) | instskip(NEXT) | instid1(VALU_DEP_1)
	v_div_fmas_f32 v3, v3, v5, v6
	v_div_fixup_f32 v2, v3, v13, v2
	s_delay_alu instid0(VALU_DEP_1) | instskip(NEXT) | instid1(VALU_DEP_1)
	v_add_f32_e32 v7, 1.0, v2
	v_cvt_f64_f32_e32 v[8:9], v7
	v_add_f32_e32 v3, -1.0, v7
	s_delay_alu instid0(VALU_DEP_2) | instskip(SKIP_2) | instid1(VALU_DEP_1)
	v_frexp_exp_i32_f64_e32 v5, v[8:9]
	v_cvt_f64_f32_e32 v[8:9], v1
	v_frexp_mant_f32_e32 v1, v7
	v_cmp_gt_f32_e32 vcc_lo, 0x3f2aaaab, v1
	s_delay_alu instid0(VALU_DEP_4) | instskip(SKIP_2) | instid1(VALU_DEP_3)
	v_subrev_co_ci_u32_e64 v1, null, 0, v5, vcc_lo
	v_mov_b32_e32 v6, v3
	v_mul_f64_e32 v[8:9], 0xc0161945c0000000, v[8:9]
	v_sub_nc_u32_e32 v5, 0, v1
	s_delay_alu instid0(VALU_DEP_3) | instskip(NEXT) | instid1(VALU_DEP_2)
	v_pk_add_f32 v[12:13], v[2:3], v[6:7] neg_lo:[0,1] neg_hi:[0,1]
	v_ldexp_f32 v3, v7, v5
	s_delay_alu instid0(VALU_DEP_1) | instskip(NEXT) | instid1(VALU_DEP_1)
	v_dual_add_f32 v6, 1.0, v13 :: v_dual_add_f32 v14, 1.0, v3
	v_dual_add_f32 v17, -1.0, v3 :: v_dual_add_f32 v6, v12, v6
	s_delay_alu instid0(VALU_DEP_2) | instskip(NEXT) | instid1(VALU_DEP_2)
	v_add_f32_e32 v7, -1.0, v14
	v_ldexp_f32 v5, v6, v5
	s_delay_alu instid0(VALU_DEP_2) | instskip(NEXT) | instid1(VALU_DEP_1)
	v_dual_add_f32 v6, 1.0, v17 :: v_dual_sub_f32 v7, v3, v7
	v_dual_sub_f32 v3, v3, v6 :: v_dual_add_f32 v6, v5, v7
	s_delay_alu instid0(VALU_DEP_1) | instskip(SKIP_1) | instid1(VALU_DEP_2)
	v_dual_add_f32 v3, v5, v3 :: v_dual_add_f32 v5, v14, v6
	v_div_scale_f64 v[12:13], null, v[10:11], v[10:11], v[8:9]
	v_add_f32_e32 v7, v17, v3
	s_delay_alu instid0(VALU_DEP_3) | instskip(SKIP_1) | instid1(TRANS32_DEP_1)
	v_rcp_f32_e32 v22, v5
	v_nop
	v_mul_f32_e32 v23, v7, v22
	s_delay_alu instid0(VALU_DEP_1) | instskip(NEXT) | instid1(VALU_DEP_1)
	v_dual_sub_f32 v15, v5, v14 :: v_dual_mul_f32 v14, v5, v23
	v_dual_fma_f32 v16, v23, v5, -v14 :: v_dual_sub_f32 v24, v6, v15
	v_sub_f32_e32 v20, v7, v17
	s_delay_alu instid0(VALU_DEP_2) | instskip(NEXT) | instid1(VALU_DEP_2)
	v_fmac_f32_e32 v16, v23, v24
	v_sub_f32_e32 v3, v3, v20
	s_delay_alu instid0(VALU_DEP_2) | instskip(SKIP_1) | instid1(VALU_DEP_1)
	v_add_f32_e32 v6, v14, v16
	v_rcp_f64_e32 v[18:19], v[12:13]
	v_dual_sub_f32 v15, v7, v6 :: v_dual_mov_b32 v17, v6
	s_delay_alu instid0(VALU_DEP_1) | instskip(NEXT) | instid1(VALU_DEP_1)
	v_pk_add_f32 v[6:7], v[6:7], v[14:15] neg_lo:[0,1] neg_hi:[0,1]
	v_pk_add_f32 v[6:7], v[6:7], v[16:17] neg_lo:[0,1] neg_hi:[0,1]
	s_delay_alu instid0(VALU_DEP_1) | instskip(NEXT) | instid1(VALU_DEP_1)
	v_add_f32_e32 v3, v3, v7
	v_add_f32_e32 v3, v6, v3
	s_delay_alu instid0(VALU_DEP_1) | instskip(NEXT) | instid1(VALU_DEP_1)
	v_add_f32_e32 v7, v15, v3
	v_mul_f32_e32 v25, v22, v7
	s_delay_alu instid0(TRANS32_DEP_1) | instskip(NEXT) | instid1(VALU_DEP_2)
	v_fma_f64 v[20:21], -v[12:13], v[18:19], 1.0
	v_mul_f32_e32 v16, v5, v25
	s_delay_alu instid0(VALU_DEP_1) | instskip(NEXT) | instid1(VALU_DEP_1)
	v_fma_f32 v14, v25, v5, -v16
	v_dual_fmac_f32 v14, v25, v24 :: v_dual_sub_f32 v5, v15, v7
	s_delay_alu instid0(VALU_DEP_1) | instskip(NEXT) | instid1(VALU_DEP_1)
	v_dual_add_f32 v6, v16, v14 :: v_dual_add_f32 v3, v3, v5
	v_dual_sub_f32 v17, v7, v6 :: v_dual_mov_b32 v15, v6
	s_delay_alu instid0(VALU_DEP_1) | instskip(SKIP_1) | instid1(VALU_DEP_2)
	v_pk_add_f32 v[6:7], v[6:7], v[16:17] neg_lo:[0,1] neg_hi:[0,1]
	v_cvt_f32_i32_e32 v16, v1
	v_pk_add_f32 v[6:7], v[6:7], v[14:15] neg_lo:[0,1] neg_hi:[0,1]
	v_fmac_f64_e32 v[18:19], v[18:19], v[20:21]
	s_delay_alu instid0(VALU_DEP_2) | instskip(NEXT) | instid1(VALU_DEP_1)
	v_dual_mov_b32 v14, 0x3f317218 :: v_dual_add_f32 v3, v3, v7
	v_dual_add_f32 v5, v23, v25 :: v_dual_add_f32 v3, v6, v3
	s_delay_alu instid0(VALU_DEP_1) | instskip(NEXT) | instid1(VALU_DEP_2)
	v_sub_f32_e32 v6, v5, v23
	v_add_f32_e32 v3, v17, v3
	s_delay_alu instid0(VALU_DEP_1) | instskip(SKIP_1) | instid1(VALU_DEP_2)
	v_dual_sub_f32 v6, v25, v6 :: v_dual_mul_f32 v3, v22, v3
	v_div_scale_f64 v[22:23], vcc_lo, v[8:9], v[10:11], v[8:9]
	v_add_f32_e32 v3, v6, v3
	s_delay_alu instid0(VALU_DEP_1) | instskip(SKIP_1) | instid1(VALU_DEP_2)
	v_add_f32_e32 v20, v5, v3
	v_fma_f64 v[6:7], -v[12:13], v[18:19], 1.0
	v_mul_f32_e32 v15, v20, v20
	s_delay_alu instid0(VALU_DEP_1) | instskip(SKIP_1) | instid1(VALU_DEP_2)
	v_fmaak_f32 v21, s0, v15, 0x3ecc95a3
	v_mul_f32_e32 v17, v20, v15
	v_fmaak_f32 v15, v15, v21, 0x3f2aaada
	s_delay_alu instid0(VALU_DEP_1) | instskip(SKIP_1) | instid1(VALU_DEP_2)
	v_pk_mul_f32 v[14:15], v[16:17], v[14:15]
	v_ldexp_f32 v17, v20, 1
	v_fma_f32 v1, 0x3f317218, v16, -v14
	s_delay_alu instid0(VALU_DEP_1) | instskip(SKIP_2) | instid1(VALU_DEP_3)
	v_fmamk_f32 v16, v16, 0xb102e308, v1
	v_sub_f32_e32 v1, v20, v5
	v_fmac_f64_e32 v[18:19], v[18:19], v[6:7]
	v_pk_add_f32 v[20:21], v[14:15], v[16:17]
	s_delay_alu instid0(VALU_DEP_3) | instskip(NEXT) | instid1(VALU_DEP_2)
	v_dual_sub_f32 v1, v3, v1 :: v_dual_mov_b32 v6, v14
	v_dual_sub_f32 v3, v21, v17 :: v_dual_mov_b32 v17, v20
	s_delay_alu instid0(VALU_DEP_2) | instskip(NEXT) | instid1(VALU_DEP_2)
	v_ldexp_f32 v1, v1, 1
	v_dual_mov_b32 v32, v21 :: v_dual_sub_f32 v3, v15, v3
	v_pk_add_f32 v[14:15], v[20:21], v[14:15] neg_lo:[0,1] neg_hi:[0,1]
	s_delay_alu instid0(VALU_DEP_2) | instskip(NEXT) | instid1(VALU_DEP_1)
	v_add_f32_e32 v7, v1, v3
	v_pk_add_f32 v[24:25], v[20:21], v[6:7]
	s_delay_alu instid0(VALU_DEP_1) | instskip(NEXT) | instid1(VALU_DEP_1)
	v_mov_b32_e32 v15, v25
	v_pk_add_f32 v[26:27], v[16:17], v[14:15]
	v_dual_mul_f64 v[30:31], v[22:23], v[18:19] :: v_dual_mov_b32 v26, v25
	v_pk_add_f32 v[14:15], v[16:17], v[14:15] neg_lo:[0,1] neg_hi:[0,1]
	s_delay_alu instid0(VALU_DEP_3) | instskip(NEXT) | instid1(VALU_DEP_1)
	v_dual_mov_b32 v6, v27 :: v_dual_mov_b32 v15, v27
	v_pk_add_f32 v[28:29], v[6:7], v[20:21] neg_lo:[0,1] neg_hi:[0,1]
	s_delay_alu instid0(VALU_DEP_1) | instskip(SKIP_1) | instid1(VALU_DEP_2)
	v_dual_mov_b32 v21, v20 :: v_dual_mov_b32 v33, v28
	v_dual_mov_b32 v20, v7 :: v_dual_mov_b32 v1, v28
	v_pk_add_f32 v[16:17], v[26:27], v[32:33] neg_lo:[0,1] neg_hi:[0,1]
	s_delay_alu instid0(VALU_DEP_2) | instskip(SKIP_1) | instid1(VALU_DEP_3)
	v_pk_add_f32 v[24:25], v[24:25], v[0:1] neg_lo:[0,1] neg_hi:[0,1]
	v_mov_b32_e32 v24, v14
	v_pk_add_f32 v[16:17], v[20:21], v[16:17] neg_lo:[0,1] neg_hi:[0,1]
	s_delay_alu instid0(VALU_DEP_1) | instskip(SKIP_1) | instid1(VALU_DEP_2)
	v_pk_add_f32 v[20:21], v[24:25], v[16:17]
	v_fma_f64 v[12:13], -v[12:13], v[30:31], v[22:23]
	v_mov_b32_e32 v24, v21
	s_delay_alu instid0(VALU_DEP_1) | instskip(NEXT) | instid1(VALU_DEP_1)
	v_pk_add_f32 v[24:25], v[20:21], v[24:25]
	v_pk_add_f32 v[6:7], v[6:7], v[24:25]
	s_delay_alu instid0(VALU_DEP_1) | instskip(NEXT) | instid1(VALU_DEP_1)
	v_dual_mov_b32 v17, v24 :: v_dual_mov_b32 v21, v6
	v_pk_add_f32 v[22:23], v[20:21], v[14:15] neg_lo:[0,1] neg_hi:[0,1]
	s_delay_alu instid0(VALU_DEP_1) | instskip(NEXT) | instid1(VALU_DEP_2)
	v_sub_f32_e32 v1, v20, v22
	v_pk_add_f32 v[16:17], v[16:17], v[22:23] neg_lo:[0,1] neg_hi:[0,1]
	s_delay_alu instid0(VALU_DEP_2) | instskip(NEXT) | instid1(VALU_DEP_1)
	v_sub_f32_e32 v1, v14, v1
	v_add_f32_e32 v1, v16, v1
	s_delay_alu instid0(VALU_DEP_1) | instskip(NEXT) | instid1(VALU_DEP_1)
	v_add_f32_e32 v1, v1, v17
	v_add_f32_e32 v1, v6, v1
	v_div_fmas_f64 v[6:7], v[12:13], v[18:19], v[30:31]
	v_cmp_neq_f32_e32 vcc_lo, 0x7f800000, v2
                                        ; implicit-def: $vgpr13
	s_delay_alu instid0(VALU_DEP_3) | instskip(SKIP_1) | instid1(VALU_DEP_2)
	v_cndmask_b32_e32 v1, 0x7f800000, v1, vcc_lo
	v_cmp_ngt_f32_e32 vcc_lo, -1.0, v2
	v_cndmask_b32_e32 v1, 0x7fc00000, v1, vcc_lo
	v_cmp_neq_f32_e32 vcc_lo, -1.0, v2
	s_delay_alu instid0(VALU_DEP_2) | instskip(SKIP_1) | instid1(VALU_DEP_2)
	v_cndmask_b32_e32 v1, 0xff800000, v1, vcc_lo
	v_cmp_gt_f32_e64 vcc_lo, 0x33800000, |v2|
	v_cndmask_b32_e32 v1, v1, v2, vcc_lo
	s_delay_alu instid0(VALU_DEP_1) | instskip(NEXT) | instid1(VALU_DEP_1)
	v_sub_f32_e32 v1, v1, v2
	v_mul_f32_e32 v2, v0, v1
	v_div_fixup_f64 v[0:1], v[6:7], v[10:11], v[8:9]
	s_delay_alu instid0(VALU_DEP_2) | instskip(NEXT) | instid1(VALU_DEP_1)
	v_cvt_f64_f32_e32 v[2:3], v2
	v_add_f64_e32 v[0:1], v[2:3], v[0:1]
	s_delay_alu instid0(VALU_DEP_1) | instskip(SKIP_2) | instid1(VALU_DEP_3)
	v_mul_f64_e32 v[2:3], 0x3ff71547652b82fe, v[0:1]
	v_cmp_nlt_f64_e32 vcc_lo, 0x40900000, v[0:1]
	v_cmp_ngt_f64_e64 s0, 0xc090cc00, v[0:1]
	v_rndne_f64_e32 v[2:3], v[2:3]
	s_delay_alu instid0(VALU_DEP_1) | instskip(SKIP_2) | instid1(VALU_DEP_3)
	v_fmamk_f64 v[6:7], v[2:3], 0xbfe62e42fefa39ef, v[0:1]
	v_cvt_i32_f64_e32 v5, v[2:3]
	v_cvt_f64_f32_e32 v[0:1], v4
                                        ; implicit-def: $vgpr4
	v_fmamk_f64 v[6:7], v[2:3], 0xbc7abc9e3b39803f, v[6:7]
	s_delay_alu instid0(VALU_DEP_1) | instskip(NEXT) | instid1(VALU_DEP_1)
	v_fmaak_f64 v[8:9], s[4:5], v[6:7], 0x3e928af3fca7ab0c
	v_fmaak_f64 v[8:9], v[6:7], v[8:9], 0x3ec71dee623fde64
	s_delay_alu instid0(VALU_DEP_1) | instskip(NEXT) | instid1(VALU_DEP_1)
	v_fmaak_f64 v[8:9], v[6:7], v[8:9], 0x3efa01997c89e6b0
	v_fmaak_f64 v[8:9], v[6:7], v[8:9], 0x3f2a01a014761f6e
	;; [unrolled: 3-line block ×4, first 2 shown]
	s_delay_alu instid0(VALU_DEP_1) | instskip(NEXT) | instid1(VALU_DEP_1)
	v_fmaak_f64 v[8:9], v[6:7], v[8:9], 0x3fe000000000000b
	v_fma_f64 v[8:9], v[6:7], v[8:9], 1.0
	s_delay_alu instid0(VALU_DEP_1) | instskip(NEXT) | instid1(VALU_DEP_1)
	v_fma_f64 v[2:3], v[6:7], v[8:9], 1.0
                                        ; implicit-def: $vgpr8
	v_ldexp_f64 v[2:3], v[2:3], v5
	s_delay_alu instid0(VALU_DEP_1)
	v_cndmask_b32_e32 v3, 0x7ff00000, v3, vcc_lo
	s_and_b32 vcc_lo, s0, vcc_lo
	s_delay_alu instid0(VALU_DEP_1) | instid1(SALU_CYCLE_1)
	v_dual_cndmask_b32 v2, 0, v2, vcc_lo :: v_dual_cndmask_b32 v3, 0, v3, s0
	s_delay_alu instid0(VALU_DEP_1) | instskip(NEXT) | instid1(VALU_DEP_1)
	v_mul_f64_e32 v[0:1], v[2:3], v[0:1]
	v_cvt_f32_f64_e32 v2, v[0:1]
                                        ; implicit-def: $vgpr1
                                        ; implicit-def: $vgpr0
.LBB14_9:
	s_and_not1_saveexec_b32 s4, s1
	s_cbranch_execz .LBB14_11
; %bb.10:
	v_div_scale_f32 v2, null, v13, v13, v1
	v_div_scale_f32 v6, vcc_lo, v1, v13, v1
	s_mov_b32 s0, 0x3e76c4e1
	v_rcp_f32_e32 v3, v2
	v_nop
	s_delay_alu instid0(TRANS32_DEP_1) | instskip(NEXT) | instid1(VALU_DEP_1)
	v_fma_f32 v5, -v2, v3, 1.0
	v_fmac_f32_e32 v3, v5, v3
	s_delay_alu instid0(VALU_DEP_1) | instskip(NEXT) | instid1(VALU_DEP_1)
	v_mul_f32_e32 v5, v6, v3
	v_fma_f32 v7, -v2, v5, v6
	s_delay_alu instid0(VALU_DEP_1) | instskip(NEXT) | instid1(VALU_DEP_1)
	v_fmac_f32_e32 v5, v7, v3
	v_fma_f32 v2, -v2, v5, v6
	s_delay_alu instid0(VALU_DEP_1) | instskip(NEXT) | instid1(VALU_DEP_1)
	v_div_fmas_f32 v2, v2, v3, v5
	v_div_fixup_f32 v1, v2, v13, v1
	s_delay_alu instid0(VALU_DEP_1) | instskip(SKIP_1) | instid1(VALU_DEP_1)
	v_cmp_neq_f32_e32 vcc_lo, 1.0, v1
	v_cndmask_b32_e32 v9, 1.0, v0, vcc_lo
	v_cmp_neq_f32_e32 vcc_lo, 0, v9
	v_cmp_neq_f32_e64 s5, v9, |v9|
	v_cndmask_b32_e32 v20, 1.0, v1, vcc_lo
	s_delay_alu instid0(VALU_DEP_1) | instskip(SKIP_2) | instid1(VALU_DEP_3)
	v_frexp_mant_f32_e64 v0, |v20|
	v_cmp_lt_f32_e64 s6, |v20|, 1.0
	v_cmp_eq_f32_e64 s2, 0, v20
	v_cmp_gt_f32_e32 vcc_lo, 0x3f2aaaab, v0
	s_xor_b32 s5, s5, s6
	v_cndmask_b32_e64 v1, 1.0, 2.0, vcc_lo
	s_delay_alu instid0(VALU_DEP_1) | instskip(NEXT) | instid1(VALU_DEP_1)
	v_mul_f32_e32 v0, v0, v1
	v_add_f32_e32 v3, 1.0, v0
	s_delay_alu instid0(VALU_DEP_1)
	v_rcp_f32_e32 v5, v3
	v_dual_add_f32 v6, -1.0, v3 :: v_dual_add_f32 v1, -1.0, v0
	s_delay_alu instid0(TRANS32_DEP_1) | instid1(VALU_DEP_1)
	v_dual_sub_f32 v0, v0, v6 :: v_dual_mul_f32 v10, v1, v5
	s_delay_alu instid0(VALU_DEP_1) | instskip(NEXT) | instid1(VALU_DEP_1)
	v_mul_f32_e32 v2, v3, v10
	v_fma_f32 v6, v10, v3, -v2
	s_delay_alu instid0(VALU_DEP_1) | instskip(NEXT) | instid1(VALU_DEP_1)
	v_fmac_f32_e32 v6, v10, v0
	v_add_f32_e32 v0, v2, v6
	s_delay_alu instid0(VALU_DEP_1) | instskip(NEXT) | instid1(VALU_DEP_1)
	v_dual_sub_f32 v3, v1, v0 :: v_dual_mov_b32 v7, v0
	v_pk_add_f32 v[0:1], v[0:1], v[2:3] neg_lo:[0,1] neg_hi:[0,1]
	s_delay_alu instid0(VALU_DEP_1) | instskip(NEXT) | instid1(VALU_DEP_1)
	v_pk_add_f32 v[0:1], v[0:1], v[6:7] neg_lo:[0,1] neg_hi:[0,1]
	v_add_f32_e32 v0, v0, v1
	s_delay_alu instid0(VALU_DEP_1) | instskip(NEXT) | instid1(VALU_DEP_1)
	v_add_f32_e32 v0, v3, v0
	v_mul_f32_e32 v1, v5, v0
	s_delay_alu instid0(VALU_DEP_1) | instskip(NEXT) | instid1(VALU_DEP_1)
	v_add_f32_e32 v0, v10, v1
	v_sub_f32_e32 v2, v0, v10
	s_delay_alu instid0(VALU_DEP_1) | instskip(NEXT) | instid1(VALU_DEP_1)
	v_sub_f32_e32 v5, v1, v2
	v_dual_add_f32 v2, v5, v5 :: v_dual_mul_f32 v3, v0, v0
	s_delay_alu instid0(VALU_DEP_1) | instskip(NEXT) | instid1(VALU_DEP_1)
	v_fma_f32 v1, v0, v0, -v3
	v_fmac_f32_e32 v1, v0, v2
	s_delay_alu instid0(VALU_DEP_1) | instskip(NEXT) | instid1(VALU_DEP_1)
	v_add_f32_e32 v2, v3, v1
	v_dual_fmaak_f32 v6, s0, v2, 0x3e91f4c4 :: v_dual_sub_f32 v3, v2, v3
	s_delay_alu instid0(VALU_DEP_1) | instskip(SKIP_1) | instid1(VALU_DEP_2)
	v_fmaak_f32 v10, v2, v6, 0x3ecccdef
	v_cvt_f64_f32_e64 v[6:7], |v20|
	v_dual_sub_f32 v14, v1, v3 :: v_dual_mul_f32 v11, v2, v10
	s_delay_alu instid0(VALU_DEP_1) | instskip(NEXT) | instid1(VALU_DEP_1)
	v_fma_f32 v1, v2, v10, -v11
	v_fmac_f32_e32 v1, v14, v10
	s_delay_alu instid0(VALU_DEP_1) | instskip(NEXT) | instid1(VALU_DEP_1)
	v_add_f32_e32 v3, v11, v1
	v_sub_f32_e32 v10, v3, v11
	v_add_f32_e32 v11, 0x3f2aaaaa, v3
	s_delay_alu instid0(VALU_DEP_1) | instskip(SKIP_1) | instid1(VALU_DEP_2)
	v_dual_sub_f32 v1, v1, v10 :: v_dual_add_f32 v10, 0xbf2aaaaa, v11
	v_frexp_exp_i32_f64_e32 v15, v[6:7]
	v_add_f32_e32 v1, 0x31739010, v1
	s_delay_alu instid0(VALU_DEP_3) | instskip(NEXT) | instid1(VALU_DEP_1)
	v_sub_f32_e32 v3, v3, v10
	v_pk_mul_f32 v[6:7], v[0:1], v[2:3]
	s_delay_alu instid0(VALU_DEP_1) | instskip(NEXT) | instid1(VALU_DEP_1)
	v_fma_f32 v10, v2, v0, -v6
	v_fmac_f32_e32 v10, v2, v5
	s_delay_alu instid0(VALU_DEP_1) | instskip(SKIP_1) | instid1(VALU_DEP_1)
	v_fmac_f32_e32 v10, v14, v0
	v_pk_add_f32 v[12:13], v[0:1], v[2:3]
	v_mov_b32_e32 v7, v13
	v_subrev_co_ci_u32_e64 v1, null, 0, v15, vcc_lo
	s_delay_alu instid0(VALU_DEP_2) | instskip(NEXT) | instid1(VALU_DEP_2)
	v_pk_add_f32 v[2:3], v[6:7], v[10:11]
	v_cvt_f32_i32_e32 v1, v1
	s_delay_alu instid0(VALU_DEP_2) | instskip(NEXT) | instid1(VALU_DEP_3)
	v_mov_b32_e32 v12, v3
	v_dual_sub_f32 v7, v11, v3 :: v_dual_sub_f32 v11, v2, v6
	s_delay_alu instid0(VALU_DEP_2) | instskip(NEXT) | instid1(VALU_DEP_4)
	v_pk_mul_f32 v[14:15], v[2:3], v[12:13]
	v_mul_f32_e32 v12, 0x3f317218, v1
	s_delay_alu instid0(VALU_DEP_3) | instskip(NEXT) | instid1(VALU_DEP_3)
	v_sub_f32_e32 v10, v10, v11
	v_fma_f32 v6, v2, v3, -v14
	v_add_f32_e32 v7, v13, v7
	s_delay_alu instid0(VALU_DEP_1) | instskip(SKIP_1) | instid1(VALU_DEP_2)
	v_fmac_f32_e32 v6, v2, v7
	v_fma_f32 v2, 0x3f317218, v1, -v12
	v_fmac_f32_e32 v6, v10, v3
	s_delay_alu instid0(VALU_DEP_2) | instskip(SKIP_1) | instid1(VALU_DEP_1)
	v_fmamk_f32 v2, v1, 0xb102e308, v2
	v_ldexp_f32 v3, v0, 1
	v_dual_add_f32 v13, v14, v6 :: v_dual_mov_b32 v15, v3
	s_delay_alu instid0(VALU_DEP_1) | instskip(SKIP_2) | instid1(VALU_DEP_3)
	v_pk_add_f32 v[0:1], v[12:13], v[2:3]
	v_mov_b32_e32 v10, v13
	v_ldexp_f32 v3, v5, 1
	v_dual_mov_b32 v7, v13 :: v_dual_mov_b32 v11, v1
	s_delay_alu instid0(VALU_DEP_1) | instskip(NEXT) | instid1(VALU_DEP_1)
	v_pk_add_f32 v[10:11], v[10:11], v[14:15] neg_lo:[0,1] neg_hi:[0,1]
	v_pk_add_f32 v[6:7], v[6:7], v[10:11] neg_lo:[0,1] neg_hi:[0,1]
	s_delay_alu instid0(VALU_DEP_1) | instskip(NEXT) | instid1(VALU_DEP_1)
	v_add_f32_e32 v3, v3, v6
	v_dual_add_f32 v13, v3, v7 :: v_dual_mov_b32 v3, v0
	s_delay_alu instid0(VALU_DEP_1) | instskip(SKIP_1) | instid1(VALU_DEP_2)
	v_pk_add_f32 v[6:7], v[0:1], v[12:13]
	v_pk_add_f32 v[10:11], v[0:1], v[12:13] neg_lo:[0,1] neg_hi:[0,1]
	v_dual_mov_b32 v18, v1 :: v_dual_mov_b32 v11, v7
	s_delay_alu instid0(VALU_DEP_1) | instskip(NEXT) | instid1(VALU_DEP_1)
	v_pk_add_f32 v[14:15], v[2:3], v[10:11]
	v_dual_mov_b32 v14, v7 :: v_dual_mov_b32 v12, v15
	v_pk_add_f32 v[2:3], v[2:3], v[10:11] neg_lo:[0,1] neg_hi:[0,1]
	s_delay_alu instid0(VALU_DEP_2) | instskip(SKIP_1) | instid1(VALU_DEP_2)
	v_pk_add_f32 v[16:17], v[12:13], v[0:1] neg_lo:[0,1] neg_hi:[0,1]
	v_dual_mov_b32 v1, v0 :: v_dual_mov_b32 v0, v13
	v_dual_mov_b32 v5, v16 :: v_dual_mov_b32 v19, v16
	s_delay_alu instid0(VALU_DEP_1) | instskip(NEXT) | instid1(VALU_DEP_2)
	v_pk_add_f32 v[6:7], v[6:7], v[4:5] neg_lo:[0,1] neg_hi:[0,1]
	v_pk_add_f32 v[10:11], v[14:15], v[18:19] neg_lo:[0,1] neg_hi:[0,1]
	v_mov_b32_e32 v6, v2
	s_delay_alu instid0(VALU_DEP_2) | instskip(NEXT) | instid1(VALU_DEP_1)
	v_pk_add_f32 v[0:1], v[0:1], v[10:11] neg_lo:[0,1] neg_hi:[0,1]
	v_pk_add_f32 v[6:7], v[6:7], v[0:1]
	s_delay_alu instid0(VALU_DEP_1) | instskip(NEXT) | instid1(VALU_DEP_1)
	v_mov_b32_e32 v10, v7
	v_pk_add_f32 v[10:11], v[6:7], v[10:11]
	s_delay_alu instid0(VALU_DEP_1) | instskip(NEXT) | instid1(VALU_DEP_1)
	v_pk_add_f32 v[12:13], v[12:13], v[10:11]
	v_dual_mov_b32 v3, v15 :: v_dual_mov_b32 v7, v12
	s_delay_alu instid0(VALU_DEP_1) | instskip(NEXT) | instid1(VALU_DEP_1)
	v_pk_add_f32 v[14:15], v[6:7], v[2:3] neg_lo:[0,1] neg_hi:[0,1]
	v_sub_f32_e32 v3, v6, v14
	s_delay_alu instid0(VALU_DEP_1) | instskip(SKIP_1) | instid1(VALU_DEP_1)
	v_sub_f32_e32 v2, v2, v3
	v_mov_b32_e32 v1, v10
	v_pk_add_f32 v[0:1], v[0:1], v[14:15] neg_lo:[0,1] neg_hi:[0,1]
	s_delay_alu instid0(VALU_DEP_1) | instskip(NEXT) | instid1(VALU_DEP_1)
	v_add_f32_e32 v0, v0, v2
	v_add_f32_e32 v0, v0, v1
	s_delay_alu instid0(VALU_DEP_1) | instskip(NEXT) | instid1(VALU_DEP_1)
	v_add_f32_e32 v1, v12, v0
	v_mul_f32_e32 v3, v9, v1
	v_sub_f32_e32 v2, v1, v12
	s_delay_alu instid0(VALU_DEP_1) | instskip(NEXT) | instid1(VALU_DEP_3)
	v_sub_f32_e32 v0, v0, v2
	v_cmp_class_f32_e64 vcc_lo, v3, 0x204
	v_fma_f32 v1, v9, v1, -v3
	s_delay_alu instid0(VALU_DEP_1) | instskip(NEXT) | instid1(VALU_DEP_1)
	v_fmac_f32_e32 v1, v9, v0
	v_add_f32_e32 v0, v3, v1
	s_delay_alu instid0(VALU_DEP_1) | instskip(NEXT) | instid1(VALU_DEP_1)
	v_dual_cndmask_b32 v2, v0, v3, vcc_lo :: v_dual_sub_f32 v0, v0, v3
	v_cmp_eq_f32_e32 vcc_lo, 0x42b17218, v2
	v_cndmask_b32_e64 v5, 0, 0x37000000, vcc_lo
	v_cmp_neq_f32_e64 vcc_lo, 0x7f800000, |v2|
	s_delay_alu instid0(VALU_DEP_2) | instskip(NEXT) | instid1(VALU_DEP_1)
	v_dual_sub_f32 v6, v2, v5 :: v_dual_sub_f32 v0, v1, v0
	v_mul_f32_e32 v7, 0x3fb8aa3b, v6
	s_delay_alu instid0(VALU_DEP_1) | instskip(SKIP_1) | instid1(VALU_DEP_1)
	v_fma_f32 v10, 0x3fb8aa3b, v6, -v7
	v_rndne_f32_e32 v11, v7
	v_dual_fmac_f32 v10, 0x32a5705f, v6 :: v_dual_sub_f32 v7, v7, v11
	s_delay_alu instid0(VALU_DEP_1) | instskip(NEXT) | instid1(VALU_DEP_1)
	v_dual_add_f32 v7, v7, v10 :: v_dual_mul_f32 v10, 0x3fb8aa3b, v8
	v_exp_f32_e32 v3, v7
	v_nop
	v_cvt_i32_f32_e32 v7, v11
	s_delay_alu instid0(VALU_DEP_3)
	v_rndne_f32_e32 v11, v10
	v_fma_f32 v1, 0x3fb8aa3b, v8, -v10
	s_delay_alu instid0(TRANS32_DEP_1) | instid1(VALU_DEP_3)
	v_ldexp_f32 v3, v3, v7
	v_dual_mul_f32 v7, 0.5, v9 :: v_dual_cndmask_b32 v0, 0, v0
	v_cmp_ngt_f32_e32 vcc_lo, 0xc2ce8ed0, v6
	s_delay_alu instid0(VALU_DEP_4) | instskip(NEXT) | instid1(VALU_DEP_3)
	v_fmac_f32_e32 v1, 0x32a5705f, v8
	v_trunc_f32_e32 v12, v7
	v_cndmask_b32_e32 v2, 0, v3, vcc_lo
	v_trunc_f32_e32 v3, v9
	v_cmp_nlt_f32_e32 vcc_lo, 0x42b17218, v6
	v_add_f32_e32 v0, v5, v0
	v_cvt_i32_f32_e32 v5, v11
	v_cmp_neq_f32_e64 s0, v12, v7
	v_cndmask_b32_e32 v2, 0x7f800000, v2, vcc_lo
	v_cmp_eq_f32_e32 vcc_lo, v3, v9
	v_sub_f32_e32 v3, v10, v11
	s_and_b32 s0, vcc_lo, s0
	s_delay_alu instid0(VALU_DEP_1) | instskip(SKIP_1) | instid1(VALU_DEP_2)
	v_add_f32_e32 v1, v3, v1
	v_cmp_class_f32_e64 s1, v2, 0x204
	v_exp_f32_e32 v1, v1
	v_nop
	s_delay_alu instid0(TRANS32_DEP_1) | instskip(SKIP_1) | instid1(VALU_DEP_1)
	v_ldexp_f32 v1, v1, v5
	v_fma_f32 v0, v2, v0, v2
	v_dual_cndmask_b32 v6, 1.0, v20, s0 :: v_dual_cndmask_b32 v0, v0, v2, s1
	v_cndmask_b32_e64 v2, 0x7f800000, 0, s5
	v_cmp_gt_f32_e64 s1, 0, v9
	s_delay_alu instid0(VALU_DEP_3) | instskip(SKIP_1) | instid1(SALU_CYCLE_1)
	v_bfi_b32 v0, 0x7fffffff, v0, v6
	s_xor_b32 s1, s1, s2
	v_cndmask_b32_e64 v6, 0x7f800000, 0, s1
	s_delay_alu instid0(VALU_DEP_2) | instskip(SKIP_3) | instid1(VALU_DEP_3)
	v_cndmask_b32_e32 v3, 0x7fc00000, v0, vcc_lo
	v_cmp_neq_f32_e64 vcc_lo, |v20|, 1.0
	v_cndmask_b32_e32 v2, 1.0, v2, vcc_lo
	v_cmp_gt_f32_e32 vcc_lo, 0, v20
	v_dual_cndmask_b32 v0, v0, v3, vcc_lo :: v_dual_cndmask_b32 v3, 0, v20, s0
	v_cmp_class_f32_e64 vcc_lo, v9, 0x204
	v_cmp_class_f32_e64 s0, v20, 0x204
	s_delay_alu instid0(VALU_DEP_3) | instskip(SKIP_4) | instid1(VALU_DEP_2)
	v_cndmask_b32_e32 v0, v0, v2, vcc_lo
	v_cmp_ngt_f32_e32 vcc_lo, 0xc2ce8ed0, v8
	v_bfi_b32 v2, 0x7fffffff, v6, v3
	v_cndmask_b32_e32 v1, 0, v1, vcc_lo
	s_or_b32 vcc_lo, s2, s0
	v_cndmask_b32_e32 v0, v0, v2, vcc_lo
	v_cmp_nlt_f32_e32 vcc_lo, 0x42b17218, v8
	s_delay_alu instid0(VALU_DEP_3) | instskip(SKIP_1) | instid1(VALU_DEP_4)
	v_cndmask_b32_e32 v1, 0x7f800000, v1, vcc_lo
	v_cmp_o_f32_e32 vcc_lo, v20, v20
	v_cndmask_b32_e32 v0, 0x7fc00000, v0, vcc_lo
	s_delay_alu instid0(VALU_DEP_1) | instskip(NEXT) | instid1(VALU_DEP_1)
	v_mul_f32_e32 v0, v1, v0
	v_mul_f32_e32 v2, v0, v4
.LBB14_11:
	s_or_b32 exec_lo, exec_lo, s4
                                        ; implicit-def: $vgpr1
                                        ; implicit-def: $vgpr0
	s_and_not1_saveexec_b32 s2, s3
	s_cbranch_execz .LBB14_2
.LBB14_12:
	v_and_b32_e32 v2, 0x7fffffff, v0
	s_mov_b32 s1, exec_lo
                                        ; implicit-def: $vgpr3
	v_cmpx_ngt_f32_e64 0x3c800000, |v0|
	s_xor_b32 s1, exec_lo, s1
	s_cbranch_execz .LBB14_42
; %bb.13:
	s_mov_b32 s3, exec_lo
                                        ; implicit-def: $vgpr3
	v_cmpx_nlt_f32_e64 |v0|, 2.0
	s_xor_b32 s3, exec_lo, s3
	s_cbranch_execz .LBB14_23
; %bb.14:
	v_cmp_ngt_f32_e64 s0, 0x41000000, |v0|
                                        ; implicit-def: $vgpr3
	s_and_saveexec_b32 s4, s0
	s_delay_alu instid0(SALU_CYCLE_1)
	s_xor_b32 s0, exec_lo, s4
	s_cbranch_execz .LBB14_20
; %bb.15:
	v_cmp_ngt_f32_e64 s4, 0x5c800000, |v0|
                                        ; implicit-def: $vgpr3
	s_and_saveexec_b32 s5, s4
	s_delay_alu instid0(SALU_CYCLE_1)
	s_xor_b32 s4, exec_lo, s5
	s_cbranch_execz .LBB14_17
; %bb.16:
	v_cmp_gt_f32_e64 s5, 0x800000, |v0|
	s_delay_alu instid0(VALU_DEP_1) | instskip(NEXT) | instid1(VALU_DEP_1)
	v_cndmask_b32_e64 v3, 0, 32, s5
	v_ldexp_f32 v3, |v0|, v3
	s_delay_alu instid0(VALU_DEP_1) | instskip(SKIP_1) | instid1(TRANS32_DEP_1)
	v_log_f32_e32 v3, v3
	v_nop
	v_mul_f32_e32 v4, 0x3f317217, v3
	v_cmp_gt_f32_e64 vcc_lo, 0x7f800000, |v3|
	s_delay_alu instid0(VALU_DEP_2) | instskip(NEXT) | instid1(VALU_DEP_1)
	v_fma_f32 v5, 0x3f317217, v3, -v4
	v_fmamk_f32 v5, v3, 0x3377d1cf, v5
	s_delay_alu instid0(VALU_DEP_1) | instskip(NEXT) | instid1(VALU_DEP_1)
	v_add_f32_e32 v4, v4, v5
	v_cndmask_b32_e32 v3, v3, v4, vcc_lo
	v_cndmask_b32_e64 v4, 0, 0x41b17218, s5
	s_delay_alu instid0(VALU_DEP_1) | instskip(NEXT) | instid1(VALU_DEP_1)
	v_sub_f32_e32 v3, v3, v4
	v_fma_f32 v3, |v0|, v3, -|v0|
.LBB14_17:
	s_and_not1_saveexec_b32 s4, s4
	s_cbranch_execz .LBB14_19
; %bb.18:
	v_cmp_gt_f32_e64 s5, 0x800000, |v0|
	v_rcp_f32_e64 v4, |v0|
	s_mov_b32 s6, 0xbad5c4e8
	v_cndmask_b32_e64 v3, 0, 32, s5
	s_delay_alu instid0(VALU_DEP_1) | instskip(NEXT) | instid1(VALU_DEP_1)
	v_ldexp_f32 v3, |v0|, v3
	v_log_f32_e32 v3, v3
	v_nop
	s_delay_alu instid0(TRANS32_DEP_1) | instskip(SKIP_1) | instid1(VALU_DEP_2)
	v_dual_mul_f32 v5, v4, v4 :: v_dual_mul_f32 v6, 0x3f317217, v3
	v_cmp_gt_f32_e64 vcc_lo, 0x7f800000, |v3|
	v_fma_f32 v8, 0x3f317217, v3, -v6
	s_delay_alu instid0(VALU_DEP_1) | instskip(NEXT) | instid1(VALU_DEP_1)
	v_fmamk_f32 v8, v3, 0x3377d1cf, v8
	v_dual_fmaak_f32 v7, s6, v5, 0x3a5b3dd2 :: v_dual_add_f32 v6, v6, v8
	s_delay_alu instid0(VALU_DEP_1) | instskip(SKIP_1) | instid1(VALU_DEP_1)
	v_cndmask_b32_e32 v3, v3, v6, vcc_lo
	v_cndmask_b32_e64 v6, 0, 0x41b17218, s5
	v_dual_fmaak_f32 v7, v5, v7, 0xba1c065c :: v_dual_sub_f32 v6, v3, v6
	s_delay_alu instid0(VALU_DEP_1) | instskip(NEXT) | instid1(VALU_DEP_1)
	v_fmaak_f32 v7, v5, v7, 0x3a500cfd
	v_fmaak_f32 v7, v5, v7, 0xbb360b61
	s_delay_alu instid0(VALU_DEP_1) | instskip(NEXT) | instid1(VALU_DEP_1)
	v_fmaak_f32 v5, v5, v7, 0x3daaaaab
	v_fmaak_f32 v3, v4, v5, 0x3ed67f1d
	v_add_f32_e64 v4, |v0|, -0.5
	v_add_f32_e32 v5, -1.0, v6
	s_delay_alu instid0(VALU_DEP_1)
	v_fmac_f32_e32 v3, v4, v5
.LBB14_19:
	s_or_b32 exec_lo, exec_lo, s4
.LBB14_20:
	s_and_not1_saveexec_b32 s4, s0
	s_cbranch_execz .LBB14_22
; %bb.21:
	v_cvt_i32_f32_e32 v3, v2
	v_mov_b64_e32 v[4:5], 0x4040000040000000
	s_mov_b32 s5, 0x3805ff67
	s_mov_b32 s0, 0x36f5d7bd
	s_delay_alu instid0(VALU_DEP_2) | instskip(SKIP_1) | instid1(VALU_DEP_2)
	v_cvt_f32_i32_e32 v6, v3
	v_cmp_lt_i32_e32 vcc_lo, 3, v3
	v_sub_f32_e64 v6, |v0|, v6
	s_delay_alu instid0(VALU_DEP_1) | instskip(NEXT) | instid1(VALU_DEP_1)
	v_pk_add_f32 v[4:5], v[6:7], v[4:5] op_sel_hi:[0,1]
	v_dual_add_f32 v7, 4.0, v6 :: v_dual_cndmask_b32 v5, 1.0, v5, vcc_lo
	v_cmp_lt_i32_e32 vcc_lo, 2, v3
	s_delay_alu instid0(VALU_DEP_3) | instskip(SKIP_1) | instid1(VALU_DEP_2)
	v_cndmask_b32_e32 v4, 1.0, v4, vcc_lo
	v_cmp_lt_i32_e32 vcc_lo, 4, v3
	v_dual_cndmask_b32 v7, 1.0, v7 :: v_dual_mul_f32 v4, v4, v5
	v_add_f32_e32 v5, 0x40c00000, v6
	v_add_f32_e32 v8, 0x40a00000, v6
	v_cmp_lt_i32_e32 vcc_lo, 5, v3
	s_delay_alu instid0(VALU_DEP_4) | instskip(NEXT) | instid1(VALU_DEP_3)
	v_dual_mul_f32 v4, v7, v4 :: v_dual_fmaak_f32 v7, s5, v6, 0x3af135b4
	v_cndmask_b32_e32 v8, 1.0, v8, vcc_lo
	v_cmp_lt_i32_e32 vcc_lo, 6, v3
	s_delay_alu instid0(VALU_DEP_2) | instskip(NEXT) | instid1(VALU_DEP_1)
	v_dual_mul_f32 v4, v8, v4 :: v_dual_cndmask_b32 v3, 1.0, v5
	v_dual_mul_f32 v3, v3, v4 :: v_dual_fmaak_f32 v4, s0, v6, 0x3a4beed6
	s_delay_alu instid0(VALU_DEP_1) | instskip(SKIP_1) | instid1(VALU_DEP_1)
	v_cmp_gt_f32_e32 vcc_lo, 0x800000, v3
	v_cndmask_b32_e64 v5, 0, 32, vcc_lo
	v_ldexp_f32 v3, v3, v5
	v_fmaak_f32 v5, v6, v7, 0x3cda40e4
	s_delay_alu instid0(VALU_DEP_2) | instskip(NEXT) | instid1(VALU_DEP_1)
	v_log_f32_e32 v3, v3
	v_fmaak_f32 v5, v6, v5, 0x3e15dce6
	s_delay_alu instid0(VALU_DEP_1) | instskip(NEXT) | instid1(TRANS32_DEP_1)
	v_fmaak_f32 v5, v6, v5, 0x3ea6cc7a
	v_cmp_gt_f32_e64 s0, 0x7f800000, |v3|
	s_delay_alu instid0(VALU_DEP_2) | instskip(NEXT) | instid1(VALU_DEP_1)
	v_fmaak_f32 v5, v6, v5, 0x3e5c245a
	v_fmaak_f32 v5, v6, v5, 0xbd9e233f
	s_delay_alu instid0(VALU_DEP_1) | instskip(SKIP_1) | instid1(VALU_DEP_1)
	v_dual_fmaak_f32 v4, v6, v4, 0x3c98bf54 :: v_dual_mul_f32 v5, v6, v5
	v_mul_f32_e32 v7, 0x3f317217, v3
	v_fma_f32 v8, 0x3f317217, v3, -v7
	s_delay_alu instid0(VALU_DEP_1) | instskip(NEXT) | instid1(VALU_DEP_1)
	v_fmamk_f32 v8, v3, 0x3377d1cf, v8
	v_add_f32_e32 v7, v7, v8
	s_delay_alu instid0(VALU_DEP_1) | instskip(SKIP_1) | instid1(VALU_DEP_1)
	v_cndmask_b32_e64 v3, v3, v7, s0
	v_fmaak_f32 v4, v6, v4, 0x3e300f6e
	v_fmaak_f32 v4, v6, v4, 0x3f38d0c5
	s_delay_alu instid0(VALU_DEP_1) | instskip(NEXT) | instid1(VALU_DEP_1)
	v_fmaak_f32 v4, v6, v4, 0x3fb22d3b
	v_fma_f32 v4, v6, v4, 1.0
	s_delay_alu instid0(VALU_DEP_1) | instskip(SKIP_1) | instid1(TRANS32_DEP_1)
	v_rcp_f32_e32 v4, v4
	v_nop
	v_mul_f32_e32 v4, v5, v4
	v_cndmask_b32_e64 v5, 0, 0x41b17218, vcc_lo
	s_delay_alu instid0(VALU_DEP_1) | instskip(NEXT) | instid1(VALU_DEP_1)
	v_dual_fmac_f32 v4, 0.5, v6 :: v_dual_sub_f32 v3, v3, v5
	v_add_f32_e32 v3, v3, v4
.LBB14_22:
	s_or_b32 exec_lo, exec_lo, s4
.LBB14_23:
	s_and_not1_saveexec_b32 s3, s3
	s_cbranch_execz .LBB14_41
; %bb.24:
	s_mov_b32 s4, exec_lo
                                        ; implicit-def: $vgpr3
                                        ; implicit-def: $vgpr5
                                        ; implicit-def: $vgpr4
	v_cmpx_ge_f32_e64 0x3f666666, |v0|
	s_xor_b32 s4, exec_lo, s4
	s_cbranch_execz .LBB14_26
; %bb.25:
	v_cmp_gt_f32_e64 s0, 0x800000, |v0|
	v_sub_f32_e64 v6, 1.0, |v0|
	v_cmp_gt_f32_e64 vcc_lo, 0x3f3b4a23, |v0|
	s_delay_alu instid0(VALU_DEP_3) | instskip(SKIP_1) | instid1(VALU_DEP_2)
	v_cndmask_b32_e64 v3, 0, 32, s0
	v_cndmask_b32_e64 v7, 0, 0x41b17218, s0
	v_ldexp_f32 v3, |v0|, v3
	s_delay_alu instid0(VALU_DEP_1) | instskip(SKIP_1) | instid1(TRANS32_DEP_1)
	v_log_f32_e32 v3, v3
	v_nop
	v_mul_f32_e32 v4, 0x3f317217, v3
	v_cmp_gt_f32_e64 s0, 0x7f800000, |v3|
	s_delay_alu instid0(VALU_DEP_2) | instskip(NEXT) | instid1(VALU_DEP_1)
	v_fma_f32 v5, 0x3f317217, v3, -v4
	v_fmamk_f32 v5, v3, 0x3377d1cf, v5
	s_delay_alu instid0(VALU_DEP_1) | instskip(SKIP_1) | instid1(VALU_DEP_1)
	v_add_f32_e32 v4, v4, v5
	v_add_f32_e64 v5, 0xbeec5b0c, |v0|
	v_dual_cndmask_b32 v3, v3, v4, s0 :: v_dual_cndmask_b32 v4, v6, v5, vcc_lo
	v_cndmask_b32_e64 v5, 0, 1, vcc_lo
	v_cmp_gt_f32_e64 s0, 0x3e6d3309, |v0|
	s_delay_alu instid0(VALU_DEP_3) | instskip(NEXT) | instid1(VALU_DEP_2)
	v_sub_f32_e32 v3, v3, v7
	v_cndmask_b32_e64 v4, v4, |v0|, s0
	s_delay_alu instid0(VALU_DEP_4) | instskip(NEXT) | instid1(VALU_DEP_3)
	v_cndmask_b32_e64 v5, v5, 2, s0
	v_xor_b32_e32 v3, 0x80000000, v3
.LBB14_26:
	s_and_not1_saveexec_b32 s0, s4
	s_cbranch_execz .LBB14_28
; %bb.27:
	v_sub_f32_e64 v3, 2.0, |v0|
	v_add_f32_e64 v4, 0xbfbb16c3, |v0|
	v_cmp_gt_f32_e64 vcc_lo, 0x3fdda512, |v0|
	v_add_f32_e64 v5, |v0|, -1.0
	s_delay_alu instid0(VALU_DEP_3) | instskip(NEXT) | instid1(VALU_DEP_3)
	v_cndmask_b32_e32 v4, v3, v4, vcc_lo
	v_cndmask_b32_e64 v3, v3, 1.0, vcc_lo
	v_cmp_gt_f32_e64 vcc_lo, 0x3f9d70a4, |v0|
	s_delay_alu instid0(VALU_DEP_2) | instskip(NEXT) | instid1(VALU_DEP_4)
	v_cvt_i32_f32_e32 v3, v3
	v_cndmask_b32_e32 v4, v4, v5, vcc_lo
	s_delay_alu instid0(VALU_DEP_2)
	v_cndmask_b32_e64 v5, v3, 2, vcc_lo
	v_mov_b32_e32 v3, 0
.LBB14_28:
	s_or_b32 exec_lo, exec_lo, s0
	s_delay_alu instid0(SALU_CYCLE_1) | instskip(NEXT) | instid1(VALU_DEP_2)
	s_mov_b32 s0, exec_lo
	v_cmpx_lt_i32_e32 0, v5
	s_xor_b32 s0, exec_lo, s0
	s_cbranch_execz .LBB14_36
; %bb.29:
	s_mov_b32 s4, exec_lo
	v_cmpx_lt_i32_e32 1, v5
	s_xor_b32 s4, exec_lo, s4
	s_cbranch_execz .LBB14_33
; %bb.30:
	s_mov_b32 s5, exec_lo
	v_cmpx_eq_u32_e32 2, v5
	s_cbranch_execz .LBB14_32
; %bb.31:
	s_mov_b32 s7, 0x3c5b3c5e
	s_mov_b32 s6, 0x3b52d5db
	v_fmaak_f32 v6, s7, v4, 0x3e6a7578
	s_delay_alu instid0(VALU_DEP_1) | instskip(NEXT) | instid1(VALU_DEP_1)
	v_fmaak_f32 v6, v4, v6, 0x3f7a4bb2
	v_fmaak_f32 v6, v4, v6, 0x3fba3ae7
	s_delay_alu instid0(VALU_DEP_1) | instskip(NEXT) | instid1(VALU_DEP_1)
	v_fmaak_f32 v6, v4, v6, 0x3f2200f4
	v_fmaak_f32 v6, v4, v6, 0xbd9e233f
	s_delay_alu instid0(VALU_DEP_1) | instskip(NEXT) | instid1(VALU_DEP_1)
	v_dual_fmaak_f32 v5, s6, v4, 0x3dd572af :: v_dual_mul_f32 v6, v4, v6
	v_fmaak_f32 v5, v4, v5, 0x3f44efdf
	s_delay_alu instid0(VALU_DEP_1) | instskip(NEXT) | instid1(VALU_DEP_1)
	v_fmaak_f32 v5, v4, v5, 0x4008392d
	v_fmaak_f32 v5, v4, v5, 0x401d2ebe
	s_delay_alu instid0(VALU_DEP_1) | instskip(NEXT) | instid1(VALU_DEP_1)
	v_fma_f32 v5, v4, v5, 1.0
	v_rcp_f32_e32 v5, v5
	v_nop
	s_delay_alu instid0(TRANS32_DEP_1) | instskip(NEXT) | instid1(VALU_DEP_1)
	v_mul_f32_e32 v5, v6, v5
	v_fmac_f32_e32 v5, -0.5, v4
	s_delay_alu instid0(VALU_DEP_1)
	v_add_f32_e32 v3, v3, v5
.LBB14_32:
	s_or_b32 exec_lo, exec_lo, s5
                                        ; implicit-def: $vgpr4
.LBB14_33:
	s_and_not1_saveexec_b32 s4, s4
	s_cbranch_execz .LBB14_35
; %bb.34:
	s_mov_b32 s6, 0x39afe9f7
	v_mul_f32_e32 v5, v4, v4
	s_mov_b32 s5, 0xb9a3f927
	s_delay_alu instid0(VALU_DEP_1) | instskip(NEXT) | instid1(VALU_DEP_1)
	v_mul_f32_e32 v6, v4, v5
	v_fmaak_f32 v7, s5, v6, 0x3a66f867
	v_fmaak_f32 v8, s6, v6, 0xba0d3085
	s_mov_b32 s5, 0x39a57b6b
	s_delay_alu instid0(VALU_DEP_2) | instskip(NEXT) | instid1(VALU_DEP_2)
	v_fmaak_f32 v7, v6, v7, 0xbb7177fe
	v_fmaak_f32 v8, v6, v8, 0x3b141699
	s_delay_alu instid0(VALU_DEP_2) | instskip(NEXT) | instid1(VALU_DEP_2)
	v_fmaak_f32 v7, v6, v7, 0x3c93373d
	v_fmaak_f32 v8, v6, v8, 0xbc28fcfe
	;; [unrolled: 3-line block ×3, first 2 shown]
	s_delay_alu instid0(VALU_DEP_1) | instskip(SKIP_1) | instid1(VALU_DEP_1)
	v_fmac_f32_e32 v7, v4, v8
	v_fmaak_f32 v9, s5, v6, 0xbab7f476
	v_fmaak_f32 v9, v6, v9, 0x3bc7e707
	s_delay_alu instid0(VALU_DEP_1) | instskip(NEXT) | instid1(VALU_DEP_1)
	v_fmaak_f32 v9, v6, v9, 0xbd064d47
	v_fmaak_f32 v4, v6, v9, 0x3ef7b95e
	v_fma_f32 v6, v6, -v7, 0xa2863e55
	s_delay_alu instid0(VALU_DEP_1) | instskip(NEXT) | instid1(VALU_DEP_1)
	v_fma_f32 v4, v5, v4, -v6
	v_add_f32_e32 v4, 0xbdf8cdce, v4
	s_delay_alu instid0(VALU_DEP_1)
	v_add_f32_e32 v3, v3, v4
.LBB14_35:
	s_or_b32 exec_lo, exec_lo, s4
                                        ; implicit-def: $vgpr5
                                        ; implicit-def: $vgpr4
.LBB14_36:
	s_and_not1_saveexec_b32 s0, s0
	s_cbranch_execz .LBB14_40
; %bb.37:
	s_mov_b32 s4, exec_lo
	v_cmpx_eq_u32_e32 0, v5
	s_cbranch_execz .LBB14_39
; %bb.38:
	v_mul_f32_e32 v5, v4, v4
	s_mov_b32 s5, 0x383c2c75
	s_delay_alu instid0(VALU_DEP_1) | instid1(SALU_CYCLE_1)
	v_fmaak_f32 v6, s5, v5, 0x38e28445
	s_mov_b32 s5, 0x37d383a2
	s_delay_alu instid0(SALU_CYCLE_1) | instskip(NEXT) | instid1(VALU_DEP_2)
	v_fmaak_f32 v7, s5, v5, 0x39679767
	v_fmaak_f32 v6, v5, v6, 0x3a05b634
	s_delay_alu instid0(VALU_DEP_2) | instskip(NEXT) | instid1(VALU_DEP_2)
	v_fmaak_f32 v7, v5, v7, 0x3a9c54a1
	v_fmaak_f32 v6, v5, v6, 0x3b3d6ec6
	s_delay_alu instid0(VALU_DEP_2) | instskip(NEXT) | instid1(VALU_DEP_2)
	;; [unrolled: 3-line block ×4, first 2 shown]
	v_fmaak_f32 v7, v5, v7, 0x3d9e233f
	v_mul_f32_e32 v5, v5, v6
	s_delay_alu instid0(VALU_DEP_1) | instskip(NEXT) | instid1(VALU_DEP_1)
	v_fmac_f32_e32 v5, v4, v7
	v_fmac_f32_e32 v5, -0.5, v4
	s_delay_alu instid0(VALU_DEP_1)
	v_add_f32_e32 v3, v3, v5
.LBB14_39:
	s_or_b32 exec_lo, exec_lo, s4
.LBB14_40:
	s_delay_alu instid0(SALU_CYCLE_1)
	s_or_b32 exec_lo, exec_lo, s0
.LBB14_41:
	s_delay_alu instid0(SALU_CYCLE_1)
	s_or_b32 exec_lo, exec_lo, s3
.LBB14_42:
	s_and_not1_saveexec_b32 s0, s1
	s_cbranch_execz .LBB14_44
; %bb.43:
	v_cmp_gt_f32_e64 s1, 0x800000, |v0|
	s_mov_b32 s3, 0x3e8a8991
	s_delay_alu instid0(SALU_CYCLE_1) | instskip(SKIP_1) | instid1(VALU_DEP_1)
	v_fma_f32 v6, |v0|, s3, 0xbecd26ab
	v_cndmask_b32_e64 v3, 0, 32, s1
	v_ldexp_f32 v3, |v0|, v3
	s_delay_alu instid0(VALU_DEP_1) | instskip(SKIP_1) | instid1(TRANS32_DEP_1)
	v_log_f32_e32 v3, v3
	v_nop
	v_mul_f32_e32 v4, 0x3f317217, v3
	v_cmp_gt_f32_e64 vcc_lo, 0x7f800000, |v3|
	s_delay_alu instid0(VALU_DEP_2) | instskip(NEXT) | instid1(VALU_DEP_1)
	v_fma_f32 v5, 0x3f317217, v3, -v4
	v_fmamk_f32 v5, v3, 0x3377d1cf, v5
	s_delay_alu instid0(VALU_DEP_1) | instskip(SKIP_1) | instid1(VALU_DEP_2)
	v_add_f32_e32 v4, v4, v5
	v_fma_f32 v5, |v0|, v6, 0x3f528d33
	v_cndmask_b32_e32 v3, v3, v4, vcc_lo
	v_cndmask_b32_e64 v4, 0, 0x41b17218, s1
	s_delay_alu instid0(VALU_DEP_3) | instskip(NEXT) | instid1(VALU_DEP_2)
	v_fma_f32 v5, |v0|, v5, 0xbf13c468
	v_sub_f32_e32 v3, v3, v4
	s_delay_alu instid0(VALU_DEP_1)
	v_fma_f32 v3, |v0|, v5, -v3
.LBB14_44:
	s_or_b32 exec_lo, exec_lo, s0
	v_cmp_le_f32_e32 vcc_lo, 0, v0
	s_mov_b32 s1, exec_lo
	v_cmpx_nle_f32_e32 0, v0
	s_xor_b32 s3, exec_lo, s1
	s_cbranch_execz .LBB14_48
; %bb.45:
	v_cmp_gt_f32_e64 s0, 0x4b000000, |v0|
	v_cmp_lt_f32_e64 s1, 0x35000000, |v0|
	s_and_b32 s0, s0, s1
	s_delay_alu instid0(SALU_CYCLE_1)
	s_and_saveexec_b32 s4, s0
	s_cbranch_execz .LBB14_47
; %bb.46:
	v_mul_f32_e64 v4, |v0|, 0.5
	s_mov_b32 s1, 0x3d4be544
	v_xor_b32_e32 v2, v2, v0
	s_delay_alu instid0(VALU_DEP_2) | instskip(SKIP_1) | instid1(VALU_DEP_2)
	v_floor_f32_e32 v5, v4
	v_cmp_neq_f32_e64 s0, 0x7f800000, v4
	v_sub_f32_e32 v5, v4, v5
	s_delay_alu instid0(VALU_DEP_1) | instskip(NEXT) | instid1(VALU_DEP_1)
	v_min_num_f32_e32 v5, 0x3f7fffff, v5
	v_add_f32_e32 v5, v5, v5
	s_delay_alu instid0(VALU_DEP_1) | instskip(SKIP_1) | instid1(VALU_DEP_1)
	v_cndmask_b32_e64 v4, 0, v5, s0
	v_cmp_gt_f32_e64 s0, |v0|, 1.0
	v_cndmask_b32_e64 v4, |v0|, v4, s0
	s_mov_b32 s0, 0x3e75aa41
	s_delay_alu instid0(VALU_DEP_1) | instskip(NEXT) | instid1(VALU_DEP_1)
	v_add_f32_e32 v5, v4, v4
	v_rndne_f32_e32 v5, v5
	s_delay_alu instid0(VALU_DEP_1) | instskip(SKIP_1) | instid1(VALU_DEP_2)
	v_fmac_f32_e32 v4, -0.5, v5
	v_cvt_i32_f32_e32 v5, v5
	v_mul_f32_e32 v6, v4, v4
	s_delay_alu instid0(VALU_DEP_1) | instskip(SKIP_1) | instid1(VALU_DEP_2)
	v_fmaak_f32 v7, s0, v6, 0xbf1f24be
	v_dual_fmaak_f32 v8, s1, v6, 0x3e642e9d :: v_dual_mul_f32 v9, v4, v6
	v_fmaak_f32 v7, v6, v7, 0x40234736
	s_delay_alu instid0(VALU_DEP_2) | instskip(NEXT) | instid1(VALU_DEP_2)
	v_fmaak_f32 v8, v6, v8, 0xbfaad1da
	v_fmaak_f32 v7, v6, v7, 0xc0a55e0e
	s_delay_alu instid0(VALU_DEP_1) | instskip(NEXT) | instid1(VALU_DEP_1)
	v_mul_f32_e32 v7, v9, v7
	v_fmamk_f32 v4, v4, 0x40490fdb, v7
	v_dual_lshlrev_b32 v5, 30, v5 :: v_dual_bitop2_b32 v9, 1, v5 bitop3:0x40
	v_fmaak_f32 v8, v6, v8, 0x4081e0d3
	s_delay_alu instid0(VALU_DEP_2) | instskip(NEXT) | instid1(VALU_DEP_3)
	v_cmp_eq_u32_e64 s0, 0, v9
	v_and_b32_e32 v5, 0x80000000, v5
	s_delay_alu instid0(VALU_DEP_3) | instskip(NEXT) | instid1(VALU_DEP_1)
	v_fmaak_f32 v8, v6, v8, 0xc09de9e6
	v_fma_f32 v6, v6, v8, 1.0
	s_delay_alu instid0(VALU_DEP_1) | instskip(NEXT) | instid1(VALU_DEP_1)
	v_cndmask_b32_e64 v4, v6, v4, s0
	v_xor3_b32 v2, v2, v5, v4
	s_delay_alu instid0(VALU_DEP_1) | instskip(NEXT) | instid1(VALU_DEP_1)
	v_mul_f32_e32 v2, v0, v2
	v_frexp_mant_f32_e64 v4, |v2|
	v_frexp_exp_i32_f32_e32 v2, v2
	s_delay_alu instid0(VALU_DEP_2) | instskip(NEXT) | instid1(VALU_DEP_1)
	v_rcp_f32_e32 v4, v4
	v_sub_nc_u32_e32 v2, 2, v2
	s_delay_alu instid0(TRANS32_DEP_1) | instskip(NEXT) | instid1(VALU_DEP_1)
	v_mul_f32_e32 v4, 0x3f490fdb, v4
	v_ldexp_f32 v2, v4, v2
	s_delay_alu instid0(VALU_DEP_1) | instskip(NEXT) | instid1(VALU_DEP_1)
	v_cmp_gt_f32_e64 s0, 0x800000, v2
	v_cndmask_b32_e64 v4, 0, 32, s0
	s_delay_alu instid0(VALU_DEP_1) | instskip(NEXT) | instid1(VALU_DEP_1)
	v_ldexp_f32 v2, v2, v4
	v_log_f32_e32 v2, v2
	v_nop
	s_delay_alu instid0(TRANS32_DEP_1) | instskip(SKIP_1) | instid1(VALU_DEP_2)
	v_mul_f32_e32 v4, 0x3f317217, v2
	v_cmp_gt_f32_e64 s1, 0x7f800000, |v2|
	v_fma_f32 v5, 0x3f317217, v2, -v4
	s_delay_alu instid0(VALU_DEP_1) | instskip(NEXT) | instid1(VALU_DEP_1)
	v_fmamk_f32 v5, v2, 0x3377d1cf, v5
	v_add_f32_e32 v4, v4, v5
	v_floor_f32_e32 v5, v0
	s_delay_alu instid0(VALU_DEP_2) | instskip(SKIP_1) | instid1(VALU_DEP_1)
	v_cndmask_b32_e64 v2, v2, v4, s1
	v_cndmask_b32_e64 v4, 0, 0x41b17218, s0
	v_dual_sub_f32 v5, v0, v5 :: v_dual_sub_f32 v2, v2, v4
	s_delay_alu instid0(VALU_DEP_1) | instskip(NEXT) | instid1(VALU_DEP_2)
	v_min_num_f32_e32 v4, 0x3f7fffff, v5
	v_sub_f32_e32 v2, v2, v3
	s_delay_alu instid0(VALU_DEP_2) | instskip(NEXT) | instid1(VALU_DEP_1)
	v_cmp_neq_f32_e64 s0, 0, v4
	v_cndmask_b32_e64 v3, 0x7f800000, v2, s0
.LBB14_47:
	s_or_b32 exec_lo, exec_lo, s4
.LBB14_48:
	s_and_not1_saveexec_b32 s3, s3
; %bb.49:
	v_cmp_eq_f32_e64 s0, 1.0, v0
	v_cmp_eq_f32_e64 s1, 2.0, v0
	s_or_b32 s0, s0, s1
	s_delay_alu instid0(SALU_CYCLE_1)
	v_cndmask_b32_e64 v3, v3, 0, s0
; %bb.50:
	s_or_b32 exec_lo, exec_lo, s3
	v_cmp_gt_f32_e64 s0, 0x800000, v1
	v_cmp_gt_f32_e64 s1, 0x4b000000, |v0|
	s_delay_alu instid0(VALU_DEP_2) | instskip(SKIP_2) | instid1(VALU_DEP_2)
	v_cndmask_b32_e64 v2, 0, 32, s0
	v_cndmask_b32_e64 v5, 0, 0x41b17218, s0
	s_or_b32 vcc_lo, vcc_lo, s1
	v_ldexp_f32 v2, v1, v2
	s_delay_alu instid0(VALU_DEP_1) | instskip(SKIP_1) | instid1(TRANS32_DEP_1)
	v_log_f32_e32 v2, v2
	v_nop
	v_mul_f32_e32 v4, 0x3f317217, v2
	v_cmp_gt_f32_e64 s0, 0x7f800000, |v2|
	s_delay_alu instid0(VALU_DEP_2) | instskip(NEXT) | instid1(VALU_DEP_1)
	v_fma_f32 v4, 0x3f317217, v2, -v4
	v_fmamk_f32 v4, v2, 0x3377d1cf, v4
	s_delay_alu instid0(VALU_DEP_1) | instskip(NEXT) | instid1(VALU_DEP_1)
	v_fmac_f32_e32 v4, 0x3f317217, v2
	v_cndmask_b32_e64 v2, v2, v4, s0
	v_cndmask_b32_e32 v3, 0x7f800000, v3, vcc_lo
	v_cmp_class_f32_e64 s0, v0, 0x264
	v_cmp_u_f32_e32 vcc_lo, v0, v0
	s_delay_alu instid0(VALU_DEP_4) | instskip(NEXT) | instid1(VALU_DEP_3)
	v_sub_f32_e32 v2, v2, v5
	v_cndmask_b32_e64 v3, v3, 0x7f800000, s0
	s_mov_b32 s0, exec_lo
	s_delay_alu instid0(VALU_DEP_2) | instskip(NEXT) | instid1(VALU_DEP_2)
	v_dual_fma_f32 v1, v0, v2, -v1 :: v_dual_mov_b32 v2, 0
	v_cndmask_b32_e32 v0, v3, v0, vcc_lo
	s_delay_alu instid0(VALU_DEP_1) | instskip(NEXT) | instid1(VALU_DEP_1)
	v_sub_f32_e32 v0, v1, v0
	v_cmpx_ngt_f32_e32 0xc2b17218, v0
	s_cbranch_execz .LBB14_52
; %bb.51:
	v_mul_f32_e32 v1, 0x3fb8aa3b, v0
	v_cmp_ngt_f32_e32 vcc_lo, 0xc2ce8ed0, v0
	s_delay_alu instid0(VALU_DEP_2) | instskip(SKIP_1) | instid1(VALU_DEP_2)
	v_rndne_f32_e32 v2, v1
	v_fma_f32 v3, 0x3fb8aa3b, v0, -v1
	v_sub_f32_e32 v1, v1, v2
	s_delay_alu instid0(VALU_DEP_2) | instskip(SKIP_1) | instid1(VALU_DEP_2)
	v_fmamk_f32 v3, v0, 0x32a5705f, v3
	v_cvt_i32_f32_e32 v2, v2
	v_add_f32_e32 v1, v1, v3
	s_delay_alu instid0(VALU_DEP_1) | instskip(SKIP_1) | instid1(TRANS32_DEP_1)
	v_exp_f32_e32 v1, v1
	v_nop
	v_ldexp_f32 v1, v1, v2
	s_delay_alu instid0(VALU_DEP_1) | instskip(SKIP_1) | instid1(VALU_DEP_2)
	v_cndmask_b32_e32 v1, 0, v1, vcc_lo
	v_cmp_nlt_f32_e32 vcc_lo, 0x42b17218, v0
	v_cndmask_b32_e32 v2, 0x7f800000, v1, vcc_lo
.LBB14_52:
	s_or_b32 exec_lo, exec_lo, s0
	s_delay_alu instid0(SALU_CYCLE_1) | instskip(NEXT) | instid1(VALU_DEP_1)
	s_or_b32 exec_lo, exec_lo, s2
	v_mov_b32_e32 v0, v2
	s_set_pc_i64 s[30:31]
.Lfunc_end14:
	.size	_ZN12_GLOBAL__N_116_igam_helper_facIfEET_S1_S1_, .Lfunc_end14-_ZN12_GLOBAL__N_116_igam_helper_facIfEET_S1_S1_
                                        ; -- End function
	.set .L_ZN12_GLOBAL__N_116_igam_helper_facIfEET_S1_S1_.num_vgpr, 72
	.set .L_ZN12_GLOBAL__N_116_igam_helper_facIfEET_S1_S1_.num_agpr, 0
	.set .L_ZN12_GLOBAL__N_116_igam_helper_facIfEET_S1_S1_.numbered_sgpr, 32
	.set .L_ZN12_GLOBAL__N_116_igam_helper_facIfEET_S1_S1_.num_named_barrier, 0
	.set .L_ZN12_GLOBAL__N_116_igam_helper_facIfEET_S1_S1_.private_seg_size, 0
	.set .L_ZN12_GLOBAL__N_116_igam_helper_facIfEET_S1_S1_.uses_vcc, 1
	.set .L_ZN12_GLOBAL__N_116_igam_helper_facIfEET_S1_S1_.uses_flat_scratch, 0
	.set .L_ZN12_GLOBAL__N_116_igam_helper_facIfEET_S1_S1_.has_dyn_sized_stack, 0
	.set .L_ZN12_GLOBAL__N_116_igam_helper_facIfEET_S1_S1_.has_recursion, 0
	.set .L_ZN12_GLOBAL__N_116_igam_helper_facIfEET_S1_S1_.has_indirect_call, 0
	.section	.AMDGPU.csdata,"",@progbits
; Function info:
; codeLenInByte = 8592
; TotalNumSgprs: 34
; NumVgprs: 72
; ScratchSize: 0
; MemoryBound: 0
	.text
	.p2align	2                               ; -- Begin function _ZN12_GLOBAL__N_120_igamc_helper_seriesIfEET_S1_S1_
	.type	_ZN12_GLOBAL__N_120_igamc_helper_seriesIfEET_S1_S1_,@function
_ZN12_GLOBAL__N_120_igamc_helper_seriesIfEET_S1_S1_: ; @_ZN12_GLOBAL__N_120_igamc_helper_seriesIfEET_S1_S1_
; %bb.0:
	s_wait_loadcnt_dscnt 0x0
	s_wait_kmcnt 0x0
	v_dual_mov_b32 v2, 0 :: v_dual_mov_b32 v3, 1.0
	s_mov_b32 s1, 1
	s_mov_b32 s0, 0
.LBB15_1:                               ; =>This Inner Loop Header: Depth=1
	s_cvt_f32_u32 s2, s1
	s_delay_alu instid0(SALU_CYCLE_3) | instskip(SKIP_1) | instid1(VALU_DEP_2)
	v_div_scale_f32 v4, null, s2, s2, -v1
	v_div_scale_f32 v7, vcc_lo, -v1, s2, -v1
	v_rcp_f32_e32 v5, v4
	v_nop
	s_delay_alu instid0(TRANS32_DEP_1) | instskip(NEXT) | instid1(VALU_DEP_1)
	v_fma_f32 v6, -v4, v5, 1.0
	v_fmac_f32_e32 v5, v6, v5
	s_delay_alu instid0(VALU_DEP_1) | instskip(NEXT) | instid1(VALU_DEP_1)
	v_mul_f32_e32 v6, v7, v5
	v_fma_f32 v8, -v4, v6, v7
	s_delay_alu instid0(VALU_DEP_1) | instskip(NEXT) | instid1(VALU_DEP_1)
	v_fmac_f32_e32 v6, v8, v5
	v_fma_f32 v4, -v4, v6, v7
	s_delay_alu instid0(VALU_DEP_1) | instskip(SKIP_1) | instid1(VALU_DEP_2)
	v_div_fmas_f32 v4, v4, v5, v6
	v_add_f32_e32 v5, s2, v0
	v_div_fixup_f32 v4, v4, s2, -v1
	s_add_co_i32 s2, s1, 1
	s_cmp_eq_u32 s1, 0x7cf
	s_cselect_b32 s1, -1, 0
	s_delay_alu instid0(VALU_DEP_1) | instskip(NEXT) | instid1(VALU_DEP_1)
	v_mul_f32_e32 v3, v3, v4
	v_div_scale_f32 v4, null, v5, v5, v3
	v_div_scale_f32 v8, vcc_lo, v3, v5, v3
	s_delay_alu instid0(VALU_DEP_2) | instskip(SKIP_1) | instid1(TRANS32_DEP_1)
	v_rcp_f32_e32 v6, v4
	v_nop
	v_fma_f32 v7, -v4, v6, 1.0
	s_delay_alu instid0(VALU_DEP_1) | instskip(NEXT) | instid1(VALU_DEP_1)
	v_fmac_f32_e32 v6, v7, v6
	v_mul_f32_e32 v7, v8, v6
	s_delay_alu instid0(VALU_DEP_1) | instskip(NEXT) | instid1(VALU_DEP_1)
	v_fma_f32 v9, -v4, v7, v8
	v_fmac_f32_e32 v7, v9, v6
	s_delay_alu instid0(VALU_DEP_1) | instskip(NEXT) | instid1(VALU_DEP_1)
	v_fma_f32 v4, -v4, v7, v8
	v_div_fmas_f32 v4, v4, v6, v7
	s_delay_alu instid0(VALU_DEP_1) | instskip(NEXT) | instid1(VALU_DEP_1)
	v_div_fixup_f32 v4, v4, v5, v3
	v_add_f32_e32 v2, v2, v4
	s_delay_alu instid0(VALU_DEP_1) | instskip(NEXT) | instid1(VALU_DEP_1)
	v_mul_f32_e64 v5, 0x33800000, |v2|
	v_cmp_le_f32_e64 s3, |v4|, v5
	s_or_b32 s1, s3, s1
	s_delay_alu instid0(SALU_CYCLE_1) | instskip(NEXT) | instid1(SALU_CYCLE_1)
	s_and_b32 s1, exec_lo, s1
	s_or_b32 s0, s1, s0
	s_mov_b32 s1, s2
	s_and_not1_b32 exec_lo, exec_lo, s0
	s_cbranch_execnz .LBB15_1
; %bb.2:
	s_or_b32 exec_lo, exec_lo, s0
	v_add_f32_e32 v3, 1.0, v0
	s_mov_b32 s1, exec_lo
                                        ; implicit-def: $vgpr4
	s_delay_alu instid0(VALU_DEP_1)
	v_and_b32_e32 v5, 0x7fffffff, v3
	v_cmpx_ngt_f32_e64 0x3c800000, |v3|
	s_xor_b32 s1, exec_lo, s1
	s_cbranch_execz .LBB15_32
; %bb.3:
	s_mov_b32 s2, exec_lo
                                        ; implicit-def: $vgpr4
	v_cmpx_nlt_f32_e64 |v3|, 2.0
	s_xor_b32 s2, exec_lo, s2
	s_cbranch_execz .LBB15_13
; %bb.4:
	v_cmp_ngt_f32_e64 s0, 0x41000000, |v3|
                                        ; implicit-def: $vgpr4
	s_and_saveexec_b32 s3, s0
	s_delay_alu instid0(SALU_CYCLE_1)
	s_xor_b32 s0, exec_lo, s3
	s_cbranch_execz .LBB15_10
; %bb.5:
	v_cmp_ngt_f32_e64 s3, 0x5c800000, |v3|
                                        ; implicit-def: $vgpr4
	s_and_saveexec_b32 s4, s3
	s_delay_alu instid0(SALU_CYCLE_1)
	s_xor_b32 s3, exec_lo, s4
	s_cbranch_execz .LBB15_7
; %bb.6:
	v_cmp_gt_f32_e64 s4, 0x800000, |v3|
	s_delay_alu instid0(VALU_DEP_1) | instskip(NEXT) | instid1(VALU_DEP_1)
	v_cndmask_b32_e64 v4, 0, 32, s4
	v_ldexp_f32 v4, |v3|, v4
	s_delay_alu instid0(VALU_DEP_1) | instskip(SKIP_1) | instid1(TRANS32_DEP_1)
	v_log_f32_e32 v4, v4
	v_nop
	v_mul_f32_e32 v6, 0x3f317217, v4
	v_cmp_gt_f32_e64 vcc_lo, 0x7f800000, |v4|
	s_delay_alu instid0(VALU_DEP_2) | instskip(NEXT) | instid1(VALU_DEP_1)
	v_fma_f32 v7, 0x3f317217, v4, -v6
	v_fmamk_f32 v7, v4, 0x3377d1cf, v7
	s_delay_alu instid0(VALU_DEP_1) | instskip(NEXT) | instid1(VALU_DEP_1)
	v_add_f32_e32 v6, v6, v7
	v_cndmask_b32_e32 v4, v4, v6, vcc_lo
	v_cndmask_b32_e64 v6, 0, 0x41b17218, s4
	s_delay_alu instid0(VALU_DEP_1) | instskip(NEXT) | instid1(VALU_DEP_1)
	v_sub_f32_e32 v4, v4, v6
	v_fma_f32 v4, |v3|, v4, -|v3|
.LBB15_7:
	s_and_not1_saveexec_b32 s3, s3
	s_cbranch_execz .LBB15_9
; %bb.8:
	v_cmp_gt_f32_e64 s4, 0x800000, |v3|
	v_rcp_f32_e64 v6, |v3|
	s_mov_b32 s5, 0xbad5c4e8
	v_cndmask_b32_e64 v4, 0, 32, s4
	s_delay_alu instid0(VALU_DEP_1) | instskip(NEXT) | instid1(VALU_DEP_1)
	v_ldexp_f32 v4, |v3|, v4
	v_log_f32_e32 v4, v4
	v_nop
	s_delay_alu instid0(TRANS32_DEP_1) | instskip(SKIP_1) | instid1(VALU_DEP_2)
	v_dual_mul_f32 v7, v6, v6 :: v_dual_mul_f32 v8, 0x3f317217, v4
	v_cmp_gt_f32_e64 vcc_lo, 0x7f800000, |v4|
	v_fma_f32 v10, 0x3f317217, v4, -v8
	s_delay_alu instid0(VALU_DEP_1) | instskip(NEXT) | instid1(VALU_DEP_1)
	v_fmamk_f32 v10, v4, 0x3377d1cf, v10
	v_dual_fmaak_f32 v9, s5, v7, 0x3a5b3dd2 :: v_dual_add_f32 v8, v8, v10
	s_delay_alu instid0(VALU_DEP_1) | instskip(SKIP_1) | instid1(VALU_DEP_1)
	v_dual_fmaak_f32 v9, v7, v9, 0xba1c065c :: v_dual_cndmask_b32 v4, v4, v8
	v_cndmask_b32_e64 v8, 0, 0x41b17218, s4
	v_dual_fmaak_f32 v9, v7, v9, 0x3a500cfd :: v_dual_sub_f32 v8, v4, v8
	s_delay_alu instid0(VALU_DEP_1) | instskip(NEXT) | instid1(VALU_DEP_1)
	v_fmaak_f32 v9, v7, v9, 0xbb360b61
	v_fmaak_f32 v7, v7, v9, 0x3daaaaab
	s_delay_alu instid0(VALU_DEP_1) | instskip(SKIP_2) | instid1(VALU_DEP_1)
	v_fmaak_f32 v4, v6, v7, 0x3ed67f1d
	v_add_f32_e64 v6, |v3|, -0.5
	v_add_f32_e32 v7, -1.0, v8
	v_fmac_f32_e32 v4, v6, v7
.LBB15_9:
	s_or_b32 exec_lo, exec_lo, s3
.LBB15_10:
	s_and_not1_saveexec_b32 s3, s0
	s_cbranch_execz .LBB15_12
; %bb.11:
	v_cvt_i32_f32_e32 v8, v5
	v_mov_b64_e32 v[6:7], 0x4040000040000000
	s_mov_b32 s0, 0x36f5d7bd
	s_mov_b32 s4, 0x3805ff67
	s_delay_alu instid0(VALU_DEP_2) | instskip(SKIP_1) | instid1(VALU_DEP_2)
	v_cvt_f32_i32_e32 v4, v8
	v_cmp_lt_i32_e32 vcc_lo, 3, v8
	v_sub_f32_e64 v4, |v3|, v4
	s_delay_alu instid0(VALU_DEP_1) | instskip(NEXT) | instid1(VALU_DEP_1)
	v_pk_add_f32 v[6:7], v[4:5], v[6:7] op_sel_hi:[0,1]
	v_dual_add_f32 v9, 4.0, v4 :: v_dual_cndmask_b32 v7, 1.0, v7, vcc_lo
	v_cmp_lt_i32_e32 vcc_lo, 2, v8
	s_delay_alu instid0(VALU_DEP_3) | instskip(SKIP_1) | instid1(VALU_DEP_2)
	v_cndmask_b32_e32 v6, 1.0, v6, vcc_lo
	v_cmp_lt_i32_e32 vcc_lo, 4, v8
	v_dual_cndmask_b32 v9, 1.0, v9 :: v_dual_mul_f32 v6, v6, v7
	v_add_f32_e32 v7, 0x40c00000, v4
	v_add_f32_e32 v10, 0x40a00000, v4
	v_cmp_lt_i32_e32 vcc_lo, 5, v8
	s_delay_alu instid0(VALU_DEP_4) | instskip(NEXT) | instid1(VALU_DEP_3)
	v_dual_mul_f32 v6, v9, v6 :: v_dual_fmaak_f32 v9, s4, v4, 0x3af135b4
	v_cndmask_b32_e32 v10, 1.0, v10, vcc_lo
	v_cmp_lt_i32_e32 vcc_lo, 6, v8
	s_delay_alu instid0(VALU_DEP_2) | instskip(NEXT) | instid1(VALU_DEP_1)
	v_dual_mul_f32 v6, v10, v6 :: v_dual_cndmask_b32 v7, 1.0, v7
	v_dual_mul_f32 v6, v7, v6 :: v_dual_fmaak_f32 v7, s0, v4, 0x3a4beed6
	s_delay_alu instid0(VALU_DEP_1) | instskip(NEXT) | instid1(VALU_DEP_1)
	v_fmaak_f32 v7, v4, v7, 0x3c98bf54
	v_fmaak_f32 v7, v4, v7, 0x3e300f6e
	s_delay_alu instid0(VALU_DEP_3) | instskip(SKIP_1) | instid1(VALU_DEP_1)
	v_cmp_gt_f32_e32 vcc_lo, 0x800000, v6
	v_cndmask_b32_e64 v8, 0, 32, vcc_lo
	v_ldexp_f32 v6, v6, v8
	v_fmaak_f32 v8, v4, v9, 0x3cda40e4
	s_delay_alu instid0(VALU_DEP_2) | instskip(SKIP_1) | instid1(TRANS32_DEP_1)
	v_log_f32_e32 v6, v6
	v_nop
	v_mul_f32_e32 v9, 0x3f317217, v6
	v_cmp_gt_f32_e64 s0, 0x7f800000, |v6|
	s_delay_alu instid0(VALU_DEP_2) | instskip(NEXT) | instid1(VALU_DEP_1)
	v_fma_f32 v10, 0x3f317217, v6, -v9
	v_fmamk_f32 v10, v6, 0x3377d1cf, v10
	s_delay_alu instid0(VALU_DEP_1) | instskip(NEXT) | instid1(VALU_DEP_1)
	v_dual_add_f32 v9, v9, v10 :: v_dual_fmaak_f32 v8, v4, v8, 0x3e15dce6
	v_fmaak_f32 v8, v4, v8, 0x3ea6cc7a
	s_delay_alu instid0(VALU_DEP_1) | instskip(NEXT) | instid1(VALU_DEP_1)
	v_fmaak_f32 v8, v4, v8, 0x3e5c245a
	v_fmaak_f32 v8, v4, v8, 0xbd9e233f
	s_delay_alu instid0(VALU_DEP_1) | instskip(NEXT) | instid1(VALU_DEP_1)
	v_dual_fmaak_f32 v7, v4, v7, 0x3f38d0c5 :: v_dual_mul_f32 v8, v4, v8
	v_fmaak_f32 v7, v4, v7, 0x3fb22d3b
	s_delay_alu instid0(VALU_DEP_1) | instskip(NEXT) | instid1(VALU_DEP_1)
	v_fma_f32 v7, v4, v7, 1.0
	v_rcp_f32_e32 v7, v7
	v_nop
	s_delay_alu instid0(TRANS32_DEP_1) | instskip(SKIP_1) | instid1(VALU_DEP_2)
	v_dual_mul_f32 v7, v8, v7 :: v_dual_cndmask_b32 v6, v6, v9, s0
	v_cndmask_b32_e64 v8, 0, 0x41b17218, vcc_lo
	v_fmac_f32_e32 v7, 0.5, v4
	s_delay_alu instid0(VALU_DEP_2) | instskip(NEXT) | instid1(VALU_DEP_1)
	v_sub_f32_e32 v4, v6, v8
	v_add_f32_e32 v4, v4, v7
.LBB15_12:
	s_or_b32 exec_lo, exec_lo, s3
.LBB15_13:
	s_and_not1_saveexec_b32 s2, s2
	s_cbranch_execz .LBB15_31
; %bb.14:
	s_mov_b32 s3, exec_lo
                                        ; implicit-def: $vgpr4
                                        ; implicit-def: $vgpr7
                                        ; implicit-def: $vgpr6
	v_cmpx_ge_f32_e64 0x3f666666, |v3|
	s_xor_b32 s3, exec_lo, s3
	s_cbranch_execz .LBB15_16
; %bb.15:
	v_cmp_gt_f32_e64 s0, 0x800000, |v3|
	v_sub_f32_e64 v8, 1.0, |v3|
	v_cmp_gt_f32_e64 vcc_lo, 0x3f3b4a23, |v3|
	s_delay_alu instid0(VALU_DEP_3) | instskip(SKIP_1) | instid1(VALU_DEP_2)
	v_cndmask_b32_e64 v4, 0, 32, s0
	v_cndmask_b32_e64 v9, 0, 0x41b17218, s0
	v_ldexp_f32 v4, |v3|, v4
	s_delay_alu instid0(VALU_DEP_1) | instskip(SKIP_1) | instid1(TRANS32_DEP_1)
	v_log_f32_e32 v4, v4
	v_nop
	v_mul_f32_e32 v6, 0x3f317217, v4
	v_cmp_gt_f32_e64 s0, 0x7f800000, |v4|
	s_delay_alu instid0(VALU_DEP_2) | instskip(NEXT) | instid1(VALU_DEP_1)
	v_fma_f32 v7, 0x3f317217, v4, -v6
	v_fmamk_f32 v7, v4, 0x3377d1cf, v7
	s_delay_alu instid0(VALU_DEP_1) | instskip(SKIP_1) | instid1(VALU_DEP_2)
	v_add_f32_e32 v6, v6, v7
	v_add_f32_e64 v7, 0xbeec5b0c, |v3|
	v_cndmask_b32_e64 v4, v4, v6, s0
	s_delay_alu instid0(VALU_DEP_2) | instskip(SKIP_2) | instid1(VALU_DEP_4)
	v_cndmask_b32_e32 v6, v8, v7, vcc_lo
	v_cndmask_b32_e64 v7, 0, 1, vcc_lo
	v_cmp_gt_f32_e64 s0, 0x3e6d3309, |v3|
	v_sub_f32_e32 v4, v4, v9
	s_delay_alu instid0(VALU_DEP_2) | instskip(NEXT) | instid1(VALU_DEP_4)
	v_cndmask_b32_e64 v6, v6, |v3|, s0
	v_cndmask_b32_e64 v7, v7, 2, s0
	s_delay_alu instid0(VALU_DEP_3)
	v_xor_b32_e32 v4, 0x80000000, v4
.LBB15_16:
	s_and_not1_saveexec_b32 s0, s3
	s_cbranch_execz .LBB15_18
; %bb.17:
	v_sub_f32_e64 v4, 2.0, |v3|
	v_add_f32_e64 v6, 0xbfbb16c3, |v3|
	v_cmp_gt_f32_e64 vcc_lo, 0x3fdda512, |v3|
	v_add_f32_e64 v7, |v3|, -1.0
	s_delay_alu instid0(VALU_DEP_3) | instskip(NEXT) | instid1(VALU_DEP_3)
	v_cndmask_b32_e32 v6, v4, v6, vcc_lo
	v_cndmask_b32_e64 v4, v4, 1.0, vcc_lo
	v_cmp_gt_f32_e64 vcc_lo, 0x3f9d70a4, |v3|
	s_delay_alu instid0(VALU_DEP_2) | instskip(NEXT) | instid1(VALU_DEP_4)
	v_cvt_i32_f32_e32 v4, v4
	v_cndmask_b32_e32 v6, v6, v7, vcc_lo
	s_delay_alu instid0(VALU_DEP_2)
	v_cndmask_b32_e64 v7, v4, 2, vcc_lo
	v_mov_b32_e32 v4, 0
.LBB15_18:
	s_or_b32 exec_lo, exec_lo, s0
	s_delay_alu instid0(SALU_CYCLE_1) | instskip(NEXT) | instid1(VALU_DEP_2)
	s_mov_b32 s0, exec_lo
	v_cmpx_lt_i32_e32 0, v7
	s_xor_b32 s0, exec_lo, s0
	s_cbranch_execz .LBB15_26
; %bb.19:
	s_mov_b32 s3, exec_lo
	v_cmpx_lt_i32_e32 1, v7
	s_xor_b32 s3, exec_lo, s3
	s_cbranch_execz .LBB15_23
; %bb.20:
	s_mov_b32 s4, exec_lo
	v_cmpx_eq_u32_e32 2, v7
	s_cbranch_execz .LBB15_22
; %bb.21:
	s_mov_b32 s6, 0x3c5b3c5e
	s_mov_b32 s5, 0x3b52d5db
	v_fmaak_f32 v8, s6, v6, 0x3e6a7578
	s_delay_alu instid0(VALU_DEP_1) | instskip(NEXT) | instid1(VALU_DEP_1)
	v_fmaak_f32 v8, v6, v8, 0x3f7a4bb2
	v_fmaak_f32 v8, v6, v8, 0x3fba3ae7
	s_delay_alu instid0(VALU_DEP_1) | instskip(NEXT) | instid1(VALU_DEP_1)
	v_fmaak_f32 v8, v6, v8, 0x3f2200f4
	v_fmaak_f32 v8, v6, v8, 0xbd9e233f
	s_delay_alu instid0(VALU_DEP_1) | instskip(NEXT) | instid1(VALU_DEP_1)
	v_dual_fmaak_f32 v7, s5, v6, 0x3dd572af :: v_dual_mul_f32 v8, v6, v8
	v_fmaak_f32 v7, v6, v7, 0x3f44efdf
	s_delay_alu instid0(VALU_DEP_1) | instskip(NEXT) | instid1(VALU_DEP_1)
	v_fmaak_f32 v7, v6, v7, 0x4008392d
	v_fmaak_f32 v7, v6, v7, 0x401d2ebe
	s_delay_alu instid0(VALU_DEP_1) | instskip(NEXT) | instid1(VALU_DEP_1)
	v_fma_f32 v7, v6, v7, 1.0
	v_rcp_f32_e32 v7, v7
	v_nop
	s_delay_alu instid0(TRANS32_DEP_1) | instskip(NEXT) | instid1(VALU_DEP_1)
	v_mul_f32_e32 v7, v8, v7
	v_fmac_f32_e32 v7, -0.5, v6
	s_delay_alu instid0(VALU_DEP_1)
	v_add_f32_e32 v4, v4, v7
.LBB15_22:
	s_or_b32 exec_lo, exec_lo, s4
                                        ; implicit-def: $vgpr6
.LBB15_23:
	s_and_not1_saveexec_b32 s3, s3
	s_cbranch_execz .LBB15_25
; %bb.24:
	s_mov_b32 s5, 0x39afe9f7
	v_mul_f32_e32 v7, v6, v6
	s_mov_b32 s4, 0xb9a3f927
	s_delay_alu instid0(VALU_DEP_1) | instskip(NEXT) | instid1(VALU_DEP_1)
	v_mul_f32_e32 v8, v6, v7
	v_fmaak_f32 v9, s4, v8, 0x3a66f867
	v_fmaak_f32 v10, s5, v8, 0xba0d3085
	s_mov_b32 s4, 0x39a57b6b
	s_delay_alu instid0(VALU_DEP_2) | instskip(NEXT) | instid1(VALU_DEP_2)
	v_fmaak_f32 v9, v8, v9, 0xbb7177fe
	v_fmaak_f32 v10, v8, v10, 0x3b141699
	s_delay_alu instid0(VALU_DEP_2) | instskip(NEXT) | instid1(VALU_DEP_2)
	v_fmaak_f32 v9, v8, v9, 0x3c93373d
	v_fmaak_f32 v10, v8, v10, 0xbc28fcfe
	;; [unrolled: 3-line block ×3, first 2 shown]
	s_delay_alu instid0(VALU_DEP_1) | instskip(SKIP_1) | instid1(VALU_DEP_1)
	v_fmac_f32_e32 v9, v6, v10
	v_fmaak_f32 v11, s4, v8, 0xbab7f476
	v_fmaak_f32 v11, v8, v11, 0x3bc7e707
	s_delay_alu instid0(VALU_DEP_1) | instskip(NEXT) | instid1(VALU_DEP_1)
	v_fmaak_f32 v11, v8, v11, 0xbd064d47
	v_fmaak_f32 v6, v8, v11, 0x3ef7b95e
	v_fma_f32 v8, v8, -v9, 0xa2863e55
	s_delay_alu instid0(VALU_DEP_1) | instskip(NEXT) | instid1(VALU_DEP_1)
	v_fma_f32 v6, v7, v6, -v8
	v_add_f32_e32 v6, 0xbdf8cdce, v6
	s_delay_alu instid0(VALU_DEP_1)
	v_add_f32_e32 v4, v4, v6
.LBB15_25:
	s_or_b32 exec_lo, exec_lo, s3
                                        ; implicit-def: $vgpr7
                                        ; implicit-def: $vgpr6
.LBB15_26:
	s_and_not1_saveexec_b32 s0, s0
	s_cbranch_execz .LBB15_30
; %bb.27:
	s_mov_b32 s3, exec_lo
	v_cmpx_eq_u32_e32 0, v7
	s_cbranch_execz .LBB15_29
; %bb.28:
	v_mul_f32_e32 v7, v6, v6
	s_mov_b32 s4, 0x383c2c75
	s_delay_alu instid0(VALU_DEP_1) | instid1(SALU_CYCLE_1)
	v_fmaak_f32 v8, s4, v7, 0x38e28445
	s_mov_b32 s4, 0x37d383a2
	s_delay_alu instid0(SALU_CYCLE_1) | instskip(NEXT) | instid1(VALU_DEP_2)
	v_fmaak_f32 v9, s4, v7, 0x39679767
	v_fmaak_f32 v8, v7, v8, 0x3a05b634
	s_delay_alu instid0(VALU_DEP_2) | instskip(NEXT) | instid1(VALU_DEP_2)
	v_fmaak_f32 v9, v7, v9, 0x3a9c54a1
	v_fmaak_f32 v8, v7, v8, 0x3b3d6ec6
	s_delay_alu instid0(VALU_DEP_2) | instskip(NEXT) | instid1(VALU_DEP_2)
	v_fmaak_f32 v9, v7, v9, 0x3bf2027e
	v_fmaak_f32 v8, v7, v8, 0x3ca89915
	s_delay_alu instid0(VALU_DEP_2) | instskip(NEXT) | instid1(VALU_DEP_2)
	v_fmaak_f32 v9, v7, v9, 0x3d89f001
	v_fmaak_f32 v8, v7, v8, 0x3ea51a66
	s_delay_alu instid0(VALU_DEP_2) | instskip(NEXT) | instid1(VALU_DEP_2)
	v_fmaak_f32 v9, v7, v9, 0x3d9e233f
	v_mul_f32_e32 v7, v7, v8
	s_delay_alu instid0(VALU_DEP_1) | instskip(NEXT) | instid1(VALU_DEP_1)
	v_fmac_f32_e32 v7, v6, v9
	v_fmac_f32_e32 v7, -0.5, v6
	s_delay_alu instid0(VALU_DEP_1)
	v_add_f32_e32 v4, v4, v7
.LBB15_29:
	s_or_b32 exec_lo, exec_lo, s3
.LBB15_30:
	s_delay_alu instid0(SALU_CYCLE_1)
	s_or_b32 exec_lo, exec_lo, s0
.LBB15_31:
	s_delay_alu instid0(SALU_CYCLE_1)
	s_or_b32 exec_lo, exec_lo, s2
.LBB15_32:
	s_and_not1_saveexec_b32 s0, s1
	s_cbranch_execz .LBB15_34
; %bb.33:
	v_cmp_gt_f32_e64 s1, 0x800000, |v3|
	s_mov_b32 s2, 0x3e8a8991
	s_delay_alu instid0(SALU_CYCLE_1) | instskip(SKIP_1) | instid1(VALU_DEP_1)
	v_fma_f32 v8, |v3|, s2, 0xbecd26ab
	v_cndmask_b32_e64 v4, 0, 32, s1
	v_ldexp_f32 v4, |v3|, v4
	s_delay_alu instid0(VALU_DEP_1) | instskip(SKIP_1) | instid1(TRANS32_DEP_1)
	v_log_f32_e32 v4, v4
	v_nop
	v_mul_f32_e32 v6, 0x3f317217, v4
	v_cmp_gt_f32_e64 vcc_lo, 0x7f800000, |v4|
	s_delay_alu instid0(VALU_DEP_2) | instskip(NEXT) | instid1(VALU_DEP_1)
	v_fma_f32 v7, 0x3f317217, v4, -v6
	v_fmamk_f32 v7, v4, 0x3377d1cf, v7
	s_delay_alu instid0(VALU_DEP_1) | instskip(SKIP_1) | instid1(VALU_DEP_2)
	v_add_f32_e32 v6, v6, v7
	v_fma_f32 v7, |v3|, v8, 0x3f528d33
	v_cndmask_b32_e32 v4, v4, v6, vcc_lo
	v_cndmask_b32_e64 v6, 0, 0x41b17218, s1
	s_delay_alu instid0(VALU_DEP_3) | instskip(NEXT) | instid1(VALU_DEP_2)
	v_fma_f32 v7, |v3|, v7, 0xbf13c468
	v_sub_f32_e32 v4, v4, v6
	s_delay_alu instid0(VALU_DEP_1)
	v_fma_f32 v4, |v3|, v7, -v4
.LBB15_34:
	s_or_b32 exec_lo, exec_lo, s0
	v_cmp_le_f32_e32 vcc_lo, 0, v3
	s_mov_b32 s1, exec_lo
	v_cmpx_nle_f32_e32 0, v3
	s_xor_b32 s2, exec_lo, s1
	s_cbranch_execz .LBB15_38
; %bb.35:
	v_cmp_gt_f32_e64 s0, 0x4b000000, |v3|
	v_cmp_lt_f32_e64 s1, 0x35000000, |v3|
	s_and_b32 s0, s0, s1
	s_delay_alu instid0(SALU_CYCLE_1)
	s_and_saveexec_b32 s3, s0
	s_cbranch_execz .LBB15_37
; %bb.36:
	v_mul_f32_e64 v6, |v3|, 0.5
	s_mov_b32 s1, 0x3d4be544
	v_xor_b32_e32 v5, v5, v3
	s_delay_alu instid0(VALU_DEP_2) | instskip(SKIP_1) | instid1(VALU_DEP_2)
	v_floor_f32_e32 v7, v6
	v_cmp_neq_f32_e64 s0, 0x7f800000, v6
	v_sub_f32_e32 v7, v6, v7
	s_delay_alu instid0(VALU_DEP_1) | instskip(NEXT) | instid1(VALU_DEP_1)
	v_min_num_f32_e32 v7, 0x3f7fffff, v7
	v_add_f32_e32 v7, v7, v7
	s_delay_alu instid0(VALU_DEP_1) | instskip(SKIP_1) | instid1(VALU_DEP_1)
	v_cndmask_b32_e64 v6, 0, v7, s0
	v_cmp_gt_f32_e64 s0, |v3|, 1.0
	v_cndmask_b32_e64 v6, |v3|, v6, s0
	s_mov_b32 s0, 0x3e75aa41
	s_delay_alu instid0(VALU_DEP_1) | instskip(NEXT) | instid1(VALU_DEP_1)
	v_add_f32_e32 v7, v6, v6
	v_rndne_f32_e32 v7, v7
	s_delay_alu instid0(VALU_DEP_1) | instskip(SKIP_1) | instid1(VALU_DEP_2)
	v_fmac_f32_e32 v6, -0.5, v7
	v_cvt_i32_f32_e32 v7, v7
	v_mul_f32_e32 v8, v6, v6
	s_delay_alu instid0(VALU_DEP_1) | instskip(SKIP_1) | instid1(VALU_DEP_2)
	v_fmaak_f32 v9, s0, v8, 0xbf1f24be
	v_dual_fmaak_f32 v10, s1, v8, 0x3e642e9d :: v_dual_mul_f32 v11, v6, v8
	v_fmaak_f32 v9, v8, v9, 0x40234736
	s_delay_alu instid0(VALU_DEP_2) | instskip(NEXT) | instid1(VALU_DEP_2)
	v_fmaak_f32 v10, v8, v10, 0xbfaad1da
	v_fmaak_f32 v9, v8, v9, 0xc0a55e0e
	s_delay_alu instid0(VALU_DEP_1) | instskip(NEXT) | instid1(VALU_DEP_1)
	v_mul_f32_e32 v9, v11, v9
	v_fmamk_f32 v6, v6, 0x40490fdb, v9
	v_dual_lshlrev_b32 v7, 30, v7 :: v_dual_bitop2_b32 v11, 1, v7 bitop3:0x40
	v_fmaak_f32 v10, v8, v10, 0x4081e0d3
	s_delay_alu instid0(VALU_DEP_2) | instskip(NEXT) | instid1(VALU_DEP_3)
	v_cmp_eq_u32_e64 s0, 0, v11
	v_and_b32_e32 v7, 0x80000000, v7
	s_delay_alu instid0(VALU_DEP_3) | instskip(NEXT) | instid1(VALU_DEP_1)
	v_fmaak_f32 v10, v8, v10, 0xc09de9e6
	v_fma_f32 v8, v8, v10, 1.0
	s_delay_alu instid0(VALU_DEP_1) | instskip(NEXT) | instid1(VALU_DEP_1)
	v_cndmask_b32_e64 v6, v8, v6, s0
	v_xor3_b32 v5, v5, v7, v6
	s_delay_alu instid0(VALU_DEP_1) | instskip(NEXT) | instid1(VALU_DEP_1)
	v_mul_f32_e32 v5, v3, v5
	v_frexp_mant_f32_e64 v6, |v5|
	v_frexp_exp_i32_f32_e32 v5, v5
	s_delay_alu instid0(VALU_DEP_2) | instskip(SKIP_1) | instid1(TRANS32_DEP_1)
	v_rcp_f32_e32 v6, v6
	v_nop
	v_dual_mul_f32 v6, 0x3f490fdb, v6 :: v_dual_sub_nc_u32 v5, 2, v5
	s_delay_alu instid0(VALU_DEP_1) | instskip(NEXT) | instid1(VALU_DEP_1)
	v_ldexp_f32 v5, v6, v5
	v_cmp_gt_f32_e64 s0, 0x800000, v5
	s_delay_alu instid0(VALU_DEP_1) | instskip(NEXT) | instid1(VALU_DEP_1)
	v_cndmask_b32_e64 v6, 0, 32, s0
	v_ldexp_f32 v5, v5, v6
	s_delay_alu instid0(VALU_DEP_1) | instskip(SKIP_1) | instid1(TRANS32_DEP_1)
	v_log_f32_e32 v5, v5
	v_nop
	v_mul_f32_e32 v6, 0x3f317217, v5
	v_cmp_gt_f32_e64 s1, 0x7f800000, |v5|
	s_delay_alu instid0(VALU_DEP_2) | instskip(NEXT) | instid1(VALU_DEP_1)
	v_fma_f32 v7, 0x3f317217, v5, -v6
	v_fmamk_f32 v7, v5, 0x3377d1cf, v7
	s_delay_alu instid0(VALU_DEP_1) | instskip(SKIP_1) | instid1(VALU_DEP_2)
	v_add_f32_e32 v6, v6, v7
	v_floor_f32_e32 v7, v3
	v_cndmask_b32_e64 v5, v5, v6, s1
	v_cndmask_b32_e64 v6, 0, 0x41b17218, s0
	s_delay_alu instid0(VALU_DEP_1) | instskip(NEXT) | instid1(VALU_DEP_1)
	v_dual_sub_f32 v7, v3, v7 :: v_dual_sub_f32 v5, v5, v6
	v_min_num_f32_e32 v6, 0x3f7fffff, v7
	s_delay_alu instid0(VALU_DEP_2) | instskip(NEXT) | instid1(VALU_DEP_2)
	v_sub_f32_e32 v4, v5, v4
	v_cmp_neq_f32_e64 s0, 0, v6
	s_delay_alu instid0(VALU_DEP_1)
	v_cndmask_b32_e64 v4, 0x7f800000, v4, s0
.LBB15_37:
	s_or_b32 exec_lo, exec_lo, s3
.LBB15_38:
	s_and_not1_saveexec_b32 s2, s2
; %bb.39:
	v_cmp_eq_f32_e64 s0, 1.0, v3
	v_cmp_eq_f32_e64 s1, 2.0, v3
	s_or_b32 s0, s0, s1
	s_delay_alu instid0(SALU_CYCLE_1)
	v_cndmask_b32_e64 v4, v4, 0, s0
; %bb.40:
	s_or_b32 exec_lo, exec_lo, s2
	v_and_b32_e32 v5, 0x7fffffff, v0
                                        ; implicit-def: $vgpr6
	s_mov_b32 s1, exec_lo
	v_cmpx_ngt_f32_e64 0x3c800000, |v0|
	s_xor_b32 s2, exec_lo, s1
	s_cbranch_execz .LBB15_70
; %bb.41:
                                        ; implicit-def: $vgpr6
	s_mov_b32 s1, exec_lo
	v_cmpx_nlt_f32_e64 |v0|, 2.0
	s_xor_b32 s3, exec_lo, s1
	s_cbranch_execz .LBB15_51
; %bb.42:
	s_mov_b32 s1, exec_lo
                                        ; implicit-def: $vgpr6
	v_cmpx_ngt_f32_e64 0x41000000, |v0|
	s_xor_b32 s1, exec_lo, s1
	s_cbranch_execz .LBB15_48
; %bb.43:
	s_mov_b32 s4, exec_lo
                                        ; implicit-def: $vgpr6
	v_cmpx_ngt_f32_e64 0x5c800000, |v0|
	s_xor_b32 s4, exec_lo, s4
	s_cbranch_execz .LBB15_45
; %bb.44:
	v_cmp_gt_f32_e64 s5, 0x800000, |v0|
	s_delay_alu instid0(VALU_DEP_1) | instskip(NEXT) | instid1(VALU_DEP_1)
	v_cndmask_b32_e64 v6, 0, 32, s5
	v_ldexp_f32 v6, |v0|, v6
	s_delay_alu instid0(VALU_DEP_1) | instskip(SKIP_1) | instid1(TRANS32_DEP_1)
	v_log_f32_e32 v6, v6
	v_nop
	v_mul_f32_e32 v7, 0x3f317217, v6
	v_cmp_gt_f32_e64 s0, 0x7f800000, |v6|
	s_delay_alu instid0(VALU_DEP_2) | instskip(NEXT) | instid1(VALU_DEP_1)
	v_fma_f32 v8, 0x3f317217, v6, -v7
	v_fmamk_f32 v8, v6, 0x3377d1cf, v8
	s_delay_alu instid0(VALU_DEP_1) | instskip(NEXT) | instid1(VALU_DEP_1)
	v_add_f32_e32 v7, v7, v8
	v_cndmask_b32_e64 v6, v6, v7, s0
	v_cndmask_b32_e64 v7, 0, 0x41b17218, s5
	s_delay_alu instid0(VALU_DEP_1) | instskip(NEXT) | instid1(VALU_DEP_1)
	v_sub_f32_e32 v6, v6, v7
	v_fma_f32 v6, |v0|, v6, -|v0|
.LBB15_45:
	s_and_not1_saveexec_b32 s4, s4
	s_cbranch_execz .LBB15_47
; %bb.46:
	v_cmp_gt_f32_e64 s5, 0x800000, |v0|
	v_rcp_f32_e64 v7, |v0|
	s_mov_b32 s0, 0xbad5c4e8
	v_cndmask_b32_e64 v6, 0, 32, s5
	s_delay_alu instid0(VALU_DEP_1) | instskip(NEXT) | instid1(VALU_DEP_1)
	v_ldexp_f32 v6, |v0|, v6
	v_log_f32_e32 v6, v6
	v_nop
	s_delay_alu instid0(TRANS32_DEP_1) | instskip(NEXT) | instid1(VALU_DEP_1)
	v_dual_mul_f32 v8, v7, v7 :: v_dual_mul_f32 v9, 0x3f317217, v6
	v_fma_f32 v11, 0x3f317217, v6, -v9
	s_delay_alu instid0(VALU_DEP_1) | instskip(NEXT) | instid1(VALU_DEP_3)
	v_fmamk_f32 v11, v6, 0x3377d1cf, v11
	v_fmaak_f32 v10, s0, v8, 0x3a5b3dd2
	v_cmp_gt_f32_e64 s0, 0x7f800000, |v6|
	s_delay_alu instid0(VALU_DEP_3) | instskip(NEXT) | instid1(VALU_DEP_1)
	v_add_f32_e32 v9, v9, v11
	v_cndmask_b32_e64 v6, v6, v9, s0
	v_cndmask_b32_e64 v9, 0, 0x41b17218, s5
	s_delay_alu instid0(VALU_DEP_1) | instskip(NEXT) | instid1(VALU_DEP_1)
	v_dual_fmaak_f32 v10, v8, v10, 0xba1c065c :: v_dual_sub_f32 v9, v6, v9
	v_fmaak_f32 v10, v8, v10, 0x3a500cfd
	s_delay_alu instid0(VALU_DEP_1) | instskip(NEXT) | instid1(VALU_DEP_1)
	v_fmaak_f32 v10, v8, v10, 0xbb360b61
	v_fmaak_f32 v8, v8, v10, 0x3daaaaab
	s_delay_alu instid0(VALU_DEP_1) | instskip(SKIP_2) | instid1(VALU_DEP_1)
	v_fmaak_f32 v6, v7, v8, 0x3ed67f1d
	v_add_f32_e64 v7, |v0|, -0.5
	v_add_f32_e32 v8, -1.0, v9
	v_fmac_f32_e32 v6, v7, v8
.LBB15_47:
	s_or_b32 exec_lo, exec_lo, s4
.LBB15_48:
	s_and_not1_saveexec_b32 s4, s1
	s_cbranch_execz .LBB15_50
; %bb.49:
	v_cvt_i32_f32_e32 v9, v5
	v_mov_b64_e32 v[6:7], 0x4040000040000000
	s_mov_b32 s1, 0x3805ff67
	s_delay_alu instid0(VALU_DEP_2) | instskip(SKIP_1) | instid1(VALU_DEP_2)
	v_cvt_f32_i32_e32 v8, v9
	v_cmp_lt_i32_e64 s0, 3, v9
	v_sub_f32_e64 v8, |v0|, v8
	s_delay_alu instid0(VALU_DEP_1) | instskip(NEXT) | instid1(VALU_DEP_1)
	v_pk_add_f32 v[6:7], v[8:9], v[6:7] op_sel_hi:[0,1]
	v_dual_add_f32 v10, 4.0, v8 :: v_dual_cndmask_b32 v7, 1.0, v7, s0
	v_cmp_lt_i32_e64 s0, 2, v9
	v_add_f32_e32 v11, 0x40a00000, v8
	s_delay_alu instid0(VALU_DEP_2) | instskip(SKIP_1) | instid1(VALU_DEP_1)
	v_cndmask_b32_e64 v6, 1.0, v6, s0
	v_cmp_lt_i32_e64 s0, 4, v9
	v_cndmask_b32_e64 v10, 1.0, v10, s0
	v_cmp_lt_i32_e64 s0, 5, v9
	s_delay_alu instid0(VALU_DEP_1) | instskip(SKIP_2) | instid1(VALU_DEP_1)
	v_cndmask_b32_e64 v11, 1.0, v11, s0
	v_dual_mul_f32 v6, v6, v7 :: v_dual_add_f32 v7, 0x40c00000, v8
	v_cmp_lt_i32_e64 s0, 6, v9
	v_dual_cndmask_b32 v7, 1.0, v7, s0 :: v_dual_mul_f32 v6, v10, v6
	s_mov_b32 s0, 0x36f5d7bd
	v_fmaak_f32 v10, s1, v8, 0x3af135b4
	s_delay_alu instid0(VALU_DEP_2) | instskip(NEXT) | instid1(VALU_DEP_1)
	v_mul_f32_e32 v6, v11, v6
	v_dual_mul_f32 v6, v7, v6 :: v_dual_fmaak_f32 v7, s0, v8, 0x3a4beed6
	s_delay_alu instid0(VALU_DEP_1) | instskip(NEXT) | instid1(VALU_DEP_2)
	v_fmaak_f32 v7, v8, v7, 0x3c98bf54
	v_cmp_gt_f32_e64 s0, 0x800000, v6
	s_delay_alu instid0(VALU_DEP_1) | instskip(NEXT) | instid1(VALU_DEP_1)
	v_cndmask_b32_e64 v9, 0, 32, s0
	v_ldexp_f32 v6, v6, v9
	v_fmaak_f32 v9, v8, v10, 0x3cda40e4
	s_delay_alu instid0(VALU_DEP_2) | instskip(SKIP_1) | instid1(TRANS32_DEP_1)
	v_log_f32_e32 v6, v6
	v_nop
	v_mul_f32_e32 v10, 0x3f317217, v6
	v_cmp_gt_f32_e64 s1, 0x7f800000, |v6|
	s_delay_alu instid0(VALU_DEP_2) | instskip(NEXT) | instid1(VALU_DEP_1)
	v_fma_f32 v11, 0x3f317217, v6, -v10
	v_fmamk_f32 v11, v6, 0x3377d1cf, v11
	s_delay_alu instid0(VALU_DEP_1) | instskip(NEXT) | instid1(VALU_DEP_1)
	v_dual_add_f32 v10, v10, v11 :: v_dual_fmaak_f32 v9, v8, v9, 0x3e15dce6
	v_cndmask_b32_e64 v6, v6, v10, s1
	v_fmaak_f32 v7, v8, v7, 0x3e300f6e
	s_delay_alu instid0(VALU_DEP_3) | instskip(NEXT) | instid1(VALU_DEP_2)
	v_fmaak_f32 v9, v8, v9, 0x3ea6cc7a
	v_fmaak_f32 v7, v8, v7, 0x3f38d0c5
	s_delay_alu instid0(VALU_DEP_2) | instskip(NEXT) | instid1(VALU_DEP_2)
	v_fmaak_f32 v9, v8, v9, 0x3e5c245a
	v_fmaak_f32 v7, v8, v7, 0x3fb22d3b
	s_delay_alu instid0(VALU_DEP_2) | instskip(NEXT) | instid1(VALU_DEP_2)
	v_fmaak_f32 v9, v8, v9, 0xbd9e233f
	v_fma_f32 v7, v8, v7, 1.0
	s_delay_alu instid0(VALU_DEP_2) | instskip(NEXT) | instid1(VALU_DEP_2)
	v_mul_f32_e32 v9, v8, v9
	v_rcp_f32_e32 v7, v7
	v_nop
	s_delay_alu instid0(TRANS32_DEP_1) | instskip(SKIP_1) | instid1(VALU_DEP_1)
	v_mul_f32_e32 v7, v9, v7
	v_cndmask_b32_e64 v9, 0, 0x41b17218, s0
	v_dual_fmac_f32 v7, 0.5, v8 :: v_dual_sub_f32 v6, v6, v9
	s_delay_alu instid0(VALU_DEP_1)
	v_add_f32_e32 v6, v6, v7
.LBB15_50:
	s_or_b32 exec_lo, exec_lo, s4
.LBB15_51:
	s_and_not1_saveexec_b32 s3, s3
	s_cbranch_execz .LBB15_69
; %bb.52:
                                        ; implicit-def: $vgpr6
                                        ; implicit-def: $vgpr8
                                        ; implicit-def: $vgpr7
	s_mov_b32 s1, exec_lo
	v_cmpx_ge_f32_e64 0x3f666666, |v0|
	s_xor_b32 s4, exec_lo, s1
	s_cbranch_execz .LBB15_54
; %bb.53:
	v_cmp_gt_f32_e64 s1, 0x800000, |v0|
	v_sub_f32_e64 v9, 1.0, |v0|
	v_cmp_gt_f32_e64 s0, 0x3f3b4a23, |v0|
	s_delay_alu instid0(VALU_DEP_3) | instskip(SKIP_1) | instid1(VALU_DEP_2)
	v_cndmask_b32_e64 v6, 0, 32, s1
	v_cndmask_b32_e64 v10, 0, 0x41b17218, s1
	v_ldexp_f32 v6, |v0|, v6
	s_delay_alu instid0(VALU_DEP_1) | instskip(SKIP_1) | instid1(TRANS32_DEP_1)
	v_log_f32_e32 v6, v6
	v_nop
	v_mul_f32_e32 v7, 0x3f317217, v6
	v_cmp_gt_f32_e64 s1, 0x7f800000, |v6|
	s_delay_alu instid0(VALU_DEP_2) | instskip(NEXT) | instid1(VALU_DEP_1)
	v_fma_f32 v8, 0x3f317217, v6, -v7
	v_fmamk_f32 v8, v6, 0x3377d1cf, v8
	s_delay_alu instid0(VALU_DEP_1) | instskip(SKIP_1) | instid1(VALU_DEP_1)
	v_add_f32_e32 v7, v7, v8
	v_add_f32_e64 v8, 0xbeec5b0c, |v0|
	v_dual_cndmask_b32 v6, v6, v7, s1 :: v_dual_cndmask_b32 v7, v9, v8, s0
	v_cndmask_b32_e64 v8, 0, 1, s0
	v_cmp_gt_f32_e64 s0, 0x3e6d3309, |v0|
	s_delay_alu instid0(VALU_DEP_3) | instskip(NEXT) | instid1(VALU_DEP_2)
	v_sub_f32_e32 v6, v6, v10
	v_cndmask_b32_e64 v7, v7, |v0|, s0
	s_delay_alu instid0(VALU_DEP_4) | instskip(NEXT) | instid1(VALU_DEP_3)
	v_cndmask_b32_e64 v8, v8, 2, s0
	v_xor_b32_e32 v6, 0x80000000, v6
.LBB15_54:
	s_and_not1_saveexec_b32 s1, s4
	s_cbranch_execz .LBB15_56
; %bb.55:
	v_sub_f32_e64 v6, 2.0, |v0|
	v_add_f32_e64 v7, 0xbfbb16c3, |v0|
	v_cmp_gt_f32_e64 s0, 0x3fdda512, |v0|
	v_add_f32_e64 v8, |v0|, -1.0
	s_delay_alu instid0(VALU_DEP_2) | instskip(SKIP_2) | instid1(VALU_DEP_2)
	v_cndmask_b32_e64 v7, v6, v7, s0
	v_cndmask_b32_e64 v6, v6, 1.0, s0
	v_cmp_gt_f32_e64 s0, 0x3f9d70a4, |v0|
	v_cvt_i32_f32_e32 v6, v6
	s_delay_alu instid0(VALU_DEP_2) | instskip(NEXT) | instid1(VALU_DEP_2)
	v_cndmask_b32_e64 v7, v7, v8, s0
	v_cndmask_b32_e64 v8, v6, 2, s0
	v_mov_b32_e32 v6, 0
.LBB15_56:
	s_or_b32 exec_lo, exec_lo, s1
	s_delay_alu instid0(SALU_CYCLE_1) | instskip(NEXT) | instid1(VALU_DEP_2)
	s_mov_b32 s1, exec_lo
	v_cmpx_lt_i32_e32 0, v8
	s_xor_b32 s1, exec_lo, s1
	s_cbranch_execz .LBB15_64
; %bb.57:
	s_mov_b32 s4, exec_lo
	v_cmpx_lt_i32_e32 1, v8
	s_xor_b32 s4, exec_lo, s4
	s_cbranch_execz .LBB15_61
; %bb.58:
	s_mov_b32 s5, exec_lo
	v_cmpx_eq_u32_e32 2, v8
	s_cbranch_execz .LBB15_60
; %bb.59:
	s_mov_b32 s6, 0x3c5b3c5e
	s_mov_b32 s0, 0x3b52d5db
	v_fmaak_f32 v9, s6, v7, 0x3e6a7578
	s_delay_alu instid0(VALU_DEP_1) | instskip(NEXT) | instid1(VALU_DEP_1)
	v_fmaak_f32 v9, v7, v9, 0x3f7a4bb2
	v_fmaak_f32 v9, v7, v9, 0x3fba3ae7
	s_delay_alu instid0(VALU_DEP_1) | instskip(NEXT) | instid1(VALU_DEP_1)
	v_fmaak_f32 v9, v7, v9, 0x3f2200f4
	v_fmaak_f32 v9, v7, v9, 0xbd9e233f
	s_delay_alu instid0(VALU_DEP_1) | instskip(NEXT) | instid1(VALU_DEP_1)
	v_dual_fmaak_f32 v8, s0, v7, 0x3dd572af :: v_dual_mul_f32 v9, v7, v9
	v_fmaak_f32 v8, v7, v8, 0x3f44efdf
	s_delay_alu instid0(VALU_DEP_1) | instskip(NEXT) | instid1(VALU_DEP_1)
	v_fmaak_f32 v8, v7, v8, 0x4008392d
	v_fmaak_f32 v8, v7, v8, 0x401d2ebe
	s_delay_alu instid0(VALU_DEP_1) | instskip(NEXT) | instid1(VALU_DEP_1)
	v_fma_f32 v8, v7, v8, 1.0
	v_rcp_f32_e32 v8, v8
	v_nop
	s_delay_alu instid0(TRANS32_DEP_1) | instskip(NEXT) | instid1(VALU_DEP_1)
	v_mul_f32_e32 v8, v9, v8
	v_fmac_f32_e32 v8, -0.5, v7
	s_delay_alu instid0(VALU_DEP_1)
	v_add_f32_e32 v6, v6, v8
.LBB15_60:
	s_or_b32 exec_lo, exec_lo, s5
                                        ; implicit-def: $vgpr7
.LBB15_61:
	s_and_not1_saveexec_b32 s0, s4
	s_cbranch_execz .LBB15_63
; %bb.62:
	s_mov_b32 s5, 0x39afe9f7
	v_mul_f32_e32 v8, v7, v7
	s_mov_b32 s4, 0xb9a3f927
	s_delay_alu instid0(VALU_DEP_1) | instskip(NEXT) | instid1(VALU_DEP_1)
	v_mul_f32_e32 v9, v7, v8
	v_fmaak_f32 v10, s4, v9, 0x3a66f867
	v_fmaak_f32 v11, s5, v9, 0xba0d3085
	s_mov_b32 s4, 0x39a57b6b
	s_delay_alu instid0(VALU_DEP_2) | instskip(NEXT) | instid1(VALU_DEP_2)
	v_fmaak_f32 v10, v9, v10, 0xbb7177fe
	v_fmaak_f32 v11, v9, v11, 0x3b141699
	s_delay_alu instid0(VALU_DEP_2) | instskip(NEXT) | instid1(VALU_DEP_2)
	v_fmaak_f32 v10, v9, v10, 0x3c93373d
	v_fmaak_f32 v11, v9, v11, 0xbc28fcfe
	;; [unrolled: 3-line block ×3, first 2 shown]
	s_delay_alu instid0(VALU_DEP_1) | instskip(SKIP_1) | instid1(VALU_DEP_1)
	v_fmac_f32_e32 v10, v7, v11
	v_fmaak_f32 v12, s4, v9, 0xbab7f476
	v_fmaak_f32 v12, v9, v12, 0x3bc7e707
	s_delay_alu instid0(VALU_DEP_1) | instskip(NEXT) | instid1(VALU_DEP_1)
	v_fmaak_f32 v12, v9, v12, 0xbd064d47
	v_fmaak_f32 v7, v9, v12, 0x3ef7b95e
	v_fma_f32 v9, v9, -v10, 0xa2863e55
	s_delay_alu instid0(VALU_DEP_1) | instskip(NEXT) | instid1(VALU_DEP_1)
	v_fma_f32 v7, v8, v7, -v9
	v_add_f32_e32 v7, 0xbdf8cdce, v7
	s_delay_alu instid0(VALU_DEP_1)
	v_add_f32_e32 v6, v6, v7
.LBB15_63:
	s_or_b32 exec_lo, exec_lo, s0
                                        ; implicit-def: $vgpr8
                                        ; implicit-def: $vgpr7
.LBB15_64:
	s_and_not1_saveexec_b32 s1, s1
	s_cbranch_execz .LBB15_68
; %bb.65:
	s_mov_b32 s4, exec_lo
	v_cmpx_eq_u32_e32 0, v8
	s_cbranch_execz .LBB15_67
; %bb.66:
	v_mul_f32_e32 v8, v7, v7
	s_mov_b32 s0, 0x383c2c75
	s_delay_alu instid0(VALU_DEP_1) | instid1(SALU_CYCLE_1)
	v_fmaak_f32 v9, s0, v8, 0x38e28445
	s_mov_b32 s0, 0x37d383a2
	s_delay_alu instid0(SALU_CYCLE_1) | instskip(NEXT) | instid1(VALU_DEP_2)
	v_fmaak_f32 v10, s0, v8, 0x39679767
	v_fmaak_f32 v9, v8, v9, 0x3a05b634
	s_delay_alu instid0(VALU_DEP_2) | instskip(NEXT) | instid1(VALU_DEP_2)
	v_fmaak_f32 v10, v8, v10, 0x3a9c54a1
	v_fmaak_f32 v9, v8, v9, 0x3b3d6ec6
	s_delay_alu instid0(VALU_DEP_2) | instskip(NEXT) | instid1(VALU_DEP_2)
	;; [unrolled: 3-line block ×4, first 2 shown]
	v_fmaak_f32 v10, v8, v10, 0x3d9e233f
	v_mul_f32_e32 v8, v8, v9
	s_delay_alu instid0(VALU_DEP_1) | instskip(NEXT) | instid1(VALU_DEP_1)
	v_fmac_f32_e32 v8, v7, v10
	v_fmac_f32_e32 v8, -0.5, v7
	s_delay_alu instid0(VALU_DEP_1)
	v_add_f32_e32 v6, v6, v8
.LBB15_67:
	s_or_b32 exec_lo, exec_lo, s4
.LBB15_68:
	s_delay_alu instid0(SALU_CYCLE_1)
	s_or_b32 exec_lo, exec_lo, s1
.LBB15_69:
	s_delay_alu instid0(SALU_CYCLE_1)
	s_or_b32 exec_lo, exec_lo, s3
.LBB15_70:
	s_and_not1_saveexec_b32 s1, s2
	s_cbranch_execz .LBB15_72
; %bb.71:
	v_cmp_gt_f32_e64 s2, 0x800000, |v0|
	s_mov_b32 s0, 0x3e8a8991
	s_delay_alu instid0(SALU_CYCLE_1) | instskip(SKIP_1) | instid1(VALU_DEP_1)
	v_fma_f32 v9, |v0|, s0, 0xbecd26ab
	v_cndmask_b32_e64 v6, 0, 32, s2
	v_ldexp_f32 v6, |v0|, v6
	s_delay_alu instid0(VALU_DEP_1) | instskip(SKIP_1) | instid1(TRANS32_DEP_1)
	v_log_f32_e32 v6, v6
	v_nop
	v_mul_f32_e32 v7, 0x3f317217, v6
	v_cmp_gt_f32_e64 s0, 0x7f800000, |v6|
	s_delay_alu instid0(VALU_DEP_2) | instskip(NEXT) | instid1(VALU_DEP_1)
	v_fma_f32 v8, 0x3f317217, v6, -v7
	v_fmamk_f32 v8, v6, 0x3377d1cf, v8
	s_delay_alu instid0(VALU_DEP_1) | instskip(SKIP_1) | instid1(VALU_DEP_2)
	v_add_f32_e32 v7, v7, v8
	v_fma_f32 v8, |v0|, v9, 0x3f528d33
	v_cndmask_b32_e64 v6, v6, v7, s0
	v_cndmask_b32_e64 v7, 0, 0x41b17218, s2
	s_delay_alu instid0(VALU_DEP_3) | instskip(NEXT) | instid1(VALU_DEP_2)
	v_fma_f32 v8, |v0|, v8, 0xbf13c468
	v_sub_f32_e32 v6, v6, v7
	s_delay_alu instid0(VALU_DEP_1)
	v_fma_f32 v6, |v0|, v8, -v6
.LBB15_72:
	s_or_b32 exec_lo, exec_lo, s1
	v_cmp_le_f32_e64 s0, 0, v0
	s_mov_b32 s2, exec_lo
	v_cmpx_nle_f32_e32 0, v0
	s_xor_b32 s3, exec_lo, s2
	s_cbranch_execz .LBB15_76
; %bb.73:
	v_cmp_gt_f32_e64 s1, 0x4b000000, |v0|
	v_cmp_lt_f32_e64 s2, 0x35000000, |v0|
	s_and_b32 s1, s1, s2
	s_delay_alu instid0(SALU_CYCLE_1)
	s_and_saveexec_b32 s4, s1
	s_cbranch_execz .LBB15_75
; %bb.74:
	v_mul_f32_e64 v7, |v0|, 0.5
	s_mov_b32 s2, 0x3d4be544
	v_xor_b32_e32 v5, v5, v0
	s_delay_alu instid0(VALU_DEP_2) | instskip(SKIP_1) | instid1(VALU_DEP_2)
	v_floor_f32_e32 v8, v7
	v_cmp_neq_f32_e64 s1, 0x7f800000, v7
	v_sub_f32_e32 v8, v7, v8
	s_delay_alu instid0(VALU_DEP_1) | instskip(NEXT) | instid1(VALU_DEP_1)
	v_min_num_f32_e32 v8, 0x3f7fffff, v8
	v_add_f32_e32 v8, v8, v8
	s_delay_alu instid0(VALU_DEP_1) | instskip(SKIP_1) | instid1(VALU_DEP_1)
	v_cndmask_b32_e64 v7, 0, v8, s1
	v_cmp_gt_f32_e64 s1, |v0|, 1.0
	v_cndmask_b32_e64 v7, |v0|, v7, s1
	s_mov_b32 s1, 0x3e75aa41
	s_delay_alu instid0(VALU_DEP_1) | instskip(NEXT) | instid1(VALU_DEP_1)
	v_add_f32_e32 v8, v7, v7
	v_rndne_f32_e32 v8, v8
	s_delay_alu instid0(VALU_DEP_1) | instskip(SKIP_1) | instid1(VALU_DEP_2)
	v_fmac_f32_e32 v7, -0.5, v8
	v_cvt_i32_f32_e32 v8, v8
	v_mul_f32_e32 v9, v7, v7
	s_delay_alu instid0(VALU_DEP_1) | instskip(SKIP_1) | instid1(VALU_DEP_2)
	v_fmaak_f32 v10, s1, v9, 0xbf1f24be
	v_dual_fmaak_f32 v11, s2, v9, 0x3e642e9d :: v_dual_mul_f32 v12, v7, v9
	v_fmaak_f32 v10, v9, v10, 0x40234736
	s_delay_alu instid0(VALU_DEP_2) | instskip(NEXT) | instid1(VALU_DEP_2)
	v_fmaak_f32 v11, v9, v11, 0xbfaad1da
	v_fmaak_f32 v10, v9, v10, 0xc0a55e0e
	s_delay_alu instid0(VALU_DEP_1) | instskip(NEXT) | instid1(VALU_DEP_1)
	v_mul_f32_e32 v10, v12, v10
	v_fmamk_f32 v7, v7, 0x40490fdb, v10
	v_dual_lshlrev_b32 v8, 30, v8 :: v_dual_bitop2_b32 v12, 1, v8 bitop3:0x40
	v_fmaak_f32 v11, v9, v11, 0x4081e0d3
	s_delay_alu instid0(VALU_DEP_2) | instskip(NEXT) | instid1(VALU_DEP_3)
	v_cmp_eq_u32_e64 s1, 0, v12
	v_and_b32_e32 v8, 0x80000000, v8
	s_delay_alu instid0(VALU_DEP_3) | instskip(NEXT) | instid1(VALU_DEP_1)
	v_fmaak_f32 v11, v9, v11, 0xc09de9e6
	v_fma_f32 v9, v9, v11, 1.0
	s_delay_alu instid0(VALU_DEP_1) | instskip(NEXT) | instid1(VALU_DEP_1)
	v_cndmask_b32_e64 v7, v9, v7, s1
	v_xor3_b32 v5, v5, v8, v7
	s_delay_alu instid0(VALU_DEP_1) | instskip(NEXT) | instid1(VALU_DEP_1)
	v_mul_f32_e32 v5, v0, v5
	v_frexp_mant_f32_e64 v7, |v5|
	v_frexp_exp_i32_f32_e32 v5, v5
	s_delay_alu instid0(VALU_DEP_2) | instskip(NEXT) | instid1(VALU_DEP_1)
	v_rcp_f32_e32 v7, v7
	v_sub_nc_u32_e32 v5, 2, v5
	s_delay_alu instid0(TRANS32_DEP_1) | instskip(NEXT) | instid1(VALU_DEP_1)
	v_mul_f32_e32 v7, 0x3f490fdb, v7
	v_ldexp_f32 v5, v7, v5
	s_delay_alu instid0(VALU_DEP_1) | instskip(NEXT) | instid1(VALU_DEP_1)
	v_cmp_gt_f32_e64 s1, 0x800000, v5
	v_cndmask_b32_e64 v7, 0, 32, s1
	s_delay_alu instid0(VALU_DEP_1) | instskip(NEXT) | instid1(VALU_DEP_1)
	v_ldexp_f32 v5, v5, v7
	v_log_f32_e32 v5, v5
	v_nop
	s_delay_alu instid0(TRANS32_DEP_1) | instskip(SKIP_1) | instid1(VALU_DEP_2)
	v_mul_f32_e32 v7, 0x3f317217, v5
	v_cmp_gt_f32_e64 s2, 0x7f800000, |v5|
	v_fma_f32 v8, 0x3f317217, v5, -v7
	s_delay_alu instid0(VALU_DEP_1) | instskip(NEXT) | instid1(VALU_DEP_1)
	v_fmamk_f32 v8, v5, 0x3377d1cf, v8
	v_add_f32_e32 v7, v7, v8
	v_floor_f32_e32 v8, v0
	s_delay_alu instid0(VALU_DEP_2) | instskip(SKIP_1) | instid1(VALU_DEP_1)
	v_cndmask_b32_e64 v5, v5, v7, s2
	v_cndmask_b32_e64 v7, 0, 0x41b17218, s1
	v_dual_sub_f32 v8, v0, v8 :: v_dual_sub_f32 v5, v5, v7
	s_delay_alu instid0(VALU_DEP_1) | instskip(NEXT) | instid1(VALU_DEP_2)
	v_min_num_f32_e32 v7, 0x3f7fffff, v8
	v_sub_f32_e32 v5, v5, v6
	s_delay_alu instid0(VALU_DEP_2) | instskip(NEXT) | instid1(VALU_DEP_1)
	v_cmp_neq_f32_e64 s1, 0, v7
	v_cndmask_b32_e64 v6, 0x7f800000, v5, s1
.LBB15_75:
	s_or_b32 exec_lo, exec_lo, s4
.LBB15_76:
	s_and_not1_saveexec_b32 s3, s3
; %bb.77:
	v_cmp_eq_f32_e64 s1, 1.0, v0
	v_cmp_eq_f32_e64 s2, 2.0, v0
	s_or_b32 s1, s1, s2
	s_delay_alu instid0(SALU_CYCLE_1)
	v_cndmask_b32_e64 v6, v6, 0, s1
; %bb.78:
	s_or_b32 exec_lo, exec_lo, s3
	v_cmp_gt_f32_e64 s1, 0x800000, v1
	v_cmp_gt_f32_e64 s2, 0x4b000000, |v3|
	s_delay_alu instid0(VALU_DEP_2)
	v_cndmask_b32_e64 v5, 0, 32, s1
	s_or_b32 vcc_lo, vcc_lo, s2
	v_cndmask_b32_e64 v7, 0, 0x41b17218, s1
	v_cndmask_b32_e32 v4, 0x7f800000, v4, vcc_lo
	v_cmp_class_f32_e64 s1, v3, 0x244
	v_ldexp_f32 v1, v1, v5
	s_delay_alu instid0(VALU_DEP_1) | instskip(SKIP_1) | instid1(TRANS32_DEP_1)
	v_log_f32_e32 v1, v1
	v_nop
	v_mul_f32_e32 v5, 0x3f317217, v1
	v_cmp_gt_f32_e64 vcc_lo, 0x7f800000, |v1|
	s_delay_alu instid0(VALU_DEP_2) | instskip(NEXT) | instid1(VALU_DEP_1)
	v_fma_f32 v5, 0x3f317217, v1, -v5
	v_fmamk_f32 v5, v1, 0x3377d1cf, v5
	s_delay_alu instid0(VALU_DEP_1) | instskip(NEXT) | instid1(VALU_DEP_1)
	v_fmac_f32_e32 v5, 0x3f317217, v1
	v_cndmask_b32_e32 v1, v1, v5, vcc_lo
	v_cmp_u_f32_e32 vcc_lo, v3, v3
	s_delay_alu instid0(VALU_DEP_2) | instskip(SKIP_2) | instid1(VALU_DEP_2)
	v_sub_f32_e32 v1, v1, v7
	v_cndmask_b32_e64 v4, v4, 0x7f800000, s1
	v_cmp_gt_f32_e64 s1, 0x4b000000, |v0|
	v_cndmask_b32_e32 v3, v4, v3, vcc_lo
	s_or_b32 vcc_lo, s0, s1
	s_mov_b32 s0, 0x395133b1
	v_cndmask_b32_e32 v6, 0x7f800000, v6, vcc_lo
	v_cmp_u_f32_e32 vcc_lo, v0, v0
	v_fma_f32 v3, v0, v1, -v3
	s_delay_alu instid0(VALU_DEP_1) | instskip(NEXT) | instid1(VALU_DEP_1)
	v_mul_f32_e32 v4, 0x3fb8aa3b, v3
	v_rndne_f32_e32 v4, v4
	s_delay_alu instid0(VALU_DEP_1) | instskip(NEXT) | instid1(VALU_DEP_1)
	v_fmamk_f32 v5, v4, 0xbf317218, v3
	v_fmamk_f32 v5, v4, 0x3102e308, v5
	s_delay_alu instid0(VALU_DEP_1) | instskip(SKIP_1) | instid1(VALU_DEP_2)
	v_fmaak_f32 v7, s0, v5, 0x3ab69700
	v_cmp_class_f32_e64 s0, v0, 0x264
	v_fmaak_f32 v7, v5, v7, 0x3c0887f9
	s_delay_alu instid0(VALU_DEP_2) | instskip(NEXT) | instid1(VALU_DEP_1)
	v_cndmask_b32_e64 v6, v6, 0x7f800000, s0
	v_cndmask_b32_e32 v6, v6, v0, vcc_lo
	v_cmp_eq_f32_e32 vcc_lo, 0x43000000, v4
	s_delay_alu instid0(VALU_DEP_4) | instskip(NEXT) | instid1(VALU_DEP_3)
	v_fmaak_f32 v7, v5, v7, 0x3d2aaa81
	v_fma_f32 v0, v0, v1, -v6
	v_cvt_i32_f32_e32 v1, v4
	s_delay_alu instid0(VALU_DEP_3) | instskip(NEXT) | instid1(VALU_DEP_3)
	v_fmaak_f32 v6, v5, v7, 0x3e2aaaab
	v_mul_f32_e32 v7, 0x3fb8aa3b, v0
	s_delay_alu instid0(VALU_DEP_3) | instskip(NEXT) | instid1(VALU_DEP_3)
	v_ldexp_f32 v1, 1.0, v1
	v_fma_f32 v6, v5, v6, 0.5
	s_delay_alu instid0(VALU_DEP_3) | instskip(SKIP_1) | instid1(VALU_DEP_4)
	v_fma_f32 v8, 0x3fb8aa3b, v0, -v7
	v_rndne_f32_e32 v9, v7
	v_cndmask_b32_e64 v1, v1, 0x7f000000, vcc_lo
	s_delay_alu instid0(VALU_DEP_4) | instskip(NEXT) | instid1(VALU_DEP_3)
	v_mul_f32_e32 v4, v5, v6
	v_dual_fmamk_f32 v6, v0, 0x32a5705f, v8 :: v_dual_sub_f32 v7, v7, v9
	s_delay_alu instid0(VALU_DEP_2) | instskip(NEXT) | instid1(VALU_DEP_1)
	v_dual_add_f32 v8, -1.0, v1 :: v_dual_fmac_f32 v5, v5, v4
	v_dual_add_f32 v4, v7, v6 :: v_dual_fmac_f32 v8, v1, v5
	v_cvt_i32_f32_e32 v5, v9
	s_delay_alu instid0(VALU_DEP_2) | instskip(SKIP_1) | instid1(VALU_DEP_3)
	v_exp_f32_e32 v1, v4
	v_nop
	v_add_f32_e32 v4, v8, v8
	s_delay_alu instid0(VALU_DEP_1) | instskip(SKIP_1) | instid1(TRANS32_DEP_1)
	v_cndmask_b32_e32 v4, v8, v4, vcc_lo
	v_cmp_nlt_f32_e32 vcc_lo, 0x42b17217, v3
	v_ldexp_f32 v1, v1, v5
	s_delay_alu instid0(VALU_DEP_3) | instskip(SKIP_1) | instid1(VALU_DEP_3)
	v_cndmask_b32_e64 v4, 0xff800000, -v4, vcc_lo
	v_cmp_ngt_f32_e32 vcc_lo, 0xc2ce8ed0, v0
	v_cndmask_b32_e32 v1, 0, v1, vcc_lo
	v_cmp_ngt_f32_e32 vcc_lo, 0xc1880000, v3
	s_delay_alu instid0(VALU_DEP_4) | instskip(SKIP_1) | instid1(VALU_DEP_4)
	v_cndmask_b32_e32 v3, 1.0, v4, vcc_lo
	v_cmp_nlt_f32_e32 vcc_lo, 0x42b17218, v0
	v_cndmask_b32_e32 v0, 0x7f800000, v1, vcc_lo
	s_delay_alu instid0(VALU_DEP_1)
	v_fma_f32 v0, -v2, v0, v3
	s_set_pc_i64 s[30:31]
.Lfunc_end15:
	.size	_ZN12_GLOBAL__N_120_igamc_helper_seriesIfEET_S1_S1_, .Lfunc_end15-_ZN12_GLOBAL__N_120_igamc_helper_seriesIfEET_S1_S1_
                                        ; -- End function
	.set .L_ZN12_GLOBAL__N_120_igamc_helper_seriesIfEET_S1_S1_.num_vgpr, 13
	.set .L_ZN12_GLOBAL__N_120_igamc_helper_seriesIfEET_S1_S1_.num_agpr, 0
	.set .L_ZN12_GLOBAL__N_120_igamc_helper_seriesIfEET_S1_S1_.numbered_sgpr, 32
	.set .L_ZN12_GLOBAL__N_120_igamc_helper_seriesIfEET_S1_S1_.num_named_barrier, 0
	.set .L_ZN12_GLOBAL__N_120_igamc_helper_seriesIfEET_S1_S1_.private_seg_size, 0
	.set .L_ZN12_GLOBAL__N_120_igamc_helper_seriesIfEET_S1_S1_.uses_vcc, 1
	.set .L_ZN12_GLOBAL__N_120_igamc_helper_seriesIfEET_S1_S1_.uses_flat_scratch, 0
	.set .L_ZN12_GLOBAL__N_120_igamc_helper_seriesIfEET_S1_S1_.has_dyn_sized_stack, 0
	.set .L_ZN12_GLOBAL__N_120_igamc_helper_seriesIfEET_S1_S1_.has_recursion, 0
	.set .L_ZN12_GLOBAL__N_120_igamc_helper_seriesIfEET_S1_S1_.has_indirect_call, 0
	.section	.AMDGPU.csdata,"",@progbits
; Function info:
; codeLenInByte = 6192
; TotalNumSgprs: 34
; NumVgprs: 13
; ScratchSize: 0
; MemoryBound: 0
	.text
	.p2align	2                               ; -- Begin function _ZN12_GLOBAL__N_112calc_igammacIfEET_S1_S1_
	.type	_ZN12_GLOBAL__N_112calc_igammacIfEET_S1_S1_,@function
_ZN12_GLOBAL__N_112calc_igammacIfEET_S1_S1_: ; @_ZN12_GLOBAL__N_112calc_igammacIfEET_S1_S1_
; %bb.0:
	s_wait_loadcnt_dscnt 0x0
	s_wait_kmcnt 0x0
	s_mov_b32 s25, s33
	s_mov_b32 s33, s32
	s_or_saveexec_b32 s0, -1
	scratch_store_b32 off, v40, s33         ; 4-byte Folded Spill
	s_wait_xcnt 0x0
	s_mov_b32 exec_lo, s0
	v_writelane_b32 v40, s30, 0
	s_add_co_i32 s32, s32, 16
	v_writelane_b32 v40, s31, 1
	v_dual_max_num_f32 v2, v1, v1 :: v_dual_max_num_f32 v3, v0, v0
	s_delay_alu instid0(VALU_DEP_1) | instskip(NEXT) | instid1(VALU_DEP_1)
	v_min_num_f32_e32 v2, v3, v2
	v_cmp_ngt_f32_e32 vcc_lo, 0, v2
	v_mov_b32_e32 v2, 0x7fc00000
	s_and_saveexec_b32 s18, vcc_lo
	s_cbranch_execz .LBB16_56
; %bb.1:
                                        ; implicit-def: $vgpr2
	s_mov_b32 s0, exec_lo
	v_cmpx_neq_f32_e32 0, v0
	s_xor_b32 s19, exec_lo, s0
	s_cbranch_execz .LBB16_51
; %bb.2:
	v_mov_b32_e32 v2, 1.0
	s_mov_b32 s20, exec_lo
	v_cmpx_neq_f32_e32 0, v1
	s_cbranch_execz .LBB16_50
; %bb.3:
	v_cmp_neq_f32_e64 s0, 0x7f800000, |v1|
                                        ; implicit-def: $vgpr2
	s_mov_b32 s2, exec_lo
	v_cmpx_neq_f32_e64 0x7f800000, |v0|
	s_xor_b32 s21, exec_lo, s2
	s_cbranch_execz .LBB16_45
; %bb.4:
	v_mov_b32_e32 v2, 0
	s_and_saveexec_b32 s22, s0
	s_cbranch_execz .LBB16_44
; %bb.5:
	v_sub_f32_e32 v2, v1, v0
	v_cmp_nlt_f32_e64 s1, 0x41a00000, v0
	s_delay_alu instid0(VALU_DEP_2) | instskip(NEXT) | instid1(VALU_DEP_1)
	v_and_b32_e32 v3, 0x7fffffff, v2
	v_div_scale_f32 v4, null, v0, v0, v3
	v_div_scale_f32 v3, vcc_lo, v3, v0, v3
	s_delay_alu instid0(VALU_DEP_2) | instskip(SKIP_1) | instid1(TRANS32_DEP_1)
	v_rcp_f32_e32 v5, v4
	v_nop
	v_fma_f32 v6, -v4, v5, 1.0
	s_delay_alu instid0(VALU_DEP_1) | instskip(NEXT) | instid1(VALU_DEP_1)
	v_fmac_f32_e32 v5, v6, v5
	v_mul_f32_e32 v6, v3, v5
	s_delay_alu instid0(VALU_DEP_1) | instskip(NEXT) | instid1(VALU_DEP_1)
	v_fma_f32 v7, -v4, v6, v3
	v_fmac_f32_e32 v6, v7, v5
	s_delay_alu instid0(VALU_DEP_1) | instskip(NEXT) | instid1(VALU_DEP_1)
	v_fma_f32 v3, -v4, v6, v3
	v_div_fmas_f32 v3, v3, v5, v6
	v_cmp_ngt_f32_e32 vcc_lo, 0x43480000, v0
	s_delay_alu instid0(VALU_DEP_2) | instskip(NEXT) | instid1(VALU_DEP_1)
	v_div_fixup_f32 v3, v3, v0, |v2|
                                        ; implicit-def: $vgpr2
	v_cmp_ngt_f32_e64 s0, 0x3e99999a, v3
	s_or_b32 s0, vcc_lo, s0
	s_delay_alu instid0(SALU_CYCLE_1) | instskip(NEXT) | instid1(SALU_CYCLE_1)
	s_or_b32 s0, s0, s1
	s_and_saveexec_b32 s1, s0
	s_delay_alu instid0(SALU_CYCLE_1)
	s_xor_b32 s23, exec_lo, s1
	s_cbranch_execz .LBB16_41
; %bb.6:
	s_mov_b32 s0, -1
	s_mov_b32 s9, 0
	s_mov_b32 s1, exec_lo
	v_cmpx_lt_f32_e32 0x43480000, v0
	s_cbranch_execz .LBB16_8
; %bb.7:
	v_mul_f32_e32 v2, 0x4f800000, v0
	v_cmp_gt_f32_e32 vcc_lo, 0xf800000, v0
	s_mov_b32 s9, exec_lo
	s_delay_alu instid0(VALU_DEP_2) | instskip(NEXT) | instid1(VALU_DEP_1)
	v_cndmask_b32_e32 v2, v0, v2, vcc_lo
	v_sqrt_f32_e32 v4, v2
	v_nop
	s_delay_alu instid0(TRANS32_DEP_1) | instskip(NEXT) | instid1(VALU_DEP_1)
	v_dual_add_nc_u32 v5, -1, v4 :: v_dual_add_nc_u32 v6, 1, v4
	v_fma_f32 v7, -v5, v4, v2
	s_delay_alu instid0(VALU_DEP_1) | instskip(NEXT) | instid1(VALU_DEP_1)
	v_cmp_ge_f32_e64 s0, 0, v7
	v_dual_fma_f32 v8, -v6, v4, v2 :: v_dual_cndmask_b32 v4, v4, v5, s0
	s_delay_alu instid0(VALU_DEP_1) | instskip(NEXT) | instid1(VALU_DEP_1)
	v_cmp_lt_f32_e64 s0, 0, v8
	v_cndmask_b32_e64 v4, v4, v6, s0
	s_delay_alu instid0(VALU_DEP_1) | instskip(NEXT) | instid1(VALU_DEP_1)
	v_mul_f32_e32 v5, 0x37800000, v4
	v_cndmask_b32_e32 v4, v4, v5, vcc_lo
	v_cmp_class_f32_e64 vcc_lo, v2, 0x260
	s_delay_alu instid0(VALU_DEP_2) | instskip(NEXT) | instid1(VALU_DEP_1)
	v_cndmask_b32_e32 v2, v4, v2, vcc_lo
	v_div_scale_f32 v4, null, v2, v2, 0x40900000
	s_delay_alu instid0(VALU_DEP_1) | instskip(SKIP_1) | instid1(TRANS32_DEP_1)
	v_rcp_f32_e32 v5, v4
	v_nop
	v_fma_f32 v6, -v4, v5, 1.0
	s_delay_alu instid0(VALU_DEP_1) | instskip(SKIP_1) | instid1(VALU_DEP_1)
	v_fmac_f32_e32 v5, v6, v5
	v_div_scale_f32 v6, vcc_lo, 0x40900000, v2, 0x40900000
	v_mul_f32_e32 v7, v6, v5
	s_delay_alu instid0(VALU_DEP_1) | instskip(NEXT) | instid1(VALU_DEP_1)
	v_fma_f32 v8, -v4, v7, v6
	v_fmac_f32_e32 v7, v8, v5
	s_delay_alu instid0(VALU_DEP_1) | instskip(NEXT) | instid1(VALU_DEP_1)
	v_fma_f32 v4, -v4, v7, v6
	v_div_fmas_f32 v4, v4, v5, v7
	s_delay_alu instid0(VALU_DEP_1) | instskip(NEXT) | instid1(VALU_DEP_1)
	v_div_fixup_f32 v2, v4, v2, 0x40900000
	v_cmp_nlt_f32_e32 vcc_lo, v3, v2
	s_or_not1_b32 s0, vcc_lo, exec_lo
.LBB16_8:
	s_or_b32 exec_lo, exec_lo, s1
                                        ; implicit-def: $vgpr2
	s_and_saveexec_b32 s1, s0
	s_delay_alu instid0(SALU_CYCLE_1)
	s_xor_b32 s10, exec_lo, s1
	s_cbranch_execz .LBB16_38
; %bb.9:
	v_cvt_f64_f32_e32 v[6:7], v1
	s_mov_b64 s[0:1], 0x3ff199999999999a
                                        ; implicit-def: $vgpr2
	s_delay_alu instid0(VALU_DEP_1) | instid1(SALU_CYCLE_1)
	v_cmp_nlt_f64_e32 vcc_lo, s[0:1], v[6:7]
	s_and_saveexec_b32 s0, vcc_lo
	s_delay_alu instid0(SALU_CYCLE_1)
	s_xor_b32 s8, exec_lo, s0
	s_cbranch_execz .LBB16_31
; %bb.10:
	v_cvt_f64_f32_e32 v[4:5], v0
                                        ; implicit-def: $vgpr2
	s_mov_b32 s0, exec_lo
	v_cmpx_ge_f32_e32 0.5, v1
	s_xor_b32 s11, exec_lo, s0
	s_cbranch_execz .LBB16_20
; %bb.11:
	v_cmp_gt_f32_e32 vcc_lo, 0x800000, v1
	s_mov_b64 s[0:1], 0xbfd999999999999a
	v_cndmask_b32_e64 v2, 0, 32, vcc_lo
	v_cndmask_b32_e64 v6, 0, 0x41b17218, vcc_lo
	s_delay_alu instid0(VALU_DEP_2) | instskip(NEXT) | instid1(VALU_DEP_1)
	v_ldexp_f32 v2, v1, v2
	v_log_f32_e32 v2, v2
	v_nop
	s_delay_alu instid0(TRANS32_DEP_1) | instskip(SKIP_1) | instid1(VALU_DEP_2)
	v_mul_f32_e32 v3, 0x3f317217, v2
	v_cmp_gt_f32_e64 vcc_lo, 0x7f800000, |v2|
	v_fma_f32 v3, 0x3f317217, v2, -v3
	s_delay_alu instid0(VALU_DEP_1) | instskip(NEXT) | instid1(VALU_DEP_1)
	v_fmamk_f32 v3, v2, 0x3377d1cf, v3
	v_fmac_f32_e32 v3, 0x3f317217, v2
	s_delay_alu instid0(VALU_DEP_1) | instskip(NEXT) | instid1(VALU_DEP_1)
	v_cndmask_b32_e32 v2, v2, v3, vcc_lo
	v_sub_f32_e32 v2, v2, v6
	s_delay_alu instid0(VALU_DEP_1) | instskip(NEXT) | instid1(VALU_DEP_1)
	v_cvt_f64_f32_e32 v[2:3], v2
	v_div_scale_f64 v[6:7], null, v[2:3], v[2:3], s[0:1]
	s_delay_alu instid0(VALU_DEP_1) | instskip(SKIP_1) | instid1(TRANS32_DEP_1)
	v_rcp_f64_e32 v[8:9], v[6:7]
	v_nop
	v_fma_f64 v[10:11], -v[6:7], v[8:9], 1.0
	s_delay_alu instid0(VALU_DEP_1) | instskip(NEXT) | instid1(VALU_DEP_1)
	v_fmac_f64_e32 v[8:9], v[8:9], v[10:11]
	v_fma_f64 v[10:11], -v[6:7], v[8:9], 1.0
	s_delay_alu instid0(VALU_DEP_1) | instskip(SKIP_1) | instid1(VALU_DEP_1)
	v_fmac_f64_e32 v[8:9], v[8:9], v[10:11]
	v_div_scale_f64 v[10:11], vcc_lo, s[0:1], v[2:3], s[0:1]
	v_mul_f64_e32 v[12:13], v[10:11], v[8:9]
	s_delay_alu instid0(VALU_DEP_1) | instskip(NEXT) | instid1(VALU_DEP_1)
	v_fma_f64 v[6:7], -v[6:7], v[12:13], v[10:11]
	v_div_fmas_f64 v[6:7], v[6:7], v[8:9], v[12:13]
	s_delay_alu instid0(VALU_DEP_1) | instskip(NEXT) | instid1(VALU_DEP_1)
	v_div_fixup_f64 v[2:3], v[6:7], v[2:3], s[0:1]
	v_cmp_nlt_f64_e32 vcc_lo, v[2:3], v[4:5]
                                        ; implicit-def: $vgpr2
	s_and_saveexec_b32 s0, vcc_lo
	s_delay_alu instid0(SALU_CYCLE_1)
	s_xor_b32 s7, exec_lo, s0
	s_cbranch_execz .LBB16_13
; %bb.12:
	s_get_pc_i64 s[0:1]
	s_add_nc_u64 s[0:1], s[0:1], _ZN12_GLOBAL__N_120_igamc_helper_seriesIfEET_S1_S1_@rel64+4
	v_dual_mov_b32 v13, v0 :: v_dual_mov_b32 v14, v1
	s_swap_pc_i64 s[30:31], s[0:1]
	s_delay_alu instid0(VALU_DEP_1) | instskip(NEXT) | instid1(VALU_DEP_2)
	v_dual_mov_b32 v1, v14 :: v_dual_mov_b32 v2, v0
	v_mov_b32_e32 v0, v13
.LBB16_13:
	s_and_not1_saveexec_b32 s12, s7
	s_cbranch_execz .LBB16_19
; %bb.14:
	s_get_pc_i64 s[0:1]
	s_add_nc_u64 s[0:1], s[0:1], _ZN12_GLOBAL__N_116_igam_helper_facIfEET_S1_S1_@rel64+4
	v_dual_mov_b32 v80, v0 :: v_dual_mov_b32 v81, v1
	s_swap_pc_i64 s[30:31], s[0:1]
	s_delay_alu instid0(VALU_DEP_1) | instskip(NEXT) | instid1(VALU_DEP_2)
	v_dual_mov_b32 v1, v81 :: v_dual_mov_b32 v2, v0
	v_dual_mov_b32 v0, v80 :: v_dual_mov_b32 v3, 0
	s_mov_b32 s0, exec_lo
	s_delay_alu instid0(VALU_DEP_2)
	v_cmpx_neq_f32_e32 0, v2
	s_cbranch_execz .LBB16_18
; %bb.15:
	v_dual_mov_b32 v6, 1.0 :: v_dual_mov_b32 v3, 0x7cf
	v_dual_mov_b32 v5, v0 :: v_dual_mov_b32 v4, 1.0
	s_mov_b32 s1, 0
.LBB16_16:                              ; =>This Inner Loop Header: Depth=1
	s_delay_alu instid0(VALU_DEP_1) | instskip(NEXT) | instid1(VALU_DEP_3)
	v_add_f32_e32 v5, 1.0, v5
	v_sub_co_u32 v3, s2, v3, 1
	s_delay_alu instid0(VALU_DEP_2) | instskip(NEXT) | instid1(VALU_DEP_1)
	v_div_scale_f32 v7, null, v5, v5, v1
	v_rcp_f32_e32 v8, v7
	v_nop
	s_delay_alu instid0(TRANS32_DEP_1) | instskip(NEXT) | instid1(VALU_DEP_1)
	v_fma_f32 v9, -v7, v8, 1.0
	v_fmac_f32_e32 v8, v9, v8
	v_div_scale_f32 v10, vcc_lo, v1, v5, v1
	s_delay_alu instid0(VALU_DEP_1) | instskip(NEXT) | instid1(VALU_DEP_1)
	v_mul_f32_e32 v9, v10, v8
	v_fma_f32 v11, -v7, v9, v10
	s_delay_alu instid0(VALU_DEP_1) | instskip(NEXT) | instid1(VALU_DEP_1)
	v_fmac_f32_e32 v9, v11, v8
	v_fma_f32 v7, -v7, v9, v10
	s_delay_alu instid0(VALU_DEP_1) | instskip(NEXT) | instid1(VALU_DEP_1)
	v_div_fmas_f32 v7, v7, v8, v9
	v_div_fixup_f32 v7, v7, v5, v1
	s_delay_alu instid0(VALU_DEP_1) | instskip(NEXT) | instid1(VALU_DEP_1)
	v_dual_fmac_f32 v4, v6, v7 :: v_dual_mul_f32 v6, v6, v7
	v_mul_f32_e32 v7, 0x33800000, v4
	s_delay_alu instid0(VALU_DEP_1) | instskip(SKIP_1) | instid1(SALU_CYCLE_1)
	v_cmp_le_f32_e32 vcc_lo, v6, v7
	s_or_b32 s2, vcc_lo, s2
	s_and_b32 s2, exec_lo, s2
	s_delay_alu instid0(SALU_CYCLE_1) | instskip(NEXT) | instid1(SALU_CYCLE_1)
	s_or_b32 s1, s2, s1
	s_and_not1_b32 exec_lo, exec_lo, s1
	s_cbranch_execnz .LBB16_16
; %bb.17:
	s_or_b32 exec_lo, exec_lo, s1
	v_mul_f32_e32 v2, v2, v4
	s_delay_alu instid0(VALU_DEP_1) | instskip(NEXT) | instid1(VALU_DEP_1)
	v_div_scale_f32 v3, null, v0, v0, v2
	v_rcp_f32_e32 v4, v3
	v_nop
	s_delay_alu instid0(TRANS32_DEP_1) | instskip(NEXT) | instid1(VALU_DEP_1)
	v_fma_f32 v5, -v3, v4, 1.0
	v_fmac_f32_e32 v4, v5, v4
	v_div_scale_f32 v5, vcc_lo, v2, v0, v2
	s_delay_alu instid0(VALU_DEP_1) | instskip(NEXT) | instid1(VALU_DEP_1)
	v_mul_f32_e32 v6, v5, v4
	v_fma_f32 v7, -v3, v6, v5
	s_delay_alu instid0(VALU_DEP_1) | instskip(NEXT) | instid1(VALU_DEP_1)
	v_fmac_f32_e32 v6, v7, v4
	v_fma_f32 v3, -v3, v6, v5
	s_delay_alu instid0(VALU_DEP_1) | instskip(NEXT) | instid1(VALU_DEP_1)
	v_div_fmas_f32 v3, v3, v4, v6
	v_div_fixup_f32 v3, v3, v0, v2
.LBB16_18:
	s_or_b32 exec_lo, exec_lo, s0
	s_delay_alu instid0(VALU_DEP_1)
	v_sub_f32_e32 v2, 1.0, v3
.LBB16_19:
	s_or_b32 exec_lo, exec_lo, s12
                                        ; implicit-def: $vgpr6_vgpr7
                                        ; implicit-def: $vgpr4_vgpr5
.LBB16_20:
	s_and_not1_saveexec_b32 s11, s11
	s_cbranch_execz .LBB16_30
; %bb.21:
	v_mul_f64_e32 v[2:3], 0x3ff199999999999a, v[6:7]
	s_delay_alu instid0(VALU_DEP_1) | instskip(SKIP_1) | instid1(SALU_CYCLE_1)
	v_cmp_nlt_f64_e32 vcc_lo, v[2:3], v[4:5]
                                        ; implicit-def: $vgpr2
	s_and_saveexec_b32 s0, vcc_lo
	s_xor_b32 s7, exec_lo, s0
	s_cbranch_execz .LBB16_23
; %bb.22:
	s_get_pc_i64 s[0:1]
	s_add_nc_u64 s[0:1], s[0:1], _ZN12_GLOBAL__N_120_igamc_helper_seriesIfEET_S1_S1_@rel64+4
	v_dual_mov_b32 v13, v0 :: v_dual_mov_b32 v14, v1
	s_swap_pc_i64 s[30:31], s[0:1]
	s_delay_alu instid0(VALU_DEP_1) | instskip(NEXT) | instid1(VALU_DEP_2)
	v_dual_mov_b32 v1, v14 :: v_dual_mov_b32 v2, v0
	v_mov_b32_e32 v0, v13
.LBB16_23:
	s_and_not1_saveexec_b32 s12, s7
	s_cbranch_execz .LBB16_29
; %bb.24:
	s_get_pc_i64 s[0:1]
	s_add_nc_u64 s[0:1], s[0:1], _ZN12_GLOBAL__N_116_igam_helper_facIfEET_S1_S1_@rel64+4
	v_dual_mov_b32 v80, v0 :: v_dual_mov_b32 v81, v1
	s_swap_pc_i64 s[30:31], s[0:1]
	s_delay_alu instid0(VALU_DEP_1) | instskip(NEXT) | instid1(VALU_DEP_2)
	v_dual_mov_b32 v1, v81 :: v_dual_mov_b32 v2, v0
	v_dual_mov_b32 v0, v80 :: v_dual_mov_b32 v3, 0
	s_mov_b32 s0, exec_lo
	s_delay_alu instid0(VALU_DEP_2)
	v_cmpx_neq_f32_e32 0, v2
	s_cbranch_execz .LBB16_28
; %bb.25:
	v_dual_mov_b32 v6, 1.0 :: v_dual_mov_b32 v3, 0x7cf
	v_dual_mov_b32 v5, v0 :: v_dual_mov_b32 v4, 1.0
	s_mov_b32 s1, 0
.LBB16_26:                              ; =>This Inner Loop Header: Depth=1
	s_delay_alu instid0(VALU_DEP_1) | instskip(NEXT) | instid1(VALU_DEP_3)
	v_add_f32_e32 v5, 1.0, v5
	v_sub_co_u32 v3, s2, v3, 1
	s_delay_alu instid0(VALU_DEP_2) | instskip(NEXT) | instid1(VALU_DEP_1)
	v_div_scale_f32 v7, null, v5, v5, v1
	v_rcp_f32_e32 v8, v7
	v_nop
	s_delay_alu instid0(TRANS32_DEP_1) | instskip(NEXT) | instid1(VALU_DEP_1)
	v_fma_f32 v9, -v7, v8, 1.0
	v_fmac_f32_e32 v8, v9, v8
	v_div_scale_f32 v10, vcc_lo, v1, v5, v1
	s_delay_alu instid0(VALU_DEP_1) | instskip(NEXT) | instid1(VALU_DEP_1)
	v_mul_f32_e32 v9, v10, v8
	v_fma_f32 v11, -v7, v9, v10
	s_delay_alu instid0(VALU_DEP_1) | instskip(NEXT) | instid1(VALU_DEP_1)
	v_fmac_f32_e32 v9, v11, v8
	v_fma_f32 v7, -v7, v9, v10
	s_delay_alu instid0(VALU_DEP_1) | instskip(NEXT) | instid1(VALU_DEP_1)
	v_div_fmas_f32 v7, v7, v8, v9
	v_div_fixup_f32 v7, v7, v5, v1
	s_delay_alu instid0(VALU_DEP_1) | instskip(NEXT) | instid1(VALU_DEP_1)
	v_dual_fmac_f32 v4, v6, v7 :: v_dual_mul_f32 v6, v6, v7
	v_mul_f32_e32 v7, 0x33800000, v4
	s_delay_alu instid0(VALU_DEP_1) | instskip(SKIP_1) | instid1(SALU_CYCLE_1)
	v_cmp_le_f32_e32 vcc_lo, v6, v7
	s_or_b32 s2, vcc_lo, s2
	s_and_b32 s2, exec_lo, s2
	s_delay_alu instid0(SALU_CYCLE_1) | instskip(NEXT) | instid1(SALU_CYCLE_1)
	s_or_b32 s1, s2, s1
	s_and_not1_b32 exec_lo, exec_lo, s1
	s_cbranch_execnz .LBB16_26
; %bb.27:
	s_or_b32 exec_lo, exec_lo, s1
	v_mul_f32_e32 v2, v2, v4
	s_delay_alu instid0(VALU_DEP_1) | instskip(NEXT) | instid1(VALU_DEP_1)
	v_div_scale_f32 v3, null, v0, v0, v2
	v_rcp_f32_e32 v4, v3
	v_nop
	s_delay_alu instid0(TRANS32_DEP_1) | instskip(NEXT) | instid1(VALU_DEP_1)
	v_fma_f32 v5, -v3, v4, 1.0
	v_fmac_f32_e32 v4, v5, v4
	v_div_scale_f32 v5, vcc_lo, v2, v0, v2
	s_delay_alu instid0(VALU_DEP_1) | instskip(NEXT) | instid1(VALU_DEP_1)
	v_mul_f32_e32 v6, v5, v4
	v_fma_f32 v7, -v3, v6, v5
	s_delay_alu instid0(VALU_DEP_1) | instskip(NEXT) | instid1(VALU_DEP_1)
	v_fmac_f32_e32 v6, v7, v4
	v_fma_f32 v3, -v3, v6, v5
	s_delay_alu instid0(VALU_DEP_1) | instskip(NEXT) | instid1(VALU_DEP_1)
	v_div_fmas_f32 v3, v3, v4, v6
	v_div_fixup_f32 v3, v3, v0, v2
.LBB16_28:
	s_or_b32 exec_lo, exec_lo, s0
	s_delay_alu instid0(VALU_DEP_1)
	v_sub_f32_e32 v2, 1.0, v3
.LBB16_29:
	s_or_b32 exec_lo, exec_lo, s12
.LBB16_30:
	s_delay_alu instid0(SALU_CYCLE_1)
	s_or_b32 exec_lo, exec_lo, s11
.LBB16_31:
	s_and_not1_saveexec_b32 s11, s8
	s_cbranch_execz .LBB16_66
; %bb.32:
	s_get_pc_i64 s[0:1]
	s_add_nc_u64 s[0:1], s[0:1], _ZN12_GLOBAL__N_116_igam_helper_facIfEET_S1_S1_@rel64+4
	v_cmp_nlt_f32_e64 s8, v1, v0
	v_dual_mov_b32 v80, v0 :: v_dual_mov_b32 v81, v1
	s_swap_pc_i64 s[30:31], s[0:1]
	v_mov_b32_e32 v3, v0
                                        ; implicit-def: $vgpr2
	s_delay_alu instid0(VALU_DEP_1) | instskip(SKIP_1) | instid1(SALU_CYCLE_1)
	v_cmp_neq_f32_e64 s0, 0, v3
	s_and_saveexec_b32 s1, s8
	s_xor_b32 s1, exec_lo, s1
	s_cbranch_execz .LBB16_59
; %bb.33:
	v_mov_b32_e32 v2, 0
	s_and_saveexec_b32 s3, s0
	s_cbranch_execz .LBB16_58
; %bb.34:
	v_dual_mov_b32 v0, v80 :: v_dual_mov_b32 v9, v81
	s_mov_b32 s5, 0
	s_mov_b32 s4, 0
	;; [unrolled: 1-line block ×3, first 2 shown]
	s_delay_alu instid0(VALU_DEP_1) | instskip(NEXT) | instid1(VALU_DEP_1)
	v_sub_f32_e32 v1, 1.0, v0
	v_add_f32_e32 v0, v9, v1
	s_delay_alu instid0(VALU_DEP_1) | instskip(NEXT) | instid1(VALU_DEP_1)
	v_dual_add_f32 v0, 1.0, v0 :: v_dual_add_f32 v4, 1.0, v9
	v_mul_f32_e32 v5, v9, v0
	s_delay_alu instid0(VALU_DEP_1) | instskip(SKIP_1) | instid1(VALU_DEP_2)
	v_div_scale_f32 v2, null, v5, v5, v4
	v_div_scale_f32 v8, vcc_lo, v4, v5, v4
	v_rcp_f32_e32 v6, v2
	v_nop
	s_delay_alu instid0(TRANS32_DEP_1) | instskip(NEXT) | instid1(VALU_DEP_1)
	v_fma_f32 v7, -v2, v6, 1.0
	v_fmac_f32_e32 v6, v7, v6
	s_delay_alu instid0(VALU_DEP_1) | instskip(NEXT) | instid1(VALU_DEP_1)
	v_mul_f32_e32 v7, v8, v6
	v_fma_f32 v10, -v2, v7, v8
	s_delay_alu instid0(VALU_DEP_1) | instskip(NEXT) | instid1(VALU_DEP_1)
	v_fmac_f32_e32 v7, v10, v6
	v_dual_fma_f32 v2, -v2, v7, v8 :: v_dual_mov_b32 v8, 1.0
	s_delay_alu instid0(VALU_DEP_1) | instskip(SKIP_2) | instid1(VALU_DEP_3)
	v_div_fmas_f32 v10, v2, v6, v7
	v_mov_b64_e32 v[6:7], 0x3f80000040000000
	v_mov_b32_e32 v2, 0x7cf
	v_div_fixup_f32 v10, v10, v5, v4
	s_branch .LBB16_36
.LBB16_35:                              ;   in Loop: Header=BB16_36 Depth=1
	s_or_b32 exec_lo, exec_lo, s6
	v_pk_mul_f32 v[12:13], v[8:9], s[2:3] op_sel_hi:[1,0]
	v_cmp_lt_f32_e64 vcc_lo, 0x4b800000, |v8|
	v_pk_mul_f32 v[14:15], v[4:5], s[2:3] op_sel_hi:[1,0]
	v_sub_co_u32 v2, s6, v2, 1
	s_or_b32 s6, s7, s6
	v_dual_cndmask_b32 v11, v8, v12 :: v_dual_cndmask_b32 v12, v9, v13
	v_dual_cndmask_b32 v8, v4, v14 :: v_dual_cndmask_b32 v9, v5, v15
	s_and_b32 s6, exec_lo, s6
	s_delay_alu instid0(VALU_DEP_2) | instskip(SKIP_1) | instid1(SALU_CYCLE_1)
	v_dual_mov_b32 v4, v11 :: v_dual_mov_b32 v5, v12
	s_or_b32 s4, s6, s4
	s_and_not1_b32 exec_lo, exec_lo, s4
	s_cbranch_execz .LBB16_57
.LBB16_36:                              ; =>This Inner Loop Header: Depth=1
	s_delay_alu instid0(VALU_DEP_3)
	v_pk_add_f32 v[0:1], v[0:1], v[6:7]
	s_add_f32 s5, s5, 1.0
	s_mov_b32 s6, exec_lo
	s_delay_alu instid0(VALU_DEP_1) | instid1(SALU_CYCLE_2)
	v_mul_f32_e32 v12, s5, v1
	s_delay_alu instid0(VALU_DEP_1) | instskip(NEXT) | instid1(VALU_DEP_1)
	v_pk_mul_f32 v[8:9], v[8:9], v[12:13] op_sel_hi:[1,0]
	v_pk_fma_f32 v[8:9], v[4:5], v[0:1], v[8:9] op_sel_hi:[1,0,1] neg_lo:[0,0,1] neg_hi:[0,0,1]
	s_delay_alu instid0(VALU_DEP_1) | instskip(SKIP_1) | instid1(SALU_CYCLE_1)
	v_cmpx_eq_f32_e32 0, v9
	s_xor_b32 s6, exec_lo, s6
	s_or_saveexec_b32 s6, s6
	s_mov_b32 s7, 0
	s_xor_b32 exec_lo, exec_lo, s6
	s_cbranch_execz .LBB16_35
; %bb.37:                               ;   in Loop: Header=BB16_36 Depth=1
	v_div_scale_f32 v11, null, v9, v9, v8
	v_div_scale_f32 v14, vcc_lo, v8, v9, v8
	s_delay_alu instid0(VALU_DEP_2) | instskip(SKIP_1) | instid1(TRANS32_DEP_1)
	v_rcp_f32_e32 v12, v11
	v_nop
	v_fma_f32 v13, -v11, v12, 1.0
	s_delay_alu instid0(VALU_DEP_1) | instskip(NEXT) | instid1(VALU_DEP_1)
	v_fmac_f32_e32 v12, v13, v12
	v_mul_f32_e32 v13, v14, v12
	s_delay_alu instid0(VALU_DEP_1) | instskip(NEXT) | instid1(VALU_DEP_1)
	v_fma_f32 v15, -v11, v13, v14
	v_fmac_f32_e32 v13, v15, v12
	s_delay_alu instid0(VALU_DEP_1) | instskip(NEXT) | instid1(VALU_DEP_1)
	v_fma_f32 v11, -v11, v13, v14
	v_div_fmas_f32 v11, v11, v12, v13
	s_delay_alu instid0(VALU_DEP_1) | instskip(NEXT) | instid1(VALU_DEP_1)
	v_div_fixup_f32 v11, v11, v9, v8
	v_sub_f32_e32 v10, v10, v11
	s_delay_alu instid0(VALU_DEP_1) | instskip(NEXT) | instid1(VALU_DEP_1)
	v_div_scale_f32 v12, null, v11, v11, v10
	v_rcp_f32_e32 v13, v12
	v_nop
	s_delay_alu instid0(TRANS32_DEP_1) | instskip(NEXT) | instid1(VALU_DEP_1)
	v_fma_f32 v14, -v12, v13, 1.0
	v_fmac_f32_e32 v13, v14, v13
	v_div_scale_f32 v14, vcc_lo, v10, v11, v10
	s_delay_alu instid0(VALU_DEP_1) | instskip(NEXT) | instid1(VALU_DEP_1)
	v_mul_f32_e32 v15, v14, v13
	v_fma_f32 v16, -v12, v15, v14
	s_delay_alu instid0(VALU_DEP_1) | instskip(NEXT) | instid1(VALU_DEP_1)
	v_fmac_f32_e32 v15, v16, v13
	v_fma_f32 v12, -v12, v15, v14
	s_delay_alu instid0(VALU_DEP_1) | instskip(NEXT) | instid1(VALU_DEP_1)
	v_div_fmas_f32 v12, v12, v13, v15
	v_div_fixup_f32 v10, v12, v11, v10
	s_delay_alu instid0(VALU_DEP_1)
	v_cmp_ge_f32_e64 s7, 0x33800000, |v10|
	v_mov_b32_e32 v10, v11
	s_and_b32 s7, s7, exec_lo
	s_branch .LBB16_35
.LBB16_38:
	s_or_b32 exec_lo, exec_lo, s10
	s_and_saveexec_b32 s24, s9
	s_cbranch_execz .LBB16_40
.LBB16_39:
	v_mov_b32_e32 v2, 0
	s_get_pc_i64 s[0:1]
	s_add_nc_u64 s[0:1], s[0:1], _ZN12_GLOBAL__N_130_igam_helper_asymptotic_seriesIfEET_S1_S1_b@rel64+4
	s_delay_alu instid0(SALU_CYCLE_1)
	s_swap_pc_i64 s[30:31], s[0:1]
	v_mov_b32_e32 v2, v0
.LBB16_40:
	s_or_b32 exec_lo, exec_lo, s24
                                        ; implicit-def: $vgpr0
                                        ; implicit-def: $vgpr1
.LBB16_41:
	s_and_not1_saveexec_b32 s23, s23
	s_cbranch_execz .LBB16_43
; %bb.42:
	v_mov_b32_e32 v2, 0
	s_get_pc_i64 s[0:1]
	s_add_nc_u64 s[0:1], s[0:1], _ZN12_GLOBAL__N_130_igam_helper_asymptotic_seriesIfEET_S1_S1_b@rel64+4
	s_delay_alu instid0(SALU_CYCLE_1)
	s_swap_pc_i64 s[30:31], s[0:1]
	v_mov_b32_e32 v2, v0
.LBB16_43:
	s_or_b32 exec_lo, exec_lo, s23
.LBB16_44:
	s_delay_alu instid0(SALU_CYCLE_1)
	s_or_b32 exec_lo, exec_lo, s22
                                        ; implicit-def: $vgpr1
.LBB16_45:
	s_and_not1_saveexec_b32 s0, s21
	s_cbranch_execz .LBB16_49
; %bb.46:
	v_cmp_class_f32_e64 s2, v1, 0x204
	v_mov_b32_e32 v2, 1.0
	s_and_saveexec_b32 s1, s2
; %bb.47:
	v_mov_b32_e32 v2, 0x7fc00000
; %bb.48:
	s_or_b32 exec_lo, exec_lo, s1
.LBB16_49:
	s_delay_alu instid0(SALU_CYCLE_1)
	s_or_b32 exec_lo, exec_lo, s0
.LBB16_50:
	s_delay_alu instid0(SALU_CYCLE_1)
	s_or_b32 exec_lo, exec_lo, s20
                                        ; implicit-def: $vgpr1
.LBB16_51:
	s_and_not1_saveexec_b32 s0, s19
	s_cbranch_execz .LBB16_55
; %bb.52:
	v_mov_b32_e32 v2, 0
	s_mov_b32 s1, exec_lo
	v_cmpx_nlt_f32_e32 0, v1
; %bb.53:
	v_mov_b32_e32 v2, 0x7fc00000
; %bb.54:
	s_or_b32 exec_lo, exec_lo, s1
.LBB16_55:
	s_delay_alu instid0(SALU_CYCLE_1)
	s_or_b32 exec_lo, exec_lo, s0
.LBB16_56:
	s_delay_alu instid0(SALU_CYCLE_1)
	s_or_b32 exec_lo, exec_lo, s18
	v_readlane_b32 s30, v40, 0
	v_mov_b32_e32 v0, v2
	v_readlane_b32 s31, v40, 1
	s_mov_b32 s32, s33
	s_or_saveexec_b32 s0, -1
	scratch_load_b32 v40, off, s33          ; 4-byte Folded Reload
	s_wait_xcnt 0x0
	s_mov_b32 exec_lo, s0
	s_mov_b32 s33, s25
	s_wait_loadcnt 0x0
	s_set_pc_i64 s[30:31]
.LBB16_57:
	s_or_b32 exec_lo, exec_lo, s4
	v_mul_f32_e32 v2, v3, v10
.LBB16_58:
	s_or_b32 exec_lo, exec_lo, s3
                                        ; implicit-def: $vgpr3
.LBB16_59:
	s_or_saveexec_b32 s1, s1
	v_dual_mov_b32 v1, v81 :: v_dual_mov_b32 v0, v80
	s_xor_b32 exec_lo, exec_lo, s1
	s_cbranch_execz .LBB16_65
; %bb.60:
	v_mov_b32_e32 v2, 0
	s_and_saveexec_b32 s2, s0
	s_cbranch_execz .LBB16_64
; %bb.61:
	v_dual_mov_b32 v6, 1.0 :: v_dual_mov_b32 v5, v0
	v_mov_b32_e32 v2, 0x7cf
	v_mov_b32_e32 v4, 1.0
	s_mov_b32 s0, 0
.LBB16_62:                              ; =>This Inner Loop Header: Depth=1
	s_delay_alu instid0(VALU_DEP_3) | instskip(NEXT) | instid1(VALU_DEP_3)
	v_add_f32_e32 v5, 1.0, v5
	v_sub_co_u32 v2, s3, v2, 1
	s_delay_alu instid0(VALU_DEP_2) | instskip(NEXT) | instid1(VALU_DEP_1)
	v_div_scale_f32 v7, null, v5, v5, v1
	v_rcp_f32_e32 v8, v7
	v_nop
	s_delay_alu instid0(TRANS32_DEP_1) | instskip(NEXT) | instid1(VALU_DEP_1)
	v_fma_f32 v9, -v7, v8, 1.0
	v_fmac_f32_e32 v8, v9, v8
	v_div_scale_f32 v10, vcc_lo, v1, v5, v1
	s_delay_alu instid0(VALU_DEP_1) | instskip(NEXT) | instid1(VALU_DEP_1)
	v_mul_f32_e32 v9, v10, v8
	v_fma_f32 v11, -v7, v9, v10
	s_delay_alu instid0(VALU_DEP_1) | instskip(NEXT) | instid1(VALU_DEP_1)
	v_fmac_f32_e32 v9, v11, v8
	v_fma_f32 v7, -v7, v9, v10
	s_delay_alu instid0(VALU_DEP_1) | instskip(NEXT) | instid1(VALU_DEP_1)
	v_div_fmas_f32 v7, v7, v8, v9
	v_div_fixup_f32 v7, v7, v5, v1
	s_delay_alu instid0(VALU_DEP_1) | instskip(NEXT) | instid1(VALU_DEP_1)
	v_dual_fmac_f32 v4, v6, v7 :: v_dual_mul_f32 v6, v6, v7
	v_mul_f32_e32 v7, 0x33800000, v4
	s_delay_alu instid0(VALU_DEP_1) | instskip(SKIP_1) | instid1(SALU_CYCLE_1)
	v_cmp_le_f32_e32 vcc_lo, v6, v7
	s_or_b32 s3, vcc_lo, s3
	s_and_b32 s3, exec_lo, s3
	s_delay_alu instid0(SALU_CYCLE_1) | instskip(NEXT) | instid1(SALU_CYCLE_1)
	s_or_b32 s0, s3, s0
	s_and_not1_b32 exec_lo, exec_lo, s0
	s_cbranch_execnz .LBB16_62
; %bb.63:
	s_or_b32 exec_lo, exec_lo, s0
	v_mul_f32_e32 v2, v3, v4
	s_delay_alu instid0(VALU_DEP_1) | instskip(NEXT) | instid1(VALU_DEP_1)
	v_div_scale_f32 v3, null, v0, v0, v2
	v_rcp_f32_e32 v4, v3
	v_nop
	s_delay_alu instid0(TRANS32_DEP_1) | instskip(NEXT) | instid1(VALU_DEP_1)
	v_fma_f32 v5, -v3, v4, 1.0
	v_fmac_f32_e32 v4, v5, v4
	v_div_scale_f32 v5, vcc_lo, v2, v0, v2
	s_delay_alu instid0(VALU_DEP_1) | instskip(NEXT) | instid1(VALU_DEP_1)
	v_mul_f32_e32 v6, v5, v4
	v_fma_f32 v7, -v3, v6, v5
	s_delay_alu instid0(VALU_DEP_1) | instskip(NEXT) | instid1(VALU_DEP_1)
	v_fmac_f32_e32 v6, v7, v4
	v_fma_f32 v3, -v3, v6, v5
	s_delay_alu instid0(VALU_DEP_1) | instskip(NEXT) | instid1(VALU_DEP_1)
	v_div_fmas_f32 v3, v3, v4, v6
	v_div_fixup_f32 v2, v3, v0, v2
.LBB16_64:
	s_or_b32 exec_lo, exec_lo, s2
	s_delay_alu instid0(VALU_DEP_1)
	v_sub_f32_e32 v2, 1.0, v2
.LBB16_65:
	s_or_b32 exec_lo, exec_lo, s1
.LBB16_66:
	s_delay_alu instid0(SALU_CYCLE_1) | instskip(NEXT) | instid1(SALU_CYCLE_1)
	s_or_b32 exec_lo, exec_lo, s11
	s_and_not1_b32 s9, s9, exec_lo
	s_or_b32 exec_lo, exec_lo, s10
	s_and_saveexec_b32 s24, s9
	s_cbranch_execnz .LBB16_39
	s_branch .LBB16_40
.Lfunc_end16:
	.size	_ZN12_GLOBAL__N_112calc_igammacIfEET_S1_S1_, .Lfunc_end16-_ZN12_GLOBAL__N_112calc_igammacIfEET_S1_S1_
                                        ; -- End function
	.set .L_ZN12_GLOBAL__N_112calc_igammacIfEET_S1_S1_.num_vgpr, max(82, .L_ZN12_GLOBAL__N_120_igamc_helper_seriesIfEET_S1_S1_.num_vgpr, .L_ZN12_GLOBAL__N_116_igam_helper_facIfEET_S1_S1_.num_vgpr, .L_ZN12_GLOBAL__N_130_igam_helper_asymptotic_seriesIfEET_S1_S1_b.num_vgpr)
	.set .L_ZN12_GLOBAL__N_112calc_igammacIfEET_S1_S1_.num_agpr, max(0, .L_ZN12_GLOBAL__N_120_igamc_helper_seriesIfEET_S1_S1_.num_agpr, .L_ZN12_GLOBAL__N_116_igam_helper_facIfEET_S1_S1_.num_agpr, .L_ZN12_GLOBAL__N_130_igam_helper_asymptotic_seriesIfEET_S1_S1_b.num_agpr)
	.set .L_ZN12_GLOBAL__N_112calc_igammacIfEET_S1_S1_.numbered_sgpr, max(34, .L_ZN12_GLOBAL__N_120_igamc_helper_seriesIfEET_S1_S1_.numbered_sgpr, .L_ZN12_GLOBAL__N_116_igam_helper_facIfEET_S1_S1_.numbered_sgpr, .L_ZN12_GLOBAL__N_130_igam_helper_asymptotic_seriesIfEET_S1_S1_b.numbered_sgpr)
	.set .L_ZN12_GLOBAL__N_112calc_igammacIfEET_S1_S1_.num_named_barrier, max(0, .L_ZN12_GLOBAL__N_120_igamc_helper_seriesIfEET_S1_S1_.num_named_barrier, .L_ZN12_GLOBAL__N_116_igam_helper_facIfEET_S1_S1_.num_named_barrier, .L_ZN12_GLOBAL__N_130_igam_helper_asymptotic_seriesIfEET_S1_S1_b.num_named_barrier)
	.set .L_ZN12_GLOBAL__N_112calc_igammacIfEET_S1_S1_.private_seg_size, 16+max(.L_ZN12_GLOBAL__N_120_igamc_helper_seriesIfEET_S1_S1_.private_seg_size, .L_ZN12_GLOBAL__N_116_igam_helper_facIfEET_S1_S1_.private_seg_size, .L_ZN12_GLOBAL__N_130_igam_helper_asymptotic_seriesIfEET_S1_S1_b.private_seg_size)
	.set .L_ZN12_GLOBAL__N_112calc_igammacIfEET_S1_S1_.uses_vcc, or(1, .L_ZN12_GLOBAL__N_120_igamc_helper_seriesIfEET_S1_S1_.uses_vcc, .L_ZN12_GLOBAL__N_116_igam_helper_facIfEET_S1_S1_.uses_vcc, .L_ZN12_GLOBAL__N_130_igam_helper_asymptotic_seriesIfEET_S1_S1_b.uses_vcc)
	.set .L_ZN12_GLOBAL__N_112calc_igammacIfEET_S1_S1_.uses_flat_scratch, or(0, .L_ZN12_GLOBAL__N_120_igamc_helper_seriesIfEET_S1_S1_.uses_flat_scratch, .L_ZN12_GLOBAL__N_116_igam_helper_facIfEET_S1_S1_.uses_flat_scratch, .L_ZN12_GLOBAL__N_130_igam_helper_asymptotic_seriesIfEET_S1_S1_b.uses_flat_scratch)
	.set .L_ZN12_GLOBAL__N_112calc_igammacIfEET_S1_S1_.has_dyn_sized_stack, or(0, .L_ZN12_GLOBAL__N_120_igamc_helper_seriesIfEET_S1_S1_.has_dyn_sized_stack, .L_ZN12_GLOBAL__N_116_igam_helper_facIfEET_S1_S1_.has_dyn_sized_stack, .L_ZN12_GLOBAL__N_130_igam_helper_asymptotic_seriesIfEET_S1_S1_b.has_dyn_sized_stack)
	.set .L_ZN12_GLOBAL__N_112calc_igammacIfEET_S1_S1_.has_recursion, or(0, .L_ZN12_GLOBAL__N_120_igamc_helper_seriesIfEET_S1_S1_.has_recursion, .L_ZN12_GLOBAL__N_116_igam_helper_facIfEET_S1_S1_.has_recursion, .L_ZN12_GLOBAL__N_130_igam_helper_asymptotic_seriesIfEET_S1_S1_b.has_recursion)
	.set .L_ZN12_GLOBAL__N_112calc_igammacIfEET_S1_S1_.has_indirect_call, or(0, .L_ZN12_GLOBAL__N_120_igamc_helper_seriesIfEET_S1_S1_.has_indirect_call, .L_ZN12_GLOBAL__N_116_igam_helper_facIfEET_S1_S1_.has_indirect_call, .L_ZN12_GLOBAL__N_130_igam_helper_asymptotic_seriesIfEET_S1_S1_b.has_indirect_call)
	.section	.AMDGPU.csdata,"",@progbits
; Function info:
; codeLenInByte = 3164
; TotalNumSgprs: 36
; NumVgprs: 82
; ScratchSize: 128
; MemoryBound: 0
	.text
	.p2align	2                               ; -- Begin function _ZN12_GLOBAL__N_111calc_igammaIfEET_S1_S1_
	.type	_ZN12_GLOBAL__N_111calc_igammaIfEET_S1_S1_,@function
_ZN12_GLOBAL__N_111calc_igammaIfEET_S1_S1_: ; @_ZN12_GLOBAL__N_111calc_igammaIfEET_S1_S1_
; %bb.0:
	s_wait_loadcnt_dscnt 0x0
	s_wait_kmcnt 0x0
	s_mov_b32 s45, s33
	s_mov_b32 s33, s32
	s_or_saveexec_b32 s0, -1
	scratch_store_b32 off, v41, s33 offset:4 ; 4-byte Folded Spill
	s_wait_xcnt 0x0
	s_mov_b32 exec_lo, s0
	s_add_co_i32 s32, s32, 16
	scratch_store_b32 off, v40, s33         ; 4-byte Folded Spill
	v_writelane_b32 v41, s30, 0
	v_writelane_b32 v41, s31, 1
	v_dual_max_num_f32 v2, v1, v1 :: v_dual_max_num_f32 v3, v0, v0
	s_delay_alu instid0(VALU_DEP_1) | instskip(NEXT) | instid1(VALU_DEP_1)
	v_min_num_f32_e32 v2, v3, v2
	v_cmp_ngt_f32_e32 vcc_lo, 0, v2
	v_mov_b32_e32 v2, 0x7fc00000
	s_wait_xcnt 0x0
	s_and_saveexec_b32 s26, vcc_lo
	s_cbranch_execz .LBB17_36
; %bb.1:
                                        ; implicit-def: $vgpr2
	s_mov_b32 s0, exec_lo
	v_cmpx_neq_f32_e32 0, v0
	s_xor_b32 s27, exec_lo, s0
	s_cbranch_execz .LBB17_31
; %bb.2:
	v_mov_b32_e32 v2, 0
	s_mov_b32 s28, exec_lo
	v_cmpx_neq_f32_e32 0, v1
	s_cbranch_execz .LBB17_30
; %bb.3:
	v_cmp_neq_f32_e64 s0, 0x7f800000, |v1|
                                        ; implicit-def: $vgpr2
	s_mov_b32 s2, exec_lo
	v_cmpx_neq_f32_e64 0x7f800000, |v0|
	s_xor_b32 s29, exec_lo, s2
	s_cbranch_execz .LBB17_25
; %bb.4:
	v_mov_b32_e32 v2, 1.0
	s_and_saveexec_b32 s40, s0
	s_cbranch_execz .LBB17_24
; %bb.5:
	v_sub_f32_e32 v2, v1, v0
	v_cmp_nlt_f32_e64 s1, 0x41a00000, v0
	s_delay_alu instid0(VALU_DEP_2) | instskip(NEXT) | instid1(VALU_DEP_1)
	v_and_b32_e32 v3, 0x7fffffff, v2
	v_div_scale_f32 v4, null, v0, v0, v3
	v_div_scale_f32 v3, vcc_lo, v3, v0, v3
	s_delay_alu instid0(VALU_DEP_2) | instskip(SKIP_1) | instid1(TRANS32_DEP_1)
	v_rcp_f32_e32 v5, v4
	v_nop
	v_fma_f32 v6, -v4, v5, 1.0
	s_delay_alu instid0(VALU_DEP_1) | instskip(NEXT) | instid1(VALU_DEP_1)
	v_fmac_f32_e32 v5, v6, v5
	v_mul_f32_e32 v6, v3, v5
	s_delay_alu instid0(VALU_DEP_1) | instskip(NEXT) | instid1(VALU_DEP_1)
	v_fma_f32 v7, -v4, v6, v3
	v_fmac_f32_e32 v6, v7, v5
	s_delay_alu instid0(VALU_DEP_1) | instskip(NEXT) | instid1(VALU_DEP_1)
	v_fma_f32 v3, -v4, v6, v3
	v_div_fmas_f32 v3, v3, v5, v6
	v_cmp_ngt_f32_e32 vcc_lo, 0x43480000, v0
	s_delay_alu instid0(VALU_DEP_2) | instskip(NEXT) | instid1(VALU_DEP_1)
	v_div_fixup_f32 v3, v3, v0, |v2|
                                        ; implicit-def: $vgpr2
	v_cmp_ngt_f32_e64 s0, 0x3e99999a, v3
	s_or_b32 s0, vcc_lo, s0
	s_delay_alu instid0(SALU_CYCLE_1) | instskip(NEXT) | instid1(SALU_CYCLE_1)
	s_or_b32 s0, s0, s1
	s_and_saveexec_b32 s1, s0
	s_delay_alu instid0(SALU_CYCLE_1)
	s_xor_b32 s41, exec_lo, s1
	s_cbranch_execz .LBB17_21
; %bb.6:
	s_mov_b32 s0, -1
	s_mov_b32 s42, 0
	s_mov_b32 s1, exec_lo
	v_cmpx_lt_f32_e32 0x43480000, v0
	s_cbranch_execz .LBB17_8
; %bb.7:
	v_mul_f32_e32 v2, 0x4f800000, v0
	v_cmp_gt_f32_e32 vcc_lo, 0xf800000, v0
	s_mov_b32 s42, exec_lo
	s_delay_alu instid0(VALU_DEP_2) | instskip(NEXT) | instid1(VALU_DEP_1)
	v_cndmask_b32_e32 v2, v0, v2, vcc_lo
	v_sqrt_f32_e32 v4, v2
	v_nop
	s_delay_alu instid0(TRANS32_DEP_1) | instskip(NEXT) | instid1(VALU_DEP_1)
	v_dual_add_nc_u32 v5, -1, v4 :: v_dual_add_nc_u32 v6, 1, v4
	v_fma_f32 v7, -v5, v4, v2
	s_delay_alu instid0(VALU_DEP_1) | instskip(NEXT) | instid1(VALU_DEP_1)
	v_cmp_ge_f32_e64 s0, 0, v7
	v_dual_fma_f32 v8, -v6, v4, v2 :: v_dual_cndmask_b32 v4, v4, v5, s0
	s_delay_alu instid0(VALU_DEP_1) | instskip(NEXT) | instid1(VALU_DEP_1)
	v_cmp_lt_f32_e64 s0, 0, v8
	v_cndmask_b32_e64 v4, v4, v6, s0
	s_delay_alu instid0(VALU_DEP_1) | instskip(NEXT) | instid1(VALU_DEP_1)
	v_mul_f32_e32 v5, 0x37800000, v4
	v_cndmask_b32_e32 v4, v4, v5, vcc_lo
	v_cmp_class_f32_e64 vcc_lo, v2, 0x260
	s_delay_alu instid0(VALU_DEP_2) | instskip(NEXT) | instid1(VALU_DEP_1)
	v_cndmask_b32_e32 v2, v4, v2, vcc_lo
	v_div_scale_f32 v4, null, v2, v2, 0x40900000
	s_delay_alu instid0(VALU_DEP_1) | instskip(SKIP_1) | instid1(TRANS32_DEP_1)
	v_rcp_f32_e32 v5, v4
	v_nop
	v_fma_f32 v6, -v4, v5, 1.0
	s_delay_alu instid0(VALU_DEP_1) | instskip(SKIP_1) | instid1(VALU_DEP_1)
	v_fmac_f32_e32 v5, v6, v5
	v_div_scale_f32 v6, vcc_lo, 0x40900000, v2, 0x40900000
	v_mul_f32_e32 v7, v6, v5
	s_delay_alu instid0(VALU_DEP_1) | instskip(NEXT) | instid1(VALU_DEP_1)
	v_fma_f32 v8, -v4, v7, v6
	v_fmac_f32_e32 v7, v8, v5
	s_delay_alu instid0(VALU_DEP_1) | instskip(NEXT) | instid1(VALU_DEP_1)
	v_fma_f32 v4, -v4, v7, v6
	v_div_fmas_f32 v4, v4, v5, v7
	s_delay_alu instid0(VALU_DEP_1) | instskip(NEXT) | instid1(VALU_DEP_1)
	v_div_fixup_f32 v2, v4, v2, 0x40900000
	v_cmp_nlt_f32_e32 vcc_lo, v3, v2
	s_or_not1_b32 s0, vcc_lo, exec_lo
.LBB17_8:
	s_or_b32 exec_lo, exec_lo, s1
                                        ; implicit-def: $vgpr2
	s_and_saveexec_b32 s1, s0
	s_delay_alu instid0(SALU_CYCLE_1)
	s_xor_b32 s43, exec_lo, s1
	s_cbranch_execz .LBB17_18
; %bb.9:
	v_cmp_nlt_f32_e32 vcc_lo, 1.0, v1
	v_cmp_ngt_f32_e64 s0, v1, v0
                                        ; implicit-def: $vgpr2
	s_or_b32 s0, vcc_lo, s0
	s_delay_alu instid0(SALU_CYCLE_1) | instskip(NEXT) | instid1(SALU_CYCLE_1)
	s_and_saveexec_b32 s1, s0
	s_xor_b32 s8, exec_lo, s1
	s_cbranch_execz .LBB17_15
; %bb.10:
	s_get_pc_i64 s[0:1]
	s_add_nc_u64 s[0:1], s[0:1], _ZN12_GLOBAL__N_116_igam_helper_facIfEET_S1_S1_@rel64+4
	v_dual_mov_b32 v80, v0 :: v_dual_mov_b32 v81, v1
	s_swap_pc_i64 s[30:31], s[0:1]
	s_delay_alu instid0(VALU_DEP_1) | instskip(NEXT) | instid1(VALU_DEP_2)
	v_dual_mov_b32 v1, v81 :: v_dual_mov_b32 v3, v0
	v_dual_mov_b32 v0, v80 :: v_dual_mov_b32 v2, 0
	s_mov_b32 s0, exec_lo
	s_delay_alu instid0(VALU_DEP_2)
	v_cmpx_neq_f32_e32 0, v3
	s_cbranch_execz .LBB17_14
; %bb.11:
	s_delay_alu instid0(VALU_DEP_2)
	v_dual_mov_b32 v6, 1.0 :: v_dual_mov_b32 v5, v0
	v_mov_b32_e32 v2, 0x7cf
	v_mov_b32_e32 v4, 1.0
	s_mov_b32 s1, 0
.LBB17_12:                              ; =>This Inner Loop Header: Depth=1
	s_delay_alu instid0(VALU_DEP_3) | instskip(NEXT) | instid1(VALU_DEP_3)
	v_add_f32_e32 v5, 1.0, v5
	v_sub_co_u32 v2, s2, v2, 1
	s_delay_alu instid0(VALU_DEP_2) | instskip(NEXT) | instid1(VALU_DEP_1)
	v_div_scale_f32 v7, null, v5, v5, v1
	v_rcp_f32_e32 v8, v7
	v_nop
	s_delay_alu instid0(TRANS32_DEP_1) | instskip(NEXT) | instid1(VALU_DEP_1)
	v_fma_f32 v9, -v7, v8, 1.0
	v_fmac_f32_e32 v8, v9, v8
	v_div_scale_f32 v10, vcc_lo, v1, v5, v1
	s_delay_alu instid0(VALU_DEP_1) | instskip(NEXT) | instid1(VALU_DEP_1)
	v_mul_f32_e32 v9, v10, v8
	v_fma_f32 v11, -v7, v9, v10
	s_delay_alu instid0(VALU_DEP_1) | instskip(NEXT) | instid1(VALU_DEP_1)
	v_fmac_f32_e32 v9, v11, v8
	v_fma_f32 v7, -v7, v9, v10
	s_delay_alu instid0(VALU_DEP_1) | instskip(NEXT) | instid1(VALU_DEP_1)
	v_div_fmas_f32 v7, v7, v8, v9
	v_div_fixup_f32 v7, v7, v5, v1
	s_delay_alu instid0(VALU_DEP_1) | instskip(NEXT) | instid1(VALU_DEP_1)
	v_dual_fmac_f32 v4, v6, v7 :: v_dual_mul_f32 v6, v6, v7
	v_mul_f32_e32 v7, 0x33800000, v4
	s_delay_alu instid0(VALU_DEP_1) | instskip(SKIP_1) | instid1(SALU_CYCLE_1)
	v_cmp_le_f32_e32 vcc_lo, v6, v7
	s_or_b32 s2, vcc_lo, s2
	s_and_b32 s2, exec_lo, s2
	s_delay_alu instid0(SALU_CYCLE_1) | instskip(NEXT) | instid1(SALU_CYCLE_1)
	s_or_b32 s1, s2, s1
	s_and_not1_b32 exec_lo, exec_lo, s1
	s_cbranch_execnz .LBB17_12
; %bb.13:
	s_or_b32 exec_lo, exec_lo, s1
	v_mul_f32_e32 v2, v3, v4
	s_delay_alu instid0(VALU_DEP_1) | instskip(NEXT) | instid1(VALU_DEP_1)
	v_div_scale_f32 v3, null, v0, v0, v2
	v_rcp_f32_e32 v4, v3
	v_nop
	s_delay_alu instid0(TRANS32_DEP_1) | instskip(NEXT) | instid1(VALU_DEP_1)
	v_fma_f32 v5, -v3, v4, 1.0
	v_fmac_f32_e32 v4, v5, v4
	v_div_scale_f32 v5, vcc_lo, v2, v0, v2
	s_delay_alu instid0(VALU_DEP_1) | instskip(NEXT) | instid1(VALU_DEP_1)
	v_mul_f32_e32 v6, v5, v4
	v_fma_f32 v7, -v3, v6, v5
	s_delay_alu instid0(VALU_DEP_1) | instskip(NEXT) | instid1(VALU_DEP_1)
	v_fmac_f32_e32 v6, v7, v4
	v_fma_f32 v3, -v3, v6, v5
	s_delay_alu instid0(VALU_DEP_1) | instskip(NEXT) | instid1(VALU_DEP_1)
	v_div_fmas_f32 v3, v3, v4, v6
	v_div_fixup_f32 v2, v3, v0, v2
.LBB17_14:
	s_or_b32 exec_lo, exec_lo, s0
.LBB17_15:
	s_and_not1_saveexec_b32 s44, s8
	s_cbranch_execz .LBB17_17
; %bb.16:
	s_get_pc_i64 s[0:1]
	s_add_nc_u64 s[0:1], s[0:1], _ZN12_GLOBAL__N_112calc_igammacIfEET_S1_S1_@rel64+4
	v_dual_mov_b32 v82, v0 :: v_dual_mov_b32 v83, v1
	s_swap_pc_i64 s[30:31], s[0:1]
	s_delay_alu instid0(VALU_DEP_1) | instskip(NEXT) | instid1(VALU_DEP_1)
	v_dual_mov_b32 v1, v83 :: v_dual_mov_b32 v2, v0
	v_dual_mov_b32 v0, v82 :: v_dual_sub_f32 v2, 1.0, v2
.LBB17_17:
	s_or_b32 exec_lo, exec_lo, s44
	s_delay_alu instid0(SALU_CYCLE_1)
	s_and_not1_b32 s42, s42, exec_lo
	s_or_b32 exec_lo, exec_lo, s43
	s_and_saveexec_b32 s18, s42
	s_cbranch_execnz .LBB17_19
	s_branch .LBB17_20
.LBB17_18:
	s_or_b32 exec_lo, exec_lo, s43
	s_and_saveexec_b32 s18, s42
	s_cbranch_execz .LBB17_20
.LBB17_19:
	v_mov_b32_e32 v2, 1
	s_get_pc_i64 s[0:1]
	s_add_nc_u64 s[0:1], s[0:1], _ZN12_GLOBAL__N_130_igam_helper_asymptotic_seriesIfEET_S1_S1_b@rel64+4
	s_delay_alu instid0(SALU_CYCLE_1)
	s_swap_pc_i64 s[30:31], s[0:1]
	v_mov_b32_e32 v2, v0
.LBB17_20:
	s_or_b32 exec_lo, exec_lo, s18
                                        ; implicit-def: $vgpr0
                                        ; implicit-def: $vgpr1
.LBB17_21:
	s_and_not1_saveexec_b32 s18, s41
	s_cbranch_execz .LBB17_23
; %bb.22:
	v_mov_b32_e32 v2, 1
	s_get_pc_i64 s[0:1]
	s_add_nc_u64 s[0:1], s[0:1], _ZN12_GLOBAL__N_130_igam_helper_asymptotic_seriesIfEET_S1_S1_b@rel64+4
	s_delay_alu instid0(SALU_CYCLE_1)
	s_swap_pc_i64 s[30:31], s[0:1]
	v_mov_b32_e32 v2, v0
.LBB17_23:
	s_or_b32 exec_lo, exec_lo, s18
.LBB17_24:
	s_delay_alu instid0(SALU_CYCLE_1)
	s_or_b32 exec_lo, exec_lo, s40
                                        ; implicit-def: $vgpr1
.LBB17_25:
	s_and_not1_saveexec_b32 s0, s29
	s_cbranch_execz .LBB17_29
; %bb.26:
	v_cmp_class_f32_e64 s2, v1, 0x204
	v_mov_b32_e32 v2, 0
	s_and_saveexec_b32 s1, s2
; %bb.27:
	v_mov_b32_e32 v2, 0x7fc00000
; %bb.28:
	s_or_b32 exec_lo, exec_lo, s1
.LBB17_29:
	s_delay_alu instid0(SALU_CYCLE_1)
	s_or_b32 exec_lo, exec_lo, s0
.LBB17_30:
	s_delay_alu instid0(SALU_CYCLE_1)
	s_or_b32 exec_lo, exec_lo, s28
                                        ; implicit-def: $vgpr1
.LBB17_31:
	s_and_not1_saveexec_b32 s0, s27
	s_cbranch_execz .LBB17_35
; %bb.32:
	v_mov_b32_e32 v2, 1.0
	s_mov_b32 s1, exec_lo
	v_cmpx_nlt_f32_e32 0, v1
; %bb.33:
	v_mov_b32_e32 v2, 0x7fc00000
; %bb.34:
	s_or_b32 exec_lo, exec_lo, s1
.LBB17_35:
	s_delay_alu instid0(SALU_CYCLE_1)
	s_or_b32 exec_lo, exec_lo, s0
.LBB17_36:
	s_delay_alu instid0(SALU_CYCLE_1)
	s_or_b32 exec_lo, exec_lo, s26
	scratch_load_b32 v40, off, s33          ; 4-byte Folded Reload
	v_readlane_b32 s30, v41, 0
	v_mov_b32_e32 v0, v2
	v_readlane_b32 s31, v41, 1
	s_mov_b32 s32, s33
	s_wait_xcnt 0x0
	s_or_saveexec_b32 s0, -1
	scratch_load_b32 v41, off, s33 offset:4 ; 4-byte Folded Reload
	s_wait_xcnt 0x0
	s_mov_b32 exec_lo, s0
	s_mov_b32 s33, s45
	s_wait_loadcnt 0x0
	s_set_pc_i64 s[30:31]
.Lfunc_end17:
	.size	_ZN12_GLOBAL__N_111calc_igammaIfEET_S1_S1_, .Lfunc_end17-_ZN12_GLOBAL__N_111calc_igammaIfEET_S1_S1_
                                        ; -- End function
	.set .L_ZN12_GLOBAL__N_111calc_igammaIfEET_S1_S1_.num_vgpr, max(84, .L_ZN12_GLOBAL__N_116_igam_helper_facIfEET_S1_S1_.num_vgpr, .L_ZN12_GLOBAL__N_112calc_igammacIfEET_S1_S1_.num_vgpr, .L_ZN12_GLOBAL__N_130_igam_helper_asymptotic_seriesIfEET_S1_S1_b.num_vgpr)
	.set .L_ZN12_GLOBAL__N_111calc_igammaIfEET_S1_S1_.num_agpr, max(0, .L_ZN12_GLOBAL__N_116_igam_helper_facIfEET_S1_S1_.num_agpr, .L_ZN12_GLOBAL__N_112calc_igammacIfEET_S1_S1_.num_agpr, .L_ZN12_GLOBAL__N_130_igam_helper_asymptotic_seriesIfEET_S1_S1_b.num_agpr)
	.set .L_ZN12_GLOBAL__N_111calc_igammaIfEET_S1_S1_.numbered_sgpr, max(46, .L_ZN12_GLOBAL__N_116_igam_helper_facIfEET_S1_S1_.numbered_sgpr, .L_ZN12_GLOBAL__N_112calc_igammacIfEET_S1_S1_.numbered_sgpr, .L_ZN12_GLOBAL__N_130_igam_helper_asymptotic_seriesIfEET_S1_S1_b.numbered_sgpr)
	.set .L_ZN12_GLOBAL__N_111calc_igammaIfEET_S1_S1_.num_named_barrier, max(0, .L_ZN12_GLOBAL__N_116_igam_helper_facIfEET_S1_S1_.num_named_barrier, .L_ZN12_GLOBAL__N_112calc_igammacIfEET_S1_S1_.num_named_barrier, .L_ZN12_GLOBAL__N_130_igam_helper_asymptotic_seriesIfEET_S1_S1_b.num_named_barrier)
	.set .L_ZN12_GLOBAL__N_111calc_igammaIfEET_S1_S1_.private_seg_size, 16+max(.L_ZN12_GLOBAL__N_116_igam_helper_facIfEET_S1_S1_.private_seg_size, .L_ZN12_GLOBAL__N_112calc_igammacIfEET_S1_S1_.private_seg_size, .L_ZN12_GLOBAL__N_130_igam_helper_asymptotic_seriesIfEET_S1_S1_b.private_seg_size)
	.set .L_ZN12_GLOBAL__N_111calc_igammaIfEET_S1_S1_.uses_vcc, or(1, .L_ZN12_GLOBAL__N_116_igam_helper_facIfEET_S1_S1_.uses_vcc, .L_ZN12_GLOBAL__N_112calc_igammacIfEET_S1_S1_.uses_vcc, .L_ZN12_GLOBAL__N_130_igam_helper_asymptotic_seriesIfEET_S1_S1_b.uses_vcc)
	.set .L_ZN12_GLOBAL__N_111calc_igammaIfEET_S1_S1_.uses_flat_scratch, or(0, .L_ZN12_GLOBAL__N_116_igam_helper_facIfEET_S1_S1_.uses_flat_scratch, .L_ZN12_GLOBAL__N_112calc_igammacIfEET_S1_S1_.uses_flat_scratch, .L_ZN12_GLOBAL__N_130_igam_helper_asymptotic_seriesIfEET_S1_S1_b.uses_flat_scratch)
	.set .L_ZN12_GLOBAL__N_111calc_igammaIfEET_S1_S1_.has_dyn_sized_stack, or(0, .L_ZN12_GLOBAL__N_116_igam_helper_facIfEET_S1_S1_.has_dyn_sized_stack, .L_ZN12_GLOBAL__N_112calc_igammacIfEET_S1_S1_.has_dyn_sized_stack, .L_ZN12_GLOBAL__N_130_igam_helper_asymptotic_seriesIfEET_S1_S1_b.has_dyn_sized_stack)
	.set .L_ZN12_GLOBAL__N_111calc_igammaIfEET_S1_S1_.has_recursion, or(0, .L_ZN12_GLOBAL__N_116_igam_helper_facIfEET_S1_S1_.has_recursion, .L_ZN12_GLOBAL__N_112calc_igammacIfEET_S1_S1_.has_recursion, .L_ZN12_GLOBAL__N_130_igam_helper_asymptotic_seriesIfEET_S1_S1_b.has_recursion)
	.set .L_ZN12_GLOBAL__N_111calc_igammaIfEET_S1_S1_.has_indirect_call, or(0, .L_ZN12_GLOBAL__N_116_igam_helper_facIfEET_S1_S1_.has_indirect_call, .L_ZN12_GLOBAL__N_112calc_igammacIfEET_S1_S1_.has_indirect_call, .L_ZN12_GLOBAL__N_130_igam_helper_asymptotic_seriesIfEET_S1_S1_b.has_indirect_call)
	.section	.AMDGPU.csdata,"",@progbits
; Function info:
; codeLenInByte = 1440
; TotalNumSgprs: 48
; NumVgprs: 84
; ScratchSize: 144
; MemoryBound: 0
	.section	.text._ZN2at6native29vectorized_elementwise_kernelILi16EN12_GLOBAL__N_110CalcIgammaIfEESt5arrayIPcLm3EEEEviT0_T1_,"axG",@progbits,_ZN2at6native29vectorized_elementwise_kernelILi16EN12_GLOBAL__N_110CalcIgammaIfEESt5arrayIPcLm3EEEEviT0_T1_,comdat
	.globl	_ZN2at6native29vectorized_elementwise_kernelILi16EN12_GLOBAL__N_110CalcIgammaIfEESt5arrayIPcLm3EEEEviT0_T1_ ; -- Begin function _ZN2at6native29vectorized_elementwise_kernelILi16EN12_GLOBAL__N_110CalcIgammaIfEESt5arrayIPcLm3EEEEviT0_T1_
	.p2align	8
	.type	_ZN2at6native29vectorized_elementwise_kernelILi16EN12_GLOBAL__N_110CalcIgammaIfEESt5arrayIPcLm3EEEEviT0_T1_,@function
_ZN2at6native29vectorized_elementwise_kernelILi16EN12_GLOBAL__N_110CalcIgammaIfEESt5arrayIPcLm3EEEEviT0_T1_: ; @_ZN2at6native29vectorized_elementwise_kernelILi16EN12_GLOBAL__N_110CalcIgammaIfEESt5arrayIPcLm3EEEEviT0_T1_
; %bb.0:
	s_load_b64 s[4:5], s[0:1], 0x4
	s_load_b64 s[6:7], s[2:3], 0x0
	v_and_b32_e32 v60, 0x3ff, v0
	v_bfe_u32 v2, v0, 10, 10
	v_bfe_u32 v0, v0, 20, 10
	s_clause 0x1
	s_load_b128 s[36:39], s[2:3], 0x8
	s_load_b64 s[48:49], s[2:3], 0x18
	s_wait_xcnt 0x0
	s_and_b32 s1, ttmp6, 15
	s_getreg_b32 s2, hwreg(HW_REG_IB_STS2, 6, 4)
	s_mov_b32 s32, 0
	s_wait_kmcnt 0x0
	s_lshr_b32 s0, s4, 16
	v_mul_u32_u24_e32 v2, s5, v2
	s_mul_i32 s0, s0, s5
	s_delay_alu instid0(SALU_CYCLE_1) | instskip(SKIP_1) | instid1(SALU_CYCLE_1)
	v_mul_lo_u32 v1, s0, v60
	s_and_b32 s0, s7, 1
	v_mov_b32_e32 v3, s0
	s_bfe_u32 s0, ttmp6, 0x4000c
	s_delay_alu instid0(SALU_CYCLE_1) | instskip(NEXT) | instid1(SALU_CYCLE_1)
	s_add_co_i32 s0, s0, 1
	s_mul_i32 s0, ttmp9, s0
	s_delay_alu instid0(SALU_CYCLE_1) | instskip(NEXT) | instid1(VALU_DEP_2)
	s_add_co_i32 s1, s1, s0
	v_add3_u32 v63, v1, v2, v0
	s_cmp_eq_u32 s2, 0
	s_cselect_b32 s0, ttmp9, s1
	s_delay_alu instid0(SALU_CYCLE_1)
	s_lshl_b32 s46, s0, 10
	ds_store_b8 v63, v3
	ds_load_u8 v0, v63
	s_sub_co_i32 s50, s6, s46
	s_mov_b32 s0, -1
	s_cmp_gt_i32 s50, 0x3ff
	s_wait_dscnt 0x0
	v_and_b32_e32 v0, 1, v0
	s_delay_alu instid0(VALU_DEP_1)
	v_cmp_eq_u32_e32 vcc_lo, 1, v0
	ds_store_b8 v63, v0 offset:256
	v_cndmask_b32_e64 v72, 0, 1, vcc_lo
	s_cbranch_scc0 .LBB18_11
; %bb.1:
	s_ashr_i32 s47, s46, 31
                                        ; implicit-def: $vgpr42
	s_delay_alu instid0(SALU_CYCLE_1) | instskip(NEXT) | instid1(SALU_CYCLE_1)
	s_lshl_b64 s[34:35], s[46:47], 2
	s_add_nc_u64 s[0:1], s[38:39], s[34:35]
	s_add_nc_u64 s[2:3], s[48:49], s[34:35]
	s_clause 0x1
	global_load_b128 v[44:47], v60, s[0:1] scale_offset
	global_load_b128 v[56:59], v60, s[2:3] scale_offset
	ds_store_b8 v63, v72 offset:512
	ds_load_u8 v0, v63 offset:512
	s_wait_dscnt 0x0
	v_and_b32_e32 v0, 1, v0
	s_delay_alu instid0(VALU_DEP_1) | instskip(SKIP_3) | instid1(SALU_CYCLE_1)
	v_cmp_eq_u32_e32 vcc_lo, 1, v0
	s_xor_b32 s47, vcc_lo, -1
	s_wait_xcnt 0x0
	s_and_saveexec_b32 s0, s47
	s_xor_b32 s51, exec_lo, s0
	s_cbranch_execnz .LBB18_45
; %bb.2:
	s_and_not1_saveexec_b32 s26, s51
	s_cbranch_execnz .LBB18_46
.LBB18_3:
	s_or_b32 exec_lo, exec_lo, s26
	s_and_saveexec_b32 s0, s47
	s_delay_alu instid0(SALU_CYCLE_1)
	s_xor_b32 s51, exec_lo, s0
	s_cbranch_execnz .LBB18_47
.LBB18_4:
	s_and_not1_saveexec_b32 s26, s51
	s_cbranch_execnz .LBB18_48
.LBB18_5:
	s_or_b32 exec_lo, exec_lo, s26
	s_and_saveexec_b32 s0, s47
	s_delay_alu instid0(SALU_CYCLE_1)
	s_xor_b32 s51, exec_lo, s0
	s_cbranch_execnz .LBB18_49
.LBB18_6:
	s_and_not1_saveexec_b32 s26, s51
	s_cbranch_execnz .LBB18_50
.LBB18_7:
	s_or_b32 exec_lo, exec_lo, s26
	s_and_saveexec_b32 s0, s47
	s_delay_alu instid0(SALU_CYCLE_1)
	s_xor_b32 s47, exec_lo, s0
	s_cbranch_execnz .LBB18_51
.LBB18_8:
	s_and_not1_saveexec_b32 s26, s47
	s_cbranch_execz .LBB18_10
.LBB18_9:
	s_wait_loadcnt 0x0
	v_dual_mov_b32 v0, v47 :: v_dual_mov_b32 v1, v59
	s_get_pc_i64 s[0:1]
	s_add_nc_u64 s[0:1], s[0:1], _ZN12_GLOBAL__N_112calc_igammacIfEET_S1_S1_@rel64+4
	s_delay_alu instid0(SALU_CYCLE_1) | instskip(NEXT) | instid1(VALU_DEP_1)
	s_swap_pc_i64 s[30:31], s[0:1]
	v_mov_b32_e32 v45, v0
.LBB18_10:
	s_or_b32 exec_lo, exec_lo, s26
	s_add_nc_u64 s[2:3], s[36:37], s[34:35]
	s_mov_b32 s0, 0
	s_wait_loadcnt 0x1
	global_store_b128 v60, v[42:45], s[2:3] scale_offset
.LBB18_11:
	s_and_b32 vcc_lo, exec_lo, s0
	s_cbranch_vccz .LBB18_44
; %bb.12:
	v_cmp_gt_i32_e64 s34, s50, v60
	v_dual_mov_b32 v47, 0 :: v_dual_bitop2_b32 v61, s46, v60 bitop3:0x54
	v_dual_mov_b32 v1, 0 :: v_dual_add_nc_u32 v62, 0x100, v60
	v_dual_mov_b32 v0, 0 :: v_dual_mov_b32 v2, v60
	ds_store_b8 v63, v72 offset:768
	s_wait_xcnt 0x0
	s_and_saveexec_b32 s0, s34
	s_cbranch_execz .LBB18_14
; %bb.13:
	s_clause 0x1
	global_load_b32 v0, v61, s[38:39] scale_offset
	global_load_b32 v1, v61, s[48:49] scale_offset
	v_add_nc_u32_e32 v2, 0x100, v60
.LBB18_14:
	s_wait_xcnt 0x0
	s_or_b32 exec_lo, exec_lo, s0
	s_wait_loadcnt 0x0
	v_mov_b32_e32 v56, 0
	s_mov_b32 s0, exec_lo
	v_cmpx_gt_i32_e64 s50, v2
	s_cbranch_execz .LBB18_16
; %bb.15:
	v_add_nc_u32_e32 v3, s46, v2
	v_add_nc_u32_e32 v2, 0x100, v2
	s_clause 0x1
	global_load_b32 v47, v3, s[38:39] scale_offset
	global_load_b32 v56, v3, s[48:49] scale_offset
.LBB18_16:
	s_wait_xcnt 0x0
	s_or_b32 exec_lo, exec_lo, s0
	v_dual_mov_b32 v43, 0 :: v_dual_mov_b32 v45, 0
	v_mov_b32_e32 v46, 0
	s_mov_b32 s0, exec_lo
	v_cmpx_gt_i32_e64 s50, v2
	s_cbranch_execz .LBB18_18
; %bb.17:
	v_add_nc_u32_e32 v3, s46, v2
	v_add_nc_u32_e32 v2, 0x100, v2
	s_clause 0x1
	global_load_b32 v45, v3, s[38:39] scale_offset
	global_load_b32 v46, v3, s[48:49] scale_offset
.LBB18_18:
	s_wait_xcnt 0x0
	s_or_b32 exec_lo, exec_lo, s0
	v_mov_b32_e32 v44, 0
	s_mov_b32 s0, exec_lo
	v_cmpx_gt_i32_e64 s50, v2
	s_cbranch_execz .LBB18_20
; %bb.19:
	v_add_nc_u32_e32 v2, s46, v2
	s_clause 0x1
	global_load_b32 v43, v2, s[38:39] scale_offset
	global_load_b32 v44, v2, s[48:49] scale_offset
.LBB18_20:
	s_wait_xcnt 0x0
	s_or_b32 exec_lo, exec_lo, s0
	ds_load_u8 v2, v63 offset:768
	v_mov_b32_e32 v42, 0
	s_delay_alu instid0(VALU_DEP_1) | instskip(SKIP_2) | instid1(VALU_DEP_1)
	v_dual_mov_b32 v57, v42 :: v_dual_mov_b32 v58, v42
	s_wait_dscnt 0x0
	v_dual_mov_b32 v59, v42 :: v_dual_bitop2_b32 v2, 1, v2 bitop3:0x40
	v_cmp_eq_u32_e32 vcc_lo, 1, v2
	s_xor_b32 s35, vcc_lo, -1
	s_and_saveexec_b32 s38, s34
	s_cbranch_execz .LBB18_26
; %bb.21:
                                        ; implicit-def: $vgpr42
	s_and_saveexec_b32 s0, s35
	s_delay_alu instid0(SALU_CYCLE_1)
	s_xor_b32 s39, exec_lo, s0
	s_cbranch_execz .LBB18_23
; %bb.22:
	s_get_pc_i64 s[0:1]
	s_add_nc_u64 s[0:1], s[0:1], _ZN12_GLOBAL__N_111calc_igammaIfEET_S1_S1_@rel64+4
	s_delay_alu instid0(SALU_CYCLE_1)
	s_swap_pc_i64 s[30:31], s[0:1]
	v_mov_b32_e32 v42, v0
                                        ; implicit-def: $vgpr0
                                        ; implicit-def: $vgpr1
.LBB18_23:
	s_and_not1_saveexec_b32 s26, s39
	s_cbranch_execz .LBB18_25
; %bb.24:
	s_get_pc_i64 s[0:1]
	s_add_nc_u64 s[0:1], s[0:1], _ZN12_GLOBAL__N_112calc_igammacIfEET_S1_S1_@rel64+4
	s_delay_alu instid0(SALU_CYCLE_1)
	s_swap_pc_i64 s[30:31], s[0:1]
	v_mov_b32_e32 v42, v0
.LBB18_25:
	s_or_b32 exec_lo, exec_lo, s26
	v_mov_b32_e32 v57, 0
	s_delay_alu instid0(VALU_DEP_1)
	v_dual_mov_b32 v58, v57 :: v_dual_mov_b32 v59, v57
.LBB18_26:
	s_or_b32 exec_lo, exec_lo, s38
	s_delay_alu instid0(SALU_CYCLE_1)
	s_mov_b32 s38, exec_lo
	v_cmpx_gt_i32_e64 s50, v62
	s_cbranch_execz .LBB18_32
; %bb.27:
	s_and_saveexec_b32 s0, s35
	s_delay_alu instid0(SALU_CYCLE_1)
	s_xor_b32 s39, exec_lo, s0
                                        ; implicit-def: $vgpr57
	s_cbranch_execz .LBB18_29
; %bb.28:
	s_wait_loadcnt 0x0
	v_dual_mov_b32 v0, v47 :: v_dual_mov_b32 v1, v56
	s_get_pc_i64 s[0:1]
	s_add_nc_u64 s[0:1], s[0:1], _ZN12_GLOBAL__N_111calc_igammaIfEET_S1_S1_@rel64+4
	s_delay_alu instid0(SALU_CYCLE_1) | instskip(NEXT) | instid1(VALU_DEP_1)
	s_swap_pc_i64 s[30:31], s[0:1]
	v_mov_b32_e32 v57, v0
                                        ; implicit-def: $vgpr47
                                        ; implicit-def: $vgpr56
.LBB18_29:
	s_and_not1_saveexec_b32 s26, s39
	s_cbranch_execz .LBB18_31
; %bb.30:
	s_wait_loadcnt 0x0
	v_dual_mov_b32 v0, v47 :: v_dual_mov_b32 v1, v56
	s_get_pc_i64 s[0:1]
	s_add_nc_u64 s[0:1], s[0:1], _ZN12_GLOBAL__N_112calc_igammacIfEET_S1_S1_@rel64+4
	s_delay_alu instid0(SALU_CYCLE_1) | instskip(NEXT) | instid1(VALU_DEP_1)
	s_swap_pc_i64 s[30:31], s[0:1]
	v_mov_b32_e32 v57, v0
.LBB18_31:
	s_or_b32 exec_lo, exec_lo, s26
.LBB18_32:
	s_delay_alu instid0(SALU_CYCLE_1) | instskip(SKIP_2) | instid1(VALU_DEP_1)
	s_or_b32 exec_lo, exec_lo, s38
	v_add_nc_u32_e32 v0, 0x200, v60
	s_mov_b32 s38, exec_lo
	v_cmpx_gt_i32_e64 s50, v0
	s_cbranch_execz .LBB18_38
; %bb.33:
	s_and_saveexec_b32 s0, s35
	s_delay_alu instid0(SALU_CYCLE_1)
	s_xor_b32 s39, exec_lo, s0
                                        ; implicit-def: $vgpr58
	s_cbranch_execz .LBB18_35
; %bb.34:
	s_wait_loadcnt 0x0
	v_dual_mov_b32 v0, v45 :: v_dual_mov_b32 v1, v46
	s_get_pc_i64 s[0:1]
	s_add_nc_u64 s[0:1], s[0:1], _ZN12_GLOBAL__N_111calc_igammaIfEET_S1_S1_@rel64+4
	s_delay_alu instid0(SALU_CYCLE_1) | instskip(NEXT) | instid1(VALU_DEP_1)
	s_swap_pc_i64 s[30:31], s[0:1]
	v_mov_b32_e32 v58, v0
                                        ; implicit-def: $vgpr45
                                        ; implicit-def: $vgpr46
.LBB18_35:
	s_and_not1_saveexec_b32 s26, s39
	s_cbranch_execz .LBB18_37
; %bb.36:
	s_wait_loadcnt 0x0
	v_dual_mov_b32 v0, v45 :: v_dual_mov_b32 v1, v46
	s_get_pc_i64 s[0:1]
	s_add_nc_u64 s[0:1], s[0:1], _ZN12_GLOBAL__N_112calc_igammacIfEET_S1_S1_@rel64+4
	s_delay_alu instid0(SALU_CYCLE_1) | instskip(NEXT) | instid1(VALU_DEP_1)
	s_swap_pc_i64 s[30:31], s[0:1]
	v_mov_b32_e32 v58, v0
.LBB18_37:
	s_or_b32 exec_lo, exec_lo, s26
.LBB18_38:
	s_delay_alu instid0(SALU_CYCLE_1) | instskip(SKIP_2) | instid1(VALU_DEP_1)
	s_or_b32 exec_lo, exec_lo, s38
	v_add_nc_u32_e32 v0, 0x300, v60
	s_mov_b32 s38, exec_lo
	v_cmpx_gt_i32_e64 s50, v0
	s_cbranch_execnz .LBB18_52
; %bb.39:
	s_or_b32 exec_lo, exec_lo, s38
	s_and_saveexec_b32 s0, s34
	s_delay_alu instid0(SALU_CYCLE_1)
	s_xor_b32 s0, exec_lo, s0
	s_cbranch_execnz .LBB18_57
.LBB18_40:
	s_or_b32 exec_lo, exec_lo, s0
	s_delay_alu instid0(SALU_CYCLE_1)
	s_mov_b32 s0, exec_lo
	v_cmpx_gt_i32_e64 s50, v60
	s_cbranch_execnz .LBB18_58
.LBB18_41:
	s_or_b32 exec_lo, exec_lo, s0
	s_delay_alu instid0(SALU_CYCLE_1)
	s_mov_b32 s0, exec_lo
	v_cmpx_gt_i32_e64 s50, v60
	s_cbranch_execnz .LBB18_59
.LBB18_42:
	s_or_b32 exec_lo, exec_lo, s0
	s_delay_alu instid0(SALU_CYCLE_1)
	s_mov_b32 s0, exec_lo
	v_cmpx_gt_i32_e64 s50, v60
	s_cbranch_execz .LBB18_44
.LBB18_43:
	v_add_nc_u32_e32 v0, s46, v60
	global_store_b32 v0, v59, s[36:37] scale_offset
.LBB18_44:
	s_endpgm
.LBB18_45:
	s_wait_loadcnt 0x0
	v_dual_mov_b32 v0, v44 :: v_dual_mov_b32 v1, v56
	s_get_pc_i64 s[0:1]
	s_add_nc_u64 s[0:1], s[0:1], _ZN12_GLOBAL__N_111calc_igammaIfEET_S1_S1_@rel64+4
	s_delay_alu instid0(SALU_CYCLE_1) | instskip(NEXT) | instid1(VALU_DEP_1)
	s_swap_pc_i64 s[30:31], s[0:1]
	v_mov_b32_e32 v42, v0
	s_and_not1_saveexec_b32 s26, s51
	s_cbranch_execz .LBB18_3
.LBB18_46:
	s_wait_loadcnt 0x0
	v_dual_mov_b32 v0, v44 :: v_dual_mov_b32 v1, v56
	s_get_pc_i64 s[0:1]
	s_add_nc_u64 s[0:1], s[0:1], _ZN12_GLOBAL__N_112calc_igammacIfEET_S1_S1_@rel64+4
	s_delay_alu instid0(SALU_CYCLE_1) | instskip(NEXT) | instid1(VALU_DEP_1)
	s_swap_pc_i64 s[30:31], s[0:1]
	v_mov_b32_e32 v42, v0
	s_or_b32 exec_lo, exec_lo, s26
	s_and_saveexec_b32 s0, s47
	s_delay_alu instid0(SALU_CYCLE_1)
	s_xor_b32 s51, exec_lo, s0
	s_cbranch_execz .LBB18_4
.LBB18_47:
	s_wait_loadcnt 0x0
	v_dual_mov_b32 v0, v45 :: v_dual_mov_b32 v1, v57
	s_get_pc_i64 s[0:1]
	s_add_nc_u64 s[0:1], s[0:1], _ZN12_GLOBAL__N_111calc_igammaIfEET_S1_S1_@rel64+4
	s_delay_alu instid0(SALU_CYCLE_1) | instskip(NEXT) | instid1(VALU_DEP_1)
	s_swap_pc_i64 s[30:31], s[0:1]
	v_mov_b32_e32 v43, v0
	s_and_not1_saveexec_b32 s26, s51
	s_cbranch_execz .LBB18_5
.LBB18_48:
	s_wait_loadcnt 0x0
	v_dual_mov_b32 v0, v45 :: v_dual_mov_b32 v1, v57
	s_get_pc_i64 s[0:1]
	s_add_nc_u64 s[0:1], s[0:1], _ZN12_GLOBAL__N_112calc_igammacIfEET_S1_S1_@rel64+4
	s_delay_alu instid0(SALU_CYCLE_1) | instskip(NEXT) | instid1(VALU_DEP_1)
	s_swap_pc_i64 s[30:31], s[0:1]
	v_mov_b32_e32 v43, v0
	s_or_b32 exec_lo, exec_lo, s26
	s_and_saveexec_b32 s0, s47
	s_delay_alu instid0(SALU_CYCLE_1)
	s_xor_b32 s51, exec_lo, s0
	s_cbranch_execz .LBB18_6
.LBB18_49:
	s_wait_loadcnt 0x0
	v_dual_mov_b32 v0, v46 :: v_dual_mov_b32 v1, v58
	s_get_pc_i64 s[0:1]
	s_add_nc_u64 s[0:1], s[0:1], _ZN12_GLOBAL__N_111calc_igammaIfEET_S1_S1_@rel64+4
	s_delay_alu instid0(SALU_CYCLE_1) | instskip(NEXT) | instid1(VALU_DEP_1)
	s_swap_pc_i64 s[30:31], s[0:1]
	v_mov_b32_e32 v44, v0
	s_and_not1_saveexec_b32 s26, s51
	s_cbranch_execz .LBB18_7
.LBB18_50:
	s_wait_loadcnt 0x0
	v_dual_mov_b32 v0, v46 :: v_dual_mov_b32 v1, v58
	s_get_pc_i64 s[0:1]
	s_add_nc_u64 s[0:1], s[0:1], _ZN12_GLOBAL__N_112calc_igammacIfEET_S1_S1_@rel64+4
	s_delay_alu instid0(SALU_CYCLE_1) | instskip(NEXT) | instid1(VALU_DEP_1)
	s_swap_pc_i64 s[30:31], s[0:1]
	v_mov_b32_e32 v44, v0
	s_or_b32 exec_lo, exec_lo, s26
	s_and_saveexec_b32 s0, s47
	s_delay_alu instid0(SALU_CYCLE_1)
	s_xor_b32 s47, exec_lo, s0
	s_cbranch_execz .LBB18_8
.LBB18_51:
	s_wait_loadcnt 0x0
	v_dual_mov_b32 v0, v47 :: v_dual_mov_b32 v1, v59
	s_get_pc_i64 s[0:1]
	s_add_nc_u64 s[0:1], s[0:1], _ZN12_GLOBAL__N_111calc_igammaIfEET_S1_S1_@rel64+4
	s_delay_alu instid0(SALU_CYCLE_1) | instskip(NEXT) | instid1(VALU_DEP_1)
	s_swap_pc_i64 s[30:31], s[0:1]
	v_mov_b32_e32 v45, v0
                                        ; implicit-def: $vgpr47
                                        ; implicit-def: $vgpr59
	s_and_not1_saveexec_b32 s26, s47
	s_cbranch_execnz .LBB18_9
	s_branch .LBB18_10
.LBB18_52:
	s_and_saveexec_b32 s0, s35
	s_delay_alu instid0(SALU_CYCLE_1)
	s_xor_b32 s35, exec_lo, s0
                                        ; implicit-def: $vgpr59
	s_cbranch_execz .LBB18_54
; %bb.53:
	s_wait_loadcnt 0x0
	v_dual_mov_b32 v0, v43 :: v_dual_mov_b32 v1, v44
	s_get_pc_i64 s[0:1]
	s_add_nc_u64 s[0:1], s[0:1], _ZN12_GLOBAL__N_111calc_igammaIfEET_S1_S1_@rel64+4
	s_delay_alu instid0(SALU_CYCLE_1) | instskip(NEXT) | instid1(VALU_DEP_1)
	s_swap_pc_i64 s[30:31], s[0:1]
	v_mov_b32_e32 v59, v0
                                        ; implicit-def: $vgpr43
                                        ; implicit-def: $vgpr44
.LBB18_54:
	s_and_not1_saveexec_b32 s26, s35
	s_cbranch_execz .LBB18_56
; %bb.55:
	s_wait_loadcnt 0x0
	v_dual_mov_b32 v0, v43 :: v_dual_mov_b32 v1, v44
	s_get_pc_i64 s[0:1]
	s_add_nc_u64 s[0:1], s[0:1], _ZN12_GLOBAL__N_112calc_igammacIfEET_S1_S1_@rel64+4
	s_delay_alu instid0(SALU_CYCLE_1) | instskip(NEXT) | instid1(VALU_DEP_1)
	s_swap_pc_i64 s[30:31], s[0:1]
	v_mov_b32_e32 v59, v0
.LBB18_56:
	s_or_b32 exec_lo, exec_lo, s26
	s_delay_alu instid0(SALU_CYCLE_1) | instskip(SKIP_1) | instid1(SALU_CYCLE_1)
	s_or_b32 exec_lo, exec_lo, s38
	s_and_saveexec_b32 s0, s34
	s_xor_b32 s0, exec_lo, s0
	s_cbranch_execz .LBB18_40
.LBB18_57:
	v_mov_b32_e32 v60, v62
	global_store_b32 v61, v42, s[36:37] scale_offset
	s_wait_xcnt 0x0
	s_or_b32 exec_lo, exec_lo, s0
	s_delay_alu instid0(SALU_CYCLE_1)
	s_mov_b32 s0, exec_lo
	v_cmpx_gt_i32_e64 s50, v60
	s_cbranch_execz .LBB18_41
.LBB18_58:
	v_add_nc_u32_e32 v0, s46, v60
	v_add_nc_u32_e32 v60, 0x100, v60
	global_store_b32 v0, v57, s[36:37] scale_offset
	s_wait_xcnt 0x0
	s_or_b32 exec_lo, exec_lo, s0
	s_delay_alu instid0(SALU_CYCLE_1)
	s_mov_b32 s0, exec_lo
	v_cmpx_gt_i32_e64 s50, v60
	s_cbranch_execz .LBB18_42
.LBB18_59:
	v_add_nc_u32_e32 v0, s46, v60
	v_add_nc_u32_e32 v60, 0x100, v60
	global_store_b32 v0, v58, s[36:37] scale_offset
	s_wait_xcnt 0x0
	s_or_b32 exec_lo, exec_lo, s0
	s_delay_alu instid0(SALU_CYCLE_1)
	s_mov_b32 s0, exec_lo
	v_cmpx_gt_i32_e64 s50, v60
	s_cbranch_execnz .LBB18_43
	s_branch .LBB18_44
	.section	.rodata,"a",@progbits
	.p2align	6, 0x0
	.amdhsa_kernel _ZN2at6native29vectorized_elementwise_kernelILi16EN12_GLOBAL__N_110CalcIgammaIfEESt5arrayIPcLm3EEEEviT0_T1_
		.amdhsa_group_segment_fixed_size 1024
		.amdhsa_private_segment_fixed_size 144
		.amdhsa_kernarg_size 32
		.amdhsa_user_sgpr_count 4
		.amdhsa_user_sgpr_dispatch_ptr 1
		.amdhsa_user_sgpr_queue_ptr 0
		.amdhsa_user_sgpr_kernarg_segment_ptr 1
		.amdhsa_user_sgpr_dispatch_id 0
		.amdhsa_user_sgpr_kernarg_preload_length 0
		.amdhsa_user_sgpr_kernarg_preload_offset 0
		.amdhsa_user_sgpr_private_segment_size 0
		.amdhsa_wavefront_size32 1
		.amdhsa_uses_dynamic_stack 0
		.amdhsa_enable_private_segment 1
		.amdhsa_system_sgpr_workgroup_id_x 1
		.amdhsa_system_sgpr_workgroup_id_y 0
		.amdhsa_system_sgpr_workgroup_id_z 0
		.amdhsa_system_sgpr_workgroup_info 0
		.amdhsa_system_vgpr_workitem_id 2
		.amdhsa_next_free_vgpr 84
		.amdhsa_next_free_sgpr 52
		.amdhsa_named_barrier_count 0
		.amdhsa_reserve_vcc 1
		.amdhsa_float_round_mode_32 0
		.amdhsa_float_round_mode_16_64 0
		.amdhsa_float_denorm_mode_32 3
		.amdhsa_float_denorm_mode_16_64 3
		.amdhsa_fp16_overflow 0
		.amdhsa_memory_ordered 1
		.amdhsa_forward_progress 1
		.amdhsa_inst_pref_size 16
		.amdhsa_round_robin_scheduling 0
		.amdhsa_exception_fp_ieee_invalid_op 0
		.amdhsa_exception_fp_denorm_src 0
		.amdhsa_exception_fp_ieee_div_zero 0
		.amdhsa_exception_fp_ieee_overflow 0
		.amdhsa_exception_fp_ieee_underflow 0
		.amdhsa_exception_fp_ieee_inexact 0
		.amdhsa_exception_int_div_zero 0
	.end_amdhsa_kernel
	.section	.text._ZN2at6native29vectorized_elementwise_kernelILi16EN12_GLOBAL__N_110CalcIgammaIfEESt5arrayIPcLm3EEEEviT0_T1_,"axG",@progbits,_ZN2at6native29vectorized_elementwise_kernelILi16EN12_GLOBAL__N_110CalcIgammaIfEESt5arrayIPcLm3EEEEviT0_T1_,comdat
.Lfunc_end18:
	.size	_ZN2at6native29vectorized_elementwise_kernelILi16EN12_GLOBAL__N_110CalcIgammaIfEESt5arrayIPcLm3EEEEviT0_T1_, .Lfunc_end18-_ZN2at6native29vectorized_elementwise_kernelILi16EN12_GLOBAL__N_110CalcIgammaIfEESt5arrayIPcLm3EEEEviT0_T1_
                                        ; -- End function
	.set _ZN2at6native29vectorized_elementwise_kernelILi16EN12_GLOBAL__N_110CalcIgammaIfEESt5arrayIPcLm3EEEEviT0_T1_.num_vgpr, max(73, .L_ZN12_GLOBAL__N_112calc_igammacIfEET_S1_S1_.num_vgpr, .L_ZN12_GLOBAL__N_111calc_igammaIfEET_S1_S1_.num_vgpr)
	.set _ZN2at6native29vectorized_elementwise_kernelILi16EN12_GLOBAL__N_110CalcIgammaIfEESt5arrayIPcLm3EEEEviT0_T1_.num_agpr, max(0, .L_ZN12_GLOBAL__N_112calc_igammacIfEET_S1_S1_.num_agpr, .L_ZN12_GLOBAL__N_111calc_igammaIfEET_S1_S1_.num_agpr)
	.set _ZN2at6native29vectorized_elementwise_kernelILi16EN12_GLOBAL__N_110CalcIgammaIfEESt5arrayIPcLm3EEEEviT0_T1_.numbered_sgpr, max(52, .L_ZN12_GLOBAL__N_112calc_igammacIfEET_S1_S1_.numbered_sgpr, .L_ZN12_GLOBAL__N_111calc_igammaIfEET_S1_S1_.numbered_sgpr)
	.set _ZN2at6native29vectorized_elementwise_kernelILi16EN12_GLOBAL__N_110CalcIgammaIfEESt5arrayIPcLm3EEEEviT0_T1_.num_named_barrier, max(0, .L_ZN12_GLOBAL__N_112calc_igammacIfEET_S1_S1_.num_named_barrier, .L_ZN12_GLOBAL__N_111calc_igammaIfEET_S1_S1_.num_named_barrier)
	.set _ZN2at6native29vectorized_elementwise_kernelILi16EN12_GLOBAL__N_110CalcIgammaIfEESt5arrayIPcLm3EEEEviT0_T1_.private_seg_size, 0+max(.L_ZN12_GLOBAL__N_112calc_igammacIfEET_S1_S1_.private_seg_size, .L_ZN12_GLOBAL__N_111calc_igammaIfEET_S1_S1_.private_seg_size)
	.set _ZN2at6native29vectorized_elementwise_kernelILi16EN12_GLOBAL__N_110CalcIgammaIfEESt5arrayIPcLm3EEEEviT0_T1_.uses_vcc, or(1, .L_ZN12_GLOBAL__N_112calc_igammacIfEET_S1_S1_.uses_vcc, .L_ZN12_GLOBAL__N_111calc_igammaIfEET_S1_S1_.uses_vcc)
	.set _ZN2at6native29vectorized_elementwise_kernelILi16EN12_GLOBAL__N_110CalcIgammaIfEESt5arrayIPcLm3EEEEviT0_T1_.uses_flat_scratch, or(0, .L_ZN12_GLOBAL__N_112calc_igammacIfEET_S1_S1_.uses_flat_scratch, .L_ZN12_GLOBAL__N_111calc_igammaIfEET_S1_S1_.uses_flat_scratch)
	.set _ZN2at6native29vectorized_elementwise_kernelILi16EN12_GLOBAL__N_110CalcIgammaIfEESt5arrayIPcLm3EEEEviT0_T1_.has_dyn_sized_stack, or(0, .L_ZN12_GLOBAL__N_112calc_igammacIfEET_S1_S1_.has_dyn_sized_stack, .L_ZN12_GLOBAL__N_111calc_igammaIfEET_S1_S1_.has_dyn_sized_stack)
	.set _ZN2at6native29vectorized_elementwise_kernelILi16EN12_GLOBAL__N_110CalcIgammaIfEESt5arrayIPcLm3EEEEviT0_T1_.has_recursion, or(0, .L_ZN12_GLOBAL__N_112calc_igammacIfEET_S1_S1_.has_recursion, .L_ZN12_GLOBAL__N_111calc_igammaIfEET_S1_S1_.has_recursion)
	.set _ZN2at6native29vectorized_elementwise_kernelILi16EN12_GLOBAL__N_110CalcIgammaIfEESt5arrayIPcLm3EEEEviT0_T1_.has_indirect_call, or(0, .L_ZN12_GLOBAL__N_112calc_igammacIfEET_S1_S1_.has_indirect_call, .L_ZN12_GLOBAL__N_111calc_igammaIfEET_S1_S1_.has_indirect_call)
	.section	.AMDGPU.csdata,"",@progbits
; Kernel info:
; codeLenInByte = 2048
; TotalNumSgprs: 54
; NumVgprs: 84
; ScratchSize: 144
; MemoryBound: 0
; FloatMode: 240
; IeeeMode: 1
; LDSByteSize: 1024 bytes/workgroup (compile time only)
; SGPRBlocks: 0
; VGPRBlocks: 5
; NumSGPRsForWavesPerEU: 54
; NumVGPRsForWavesPerEU: 84
; NamedBarCnt: 0
; Occupancy: 10
; WaveLimiterHint : 0
; COMPUTE_PGM_RSRC2:SCRATCH_EN: 1
; COMPUTE_PGM_RSRC2:USER_SGPR: 4
; COMPUTE_PGM_RSRC2:TRAP_HANDLER: 0
; COMPUTE_PGM_RSRC2:TGID_X_EN: 1
; COMPUTE_PGM_RSRC2:TGID_Y_EN: 0
; COMPUTE_PGM_RSRC2:TGID_Z_EN: 0
; COMPUTE_PGM_RSRC2:TIDIG_COMP_CNT: 2
	.section	.text._ZN2at6native29vectorized_elementwise_kernelILi8EN12_GLOBAL__N_110CalcIgammaIfEESt5arrayIPcLm3EEEEviT0_T1_,"axG",@progbits,_ZN2at6native29vectorized_elementwise_kernelILi8EN12_GLOBAL__N_110CalcIgammaIfEESt5arrayIPcLm3EEEEviT0_T1_,comdat
	.globl	_ZN2at6native29vectorized_elementwise_kernelILi8EN12_GLOBAL__N_110CalcIgammaIfEESt5arrayIPcLm3EEEEviT0_T1_ ; -- Begin function _ZN2at6native29vectorized_elementwise_kernelILi8EN12_GLOBAL__N_110CalcIgammaIfEESt5arrayIPcLm3EEEEviT0_T1_
	.p2align	8
	.type	_ZN2at6native29vectorized_elementwise_kernelILi8EN12_GLOBAL__N_110CalcIgammaIfEESt5arrayIPcLm3EEEEviT0_T1_,@function
_ZN2at6native29vectorized_elementwise_kernelILi8EN12_GLOBAL__N_110CalcIgammaIfEESt5arrayIPcLm3EEEEviT0_T1_: ; @_ZN2at6native29vectorized_elementwise_kernelILi8EN12_GLOBAL__N_110CalcIgammaIfEESt5arrayIPcLm3EEEEviT0_T1_
; %bb.0:
	s_load_b64 s[4:5], s[0:1], 0x4
	s_load_b64 s[6:7], s[2:3], 0x0
	v_and_b32_e32 v60, 0x3ff, v0
	v_bfe_u32 v2, v0, 10, 10
	v_bfe_u32 v0, v0, 20, 10
	s_clause 0x1
	s_load_b128 s[36:39], s[2:3], 0x8
	s_load_b64 s[48:49], s[2:3], 0x18
	s_wait_xcnt 0x0
	s_and_b32 s1, ttmp6, 15
	s_getreg_b32 s2, hwreg(HW_REG_IB_STS2, 6, 4)
	s_mov_b32 s32, 0
	s_wait_kmcnt 0x0
	s_lshr_b32 s0, s4, 16
	v_mul_u32_u24_e32 v2, s5, v2
	s_mul_i32 s0, s0, s5
	s_delay_alu instid0(SALU_CYCLE_1) | instskip(SKIP_1) | instid1(SALU_CYCLE_1)
	v_mul_lo_u32 v1, s0, v60
	s_and_b32 s0, s7, 1
	v_mov_b32_e32 v3, s0
	s_bfe_u32 s0, ttmp6, 0x4000c
	s_delay_alu instid0(SALU_CYCLE_1) | instskip(NEXT) | instid1(SALU_CYCLE_1)
	s_add_co_i32 s0, s0, 1
	s_mul_i32 s0, ttmp9, s0
	s_delay_alu instid0(SALU_CYCLE_1) | instskip(NEXT) | instid1(VALU_DEP_2)
	s_add_co_i32 s1, s1, s0
	v_add3_u32 v63, v1, v2, v0
	s_cmp_eq_u32 s2, 0
	s_cselect_b32 s0, ttmp9, s1
	s_delay_alu instid0(SALU_CYCLE_1)
	s_lshl_b32 s46, s0, 10
	ds_store_b8 v63, v3
	ds_load_u8 v0, v63
	s_sub_co_i32 s50, s6, s46
	s_mov_b32 s0, -1
	s_cmp_gt_i32 s50, 0x3ff
	s_wait_dscnt 0x0
	v_and_b32_e32 v0, 1, v0
	s_delay_alu instid0(VALU_DEP_1)
	v_cmp_eq_u32_e32 vcc_lo, 1, v0
	ds_store_b8 v63, v0 offset:256
	v_cndmask_b32_e64 v72, 0, 1, vcc_lo
	s_cbranch_scc0 .LBB19_11
; %bb.1:
	s_ashr_i32 s47, s46, 31
                                        ; implicit-def: $vgpr42
	s_delay_alu instid0(SALU_CYCLE_1) | instskip(NEXT) | instid1(SALU_CYCLE_1)
	s_lshl_b64 s[34:35], s[46:47], 2
	s_add_nc_u64 s[0:1], s[38:39], s[34:35]
	s_add_nc_u64 s[2:3], s[48:49], s[34:35]
	s_clause 0x1
	global_load_b128 v[44:47], v60, s[0:1] scale_offset
	global_load_b128 v[56:59], v60, s[2:3] scale_offset
	ds_store_b8 v63, v72 offset:512
	ds_load_u8 v0, v63 offset:512
	s_wait_dscnt 0x0
	v_and_b32_e32 v0, 1, v0
	s_delay_alu instid0(VALU_DEP_1) | instskip(SKIP_3) | instid1(SALU_CYCLE_1)
	v_cmp_eq_u32_e32 vcc_lo, 1, v0
	s_xor_b32 s47, vcc_lo, -1
	s_wait_xcnt 0x0
	s_and_saveexec_b32 s0, s47
	s_xor_b32 s51, exec_lo, s0
	s_cbranch_execnz .LBB19_45
; %bb.2:
	s_and_not1_saveexec_b32 s26, s51
	s_cbranch_execnz .LBB19_46
.LBB19_3:
	s_or_b32 exec_lo, exec_lo, s26
	s_and_saveexec_b32 s0, s47
	s_delay_alu instid0(SALU_CYCLE_1)
	s_xor_b32 s51, exec_lo, s0
	s_cbranch_execnz .LBB19_47
.LBB19_4:
	s_and_not1_saveexec_b32 s26, s51
	s_cbranch_execnz .LBB19_48
.LBB19_5:
	s_or_b32 exec_lo, exec_lo, s26
	s_and_saveexec_b32 s0, s47
	s_delay_alu instid0(SALU_CYCLE_1)
	s_xor_b32 s51, exec_lo, s0
	s_cbranch_execnz .LBB19_49
.LBB19_6:
	s_and_not1_saveexec_b32 s26, s51
	s_cbranch_execnz .LBB19_50
.LBB19_7:
	s_or_b32 exec_lo, exec_lo, s26
	s_and_saveexec_b32 s0, s47
	s_delay_alu instid0(SALU_CYCLE_1)
	s_xor_b32 s47, exec_lo, s0
	s_cbranch_execnz .LBB19_51
.LBB19_8:
	s_and_not1_saveexec_b32 s26, s47
	s_cbranch_execz .LBB19_10
.LBB19_9:
	s_wait_loadcnt 0x0
	v_dual_mov_b32 v0, v47 :: v_dual_mov_b32 v1, v59
	s_get_pc_i64 s[0:1]
	s_add_nc_u64 s[0:1], s[0:1], _ZN12_GLOBAL__N_112calc_igammacIfEET_S1_S1_@rel64+4
	s_delay_alu instid0(SALU_CYCLE_1) | instskip(NEXT) | instid1(VALU_DEP_1)
	s_swap_pc_i64 s[30:31], s[0:1]
	v_mov_b32_e32 v45, v0
.LBB19_10:
	s_or_b32 exec_lo, exec_lo, s26
	s_add_nc_u64 s[2:3], s[36:37], s[34:35]
	s_mov_b32 s0, 0
	s_wait_loadcnt 0x1
	global_store_b128 v60, v[42:45], s[2:3] scale_offset
.LBB19_11:
	s_and_b32 vcc_lo, exec_lo, s0
	s_cbranch_vccz .LBB19_44
; %bb.12:
	v_cmp_gt_i32_e64 s34, s50, v60
	v_dual_mov_b32 v47, 0 :: v_dual_bitop2_b32 v61, s46, v60 bitop3:0x54
	v_dual_mov_b32 v1, 0 :: v_dual_add_nc_u32 v62, 0x100, v60
	v_dual_mov_b32 v0, 0 :: v_dual_mov_b32 v2, v60
	ds_store_b8 v63, v72 offset:768
	s_wait_xcnt 0x0
	s_and_saveexec_b32 s0, s34
	s_cbranch_execz .LBB19_14
; %bb.13:
	s_clause 0x1
	global_load_b32 v0, v61, s[38:39] scale_offset
	global_load_b32 v1, v61, s[48:49] scale_offset
	v_add_nc_u32_e32 v2, 0x100, v60
.LBB19_14:
	s_wait_xcnt 0x0
	s_or_b32 exec_lo, exec_lo, s0
	s_wait_loadcnt 0x0
	v_mov_b32_e32 v56, 0
	s_mov_b32 s0, exec_lo
	v_cmpx_gt_i32_e64 s50, v2
	s_cbranch_execz .LBB19_16
; %bb.15:
	v_add_nc_u32_e32 v3, s46, v2
	v_add_nc_u32_e32 v2, 0x100, v2
	s_clause 0x1
	global_load_b32 v47, v3, s[38:39] scale_offset
	global_load_b32 v56, v3, s[48:49] scale_offset
.LBB19_16:
	s_wait_xcnt 0x0
	s_or_b32 exec_lo, exec_lo, s0
	v_dual_mov_b32 v43, 0 :: v_dual_mov_b32 v45, 0
	v_mov_b32_e32 v46, 0
	s_mov_b32 s0, exec_lo
	v_cmpx_gt_i32_e64 s50, v2
	s_cbranch_execz .LBB19_18
; %bb.17:
	v_add_nc_u32_e32 v3, s46, v2
	v_add_nc_u32_e32 v2, 0x100, v2
	s_clause 0x1
	global_load_b32 v45, v3, s[38:39] scale_offset
	global_load_b32 v46, v3, s[48:49] scale_offset
.LBB19_18:
	s_wait_xcnt 0x0
	s_or_b32 exec_lo, exec_lo, s0
	v_mov_b32_e32 v44, 0
	s_mov_b32 s0, exec_lo
	v_cmpx_gt_i32_e64 s50, v2
	s_cbranch_execz .LBB19_20
; %bb.19:
	v_add_nc_u32_e32 v2, s46, v2
	s_clause 0x1
	global_load_b32 v43, v2, s[38:39] scale_offset
	global_load_b32 v44, v2, s[48:49] scale_offset
.LBB19_20:
	s_wait_xcnt 0x0
	s_or_b32 exec_lo, exec_lo, s0
	ds_load_u8 v2, v63 offset:768
	v_mov_b32_e32 v42, 0
	s_delay_alu instid0(VALU_DEP_1) | instskip(SKIP_2) | instid1(VALU_DEP_1)
	v_dual_mov_b32 v57, v42 :: v_dual_mov_b32 v58, v42
	s_wait_dscnt 0x0
	v_dual_mov_b32 v59, v42 :: v_dual_bitop2_b32 v2, 1, v2 bitop3:0x40
	v_cmp_eq_u32_e32 vcc_lo, 1, v2
	s_xor_b32 s35, vcc_lo, -1
	s_and_saveexec_b32 s38, s34
	s_cbranch_execz .LBB19_26
; %bb.21:
                                        ; implicit-def: $vgpr42
	s_and_saveexec_b32 s0, s35
	s_delay_alu instid0(SALU_CYCLE_1)
	s_xor_b32 s39, exec_lo, s0
	s_cbranch_execz .LBB19_23
; %bb.22:
	s_get_pc_i64 s[0:1]
	s_add_nc_u64 s[0:1], s[0:1], _ZN12_GLOBAL__N_111calc_igammaIfEET_S1_S1_@rel64+4
	s_delay_alu instid0(SALU_CYCLE_1)
	s_swap_pc_i64 s[30:31], s[0:1]
	v_mov_b32_e32 v42, v0
                                        ; implicit-def: $vgpr0
                                        ; implicit-def: $vgpr1
.LBB19_23:
	s_and_not1_saveexec_b32 s26, s39
	s_cbranch_execz .LBB19_25
; %bb.24:
	s_get_pc_i64 s[0:1]
	s_add_nc_u64 s[0:1], s[0:1], _ZN12_GLOBAL__N_112calc_igammacIfEET_S1_S1_@rel64+4
	s_delay_alu instid0(SALU_CYCLE_1)
	s_swap_pc_i64 s[30:31], s[0:1]
	v_mov_b32_e32 v42, v0
.LBB19_25:
	s_or_b32 exec_lo, exec_lo, s26
	v_mov_b32_e32 v57, 0
	s_delay_alu instid0(VALU_DEP_1)
	v_dual_mov_b32 v58, v57 :: v_dual_mov_b32 v59, v57
.LBB19_26:
	s_or_b32 exec_lo, exec_lo, s38
	s_delay_alu instid0(SALU_CYCLE_1)
	s_mov_b32 s38, exec_lo
	v_cmpx_gt_i32_e64 s50, v62
	s_cbranch_execz .LBB19_32
; %bb.27:
	s_and_saveexec_b32 s0, s35
	s_delay_alu instid0(SALU_CYCLE_1)
	s_xor_b32 s39, exec_lo, s0
                                        ; implicit-def: $vgpr57
	s_cbranch_execz .LBB19_29
; %bb.28:
	s_wait_loadcnt 0x0
	v_dual_mov_b32 v0, v47 :: v_dual_mov_b32 v1, v56
	s_get_pc_i64 s[0:1]
	s_add_nc_u64 s[0:1], s[0:1], _ZN12_GLOBAL__N_111calc_igammaIfEET_S1_S1_@rel64+4
	s_delay_alu instid0(SALU_CYCLE_1) | instskip(NEXT) | instid1(VALU_DEP_1)
	s_swap_pc_i64 s[30:31], s[0:1]
	v_mov_b32_e32 v57, v0
                                        ; implicit-def: $vgpr47
                                        ; implicit-def: $vgpr56
.LBB19_29:
	s_and_not1_saveexec_b32 s26, s39
	s_cbranch_execz .LBB19_31
; %bb.30:
	s_wait_loadcnt 0x0
	v_dual_mov_b32 v0, v47 :: v_dual_mov_b32 v1, v56
	s_get_pc_i64 s[0:1]
	s_add_nc_u64 s[0:1], s[0:1], _ZN12_GLOBAL__N_112calc_igammacIfEET_S1_S1_@rel64+4
	s_delay_alu instid0(SALU_CYCLE_1) | instskip(NEXT) | instid1(VALU_DEP_1)
	s_swap_pc_i64 s[30:31], s[0:1]
	v_mov_b32_e32 v57, v0
.LBB19_31:
	s_or_b32 exec_lo, exec_lo, s26
.LBB19_32:
	s_delay_alu instid0(SALU_CYCLE_1) | instskip(SKIP_2) | instid1(VALU_DEP_1)
	s_or_b32 exec_lo, exec_lo, s38
	v_add_nc_u32_e32 v0, 0x200, v60
	s_mov_b32 s38, exec_lo
	v_cmpx_gt_i32_e64 s50, v0
	s_cbranch_execz .LBB19_38
; %bb.33:
	s_and_saveexec_b32 s0, s35
	s_delay_alu instid0(SALU_CYCLE_1)
	s_xor_b32 s39, exec_lo, s0
                                        ; implicit-def: $vgpr58
	s_cbranch_execz .LBB19_35
; %bb.34:
	s_wait_loadcnt 0x0
	v_dual_mov_b32 v0, v45 :: v_dual_mov_b32 v1, v46
	s_get_pc_i64 s[0:1]
	s_add_nc_u64 s[0:1], s[0:1], _ZN12_GLOBAL__N_111calc_igammaIfEET_S1_S1_@rel64+4
	s_delay_alu instid0(SALU_CYCLE_1) | instskip(NEXT) | instid1(VALU_DEP_1)
	s_swap_pc_i64 s[30:31], s[0:1]
	v_mov_b32_e32 v58, v0
                                        ; implicit-def: $vgpr45
                                        ; implicit-def: $vgpr46
.LBB19_35:
	s_and_not1_saveexec_b32 s26, s39
	s_cbranch_execz .LBB19_37
; %bb.36:
	s_wait_loadcnt 0x0
	v_dual_mov_b32 v0, v45 :: v_dual_mov_b32 v1, v46
	s_get_pc_i64 s[0:1]
	s_add_nc_u64 s[0:1], s[0:1], _ZN12_GLOBAL__N_112calc_igammacIfEET_S1_S1_@rel64+4
	s_delay_alu instid0(SALU_CYCLE_1) | instskip(NEXT) | instid1(VALU_DEP_1)
	s_swap_pc_i64 s[30:31], s[0:1]
	v_mov_b32_e32 v58, v0
.LBB19_37:
	s_or_b32 exec_lo, exec_lo, s26
.LBB19_38:
	s_delay_alu instid0(SALU_CYCLE_1) | instskip(SKIP_2) | instid1(VALU_DEP_1)
	s_or_b32 exec_lo, exec_lo, s38
	v_add_nc_u32_e32 v0, 0x300, v60
	s_mov_b32 s38, exec_lo
	v_cmpx_gt_i32_e64 s50, v0
	s_cbranch_execnz .LBB19_52
; %bb.39:
	s_or_b32 exec_lo, exec_lo, s38
	s_and_saveexec_b32 s0, s34
	s_delay_alu instid0(SALU_CYCLE_1)
	s_xor_b32 s0, exec_lo, s0
	s_cbranch_execnz .LBB19_57
.LBB19_40:
	s_or_b32 exec_lo, exec_lo, s0
	s_delay_alu instid0(SALU_CYCLE_1)
	s_mov_b32 s0, exec_lo
	v_cmpx_gt_i32_e64 s50, v60
	s_cbranch_execnz .LBB19_58
.LBB19_41:
	s_or_b32 exec_lo, exec_lo, s0
	s_delay_alu instid0(SALU_CYCLE_1)
	s_mov_b32 s0, exec_lo
	v_cmpx_gt_i32_e64 s50, v60
	s_cbranch_execnz .LBB19_59
.LBB19_42:
	s_or_b32 exec_lo, exec_lo, s0
	s_delay_alu instid0(SALU_CYCLE_1)
	s_mov_b32 s0, exec_lo
	v_cmpx_gt_i32_e64 s50, v60
	s_cbranch_execz .LBB19_44
.LBB19_43:
	v_add_nc_u32_e32 v0, s46, v60
	global_store_b32 v0, v59, s[36:37] scale_offset
.LBB19_44:
	s_endpgm
.LBB19_45:
	s_wait_loadcnt 0x0
	v_dual_mov_b32 v0, v44 :: v_dual_mov_b32 v1, v56
	s_get_pc_i64 s[0:1]
	s_add_nc_u64 s[0:1], s[0:1], _ZN12_GLOBAL__N_111calc_igammaIfEET_S1_S1_@rel64+4
	s_delay_alu instid0(SALU_CYCLE_1) | instskip(NEXT) | instid1(VALU_DEP_1)
	s_swap_pc_i64 s[30:31], s[0:1]
	v_mov_b32_e32 v42, v0
	s_and_not1_saveexec_b32 s26, s51
	s_cbranch_execz .LBB19_3
.LBB19_46:
	s_wait_loadcnt 0x0
	v_dual_mov_b32 v0, v44 :: v_dual_mov_b32 v1, v56
	s_get_pc_i64 s[0:1]
	s_add_nc_u64 s[0:1], s[0:1], _ZN12_GLOBAL__N_112calc_igammacIfEET_S1_S1_@rel64+4
	s_delay_alu instid0(SALU_CYCLE_1) | instskip(NEXT) | instid1(VALU_DEP_1)
	s_swap_pc_i64 s[30:31], s[0:1]
	v_mov_b32_e32 v42, v0
	s_or_b32 exec_lo, exec_lo, s26
	s_and_saveexec_b32 s0, s47
	s_delay_alu instid0(SALU_CYCLE_1)
	s_xor_b32 s51, exec_lo, s0
	s_cbranch_execz .LBB19_4
.LBB19_47:
	s_wait_loadcnt 0x0
	v_dual_mov_b32 v0, v45 :: v_dual_mov_b32 v1, v57
	s_get_pc_i64 s[0:1]
	s_add_nc_u64 s[0:1], s[0:1], _ZN12_GLOBAL__N_111calc_igammaIfEET_S1_S1_@rel64+4
	s_delay_alu instid0(SALU_CYCLE_1) | instskip(NEXT) | instid1(VALU_DEP_1)
	s_swap_pc_i64 s[30:31], s[0:1]
	v_mov_b32_e32 v43, v0
	s_and_not1_saveexec_b32 s26, s51
	s_cbranch_execz .LBB19_5
.LBB19_48:
	s_wait_loadcnt 0x0
	v_dual_mov_b32 v0, v45 :: v_dual_mov_b32 v1, v57
	s_get_pc_i64 s[0:1]
	s_add_nc_u64 s[0:1], s[0:1], _ZN12_GLOBAL__N_112calc_igammacIfEET_S1_S1_@rel64+4
	s_delay_alu instid0(SALU_CYCLE_1) | instskip(NEXT) | instid1(VALU_DEP_1)
	s_swap_pc_i64 s[30:31], s[0:1]
	v_mov_b32_e32 v43, v0
	s_or_b32 exec_lo, exec_lo, s26
	s_and_saveexec_b32 s0, s47
	s_delay_alu instid0(SALU_CYCLE_1)
	s_xor_b32 s51, exec_lo, s0
	s_cbranch_execz .LBB19_6
.LBB19_49:
	s_wait_loadcnt 0x0
	v_dual_mov_b32 v0, v46 :: v_dual_mov_b32 v1, v58
	s_get_pc_i64 s[0:1]
	s_add_nc_u64 s[0:1], s[0:1], _ZN12_GLOBAL__N_111calc_igammaIfEET_S1_S1_@rel64+4
	s_delay_alu instid0(SALU_CYCLE_1) | instskip(NEXT) | instid1(VALU_DEP_1)
	s_swap_pc_i64 s[30:31], s[0:1]
	v_mov_b32_e32 v44, v0
	s_and_not1_saveexec_b32 s26, s51
	s_cbranch_execz .LBB19_7
.LBB19_50:
	s_wait_loadcnt 0x0
	v_dual_mov_b32 v0, v46 :: v_dual_mov_b32 v1, v58
	s_get_pc_i64 s[0:1]
	s_add_nc_u64 s[0:1], s[0:1], _ZN12_GLOBAL__N_112calc_igammacIfEET_S1_S1_@rel64+4
	s_delay_alu instid0(SALU_CYCLE_1) | instskip(NEXT) | instid1(VALU_DEP_1)
	s_swap_pc_i64 s[30:31], s[0:1]
	v_mov_b32_e32 v44, v0
	s_or_b32 exec_lo, exec_lo, s26
	s_and_saveexec_b32 s0, s47
	s_delay_alu instid0(SALU_CYCLE_1)
	s_xor_b32 s47, exec_lo, s0
	s_cbranch_execz .LBB19_8
.LBB19_51:
	s_wait_loadcnt 0x0
	v_dual_mov_b32 v0, v47 :: v_dual_mov_b32 v1, v59
	s_get_pc_i64 s[0:1]
	s_add_nc_u64 s[0:1], s[0:1], _ZN12_GLOBAL__N_111calc_igammaIfEET_S1_S1_@rel64+4
	s_delay_alu instid0(SALU_CYCLE_1) | instskip(NEXT) | instid1(VALU_DEP_1)
	s_swap_pc_i64 s[30:31], s[0:1]
	v_mov_b32_e32 v45, v0
                                        ; implicit-def: $vgpr47
                                        ; implicit-def: $vgpr59
	s_and_not1_saveexec_b32 s26, s47
	s_cbranch_execnz .LBB19_9
	s_branch .LBB19_10
.LBB19_52:
	s_and_saveexec_b32 s0, s35
	s_delay_alu instid0(SALU_CYCLE_1)
	s_xor_b32 s35, exec_lo, s0
                                        ; implicit-def: $vgpr59
	s_cbranch_execz .LBB19_54
; %bb.53:
	s_wait_loadcnt 0x0
	v_dual_mov_b32 v0, v43 :: v_dual_mov_b32 v1, v44
	s_get_pc_i64 s[0:1]
	s_add_nc_u64 s[0:1], s[0:1], _ZN12_GLOBAL__N_111calc_igammaIfEET_S1_S1_@rel64+4
	s_delay_alu instid0(SALU_CYCLE_1) | instskip(NEXT) | instid1(VALU_DEP_1)
	s_swap_pc_i64 s[30:31], s[0:1]
	v_mov_b32_e32 v59, v0
                                        ; implicit-def: $vgpr43
                                        ; implicit-def: $vgpr44
.LBB19_54:
	s_and_not1_saveexec_b32 s26, s35
	s_cbranch_execz .LBB19_56
; %bb.55:
	s_wait_loadcnt 0x0
	v_dual_mov_b32 v0, v43 :: v_dual_mov_b32 v1, v44
	s_get_pc_i64 s[0:1]
	s_add_nc_u64 s[0:1], s[0:1], _ZN12_GLOBAL__N_112calc_igammacIfEET_S1_S1_@rel64+4
	s_delay_alu instid0(SALU_CYCLE_1) | instskip(NEXT) | instid1(VALU_DEP_1)
	s_swap_pc_i64 s[30:31], s[0:1]
	v_mov_b32_e32 v59, v0
.LBB19_56:
	s_or_b32 exec_lo, exec_lo, s26
	s_delay_alu instid0(SALU_CYCLE_1) | instskip(SKIP_1) | instid1(SALU_CYCLE_1)
	s_or_b32 exec_lo, exec_lo, s38
	s_and_saveexec_b32 s0, s34
	s_xor_b32 s0, exec_lo, s0
	s_cbranch_execz .LBB19_40
.LBB19_57:
	v_mov_b32_e32 v60, v62
	global_store_b32 v61, v42, s[36:37] scale_offset
	s_wait_xcnt 0x0
	s_or_b32 exec_lo, exec_lo, s0
	s_delay_alu instid0(SALU_CYCLE_1)
	s_mov_b32 s0, exec_lo
	v_cmpx_gt_i32_e64 s50, v60
	s_cbranch_execz .LBB19_41
.LBB19_58:
	v_add_nc_u32_e32 v0, s46, v60
	v_add_nc_u32_e32 v60, 0x100, v60
	global_store_b32 v0, v57, s[36:37] scale_offset
	s_wait_xcnt 0x0
	s_or_b32 exec_lo, exec_lo, s0
	s_delay_alu instid0(SALU_CYCLE_1)
	s_mov_b32 s0, exec_lo
	v_cmpx_gt_i32_e64 s50, v60
	s_cbranch_execz .LBB19_42
.LBB19_59:
	v_add_nc_u32_e32 v0, s46, v60
	v_add_nc_u32_e32 v60, 0x100, v60
	global_store_b32 v0, v58, s[36:37] scale_offset
	s_wait_xcnt 0x0
	s_or_b32 exec_lo, exec_lo, s0
	s_delay_alu instid0(SALU_CYCLE_1)
	s_mov_b32 s0, exec_lo
	v_cmpx_gt_i32_e64 s50, v60
	s_cbranch_execnz .LBB19_43
	s_branch .LBB19_44
	.section	.rodata,"a",@progbits
	.p2align	6, 0x0
	.amdhsa_kernel _ZN2at6native29vectorized_elementwise_kernelILi8EN12_GLOBAL__N_110CalcIgammaIfEESt5arrayIPcLm3EEEEviT0_T1_
		.amdhsa_group_segment_fixed_size 1024
		.amdhsa_private_segment_fixed_size 144
		.amdhsa_kernarg_size 32
		.amdhsa_user_sgpr_count 4
		.amdhsa_user_sgpr_dispatch_ptr 1
		.amdhsa_user_sgpr_queue_ptr 0
		.amdhsa_user_sgpr_kernarg_segment_ptr 1
		.amdhsa_user_sgpr_dispatch_id 0
		.amdhsa_user_sgpr_kernarg_preload_length 0
		.amdhsa_user_sgpr_kernarg_preload_offset 0
		.amdhsa_user_sgpr_private_segment_size 0
		.amdhsa_wavefront_size32 1
		.amdhsa_uses_dynamic_stack 0
		.amdhsa_enable_private_segment 1
		.amdhsa_system_sgpr_workgroup_id_x 1
		.amdhsa_system_sgpr_workgroup_id_y 0
		.amdhsa_system_sgpr_workgroup_id_z 0
		.amdhsa_system_sgpr_workgroup_info 0
		.amdhsa_system_vgpr_workitem_id 2
		.amdhsa_next_free_vgpr 84
		.amdhsa_next_free_sgpr 52
		.amdhsa_named_barrier_count 0
		.amdhsa_reserve_vcc 1
		.amdhsa_float_round_mode_32 0
		.amdhsa_float_round_mode_16_64 0
		.amdhsa_float_denorm_mode_32 3
		.amdhsa_float_denorm_mode_16_64 3
		.amdhsa_fp16_overflow 0
		.amdhsa_memory_ordered 1
		.amdhsa_forward_progress 1
		.amdhsa_inst_pref_size 16
		.amdhsa_round_robin_scheduling 0
		.amdhsa_exception_fp_ieee_invalid_op 0
		.amdhsa_exception_fp_denorm_src 0
		.amdhsa_exception_fp_ieee_div_zero 0
		.amdhsa_exception_fp_ieee_overflow 0
		.amdhsa_exception_fp_ieee_underflow 0
		.amdhsa_exception_fp_ieee_inexact 0
		.amdhsa_exception_int_div_zero 0
	.end_amdhsa_kernel
	.section	.text._ZN2at6native29vectorized_elementwise_kernelILi8EN12_GLOBAL__N_110CalcIgammaIfEESt5arrayIPcLm3EEEEviT0_T1_,"axG",@progbits,_ZN2at6native29vectorized_elementwise_kernelILi8EN12_GLOBAL__N_110CalcIgammaIfEESt5arrayIPcLm3EEEEviT0_T1_,comdat
.Lfunc_end19:
	.size	_ZN2at6native29vectorized_elementwise_kernelILi8EN12_GLOBAL__N_110CalcIgammaIfEESt5arrayIPcLm3EEEEviT0_T1_, .Lfunc_end19-_ZN2at6native29vectorized_elementwise_kernelILi8EN12_GLOBAL__N_110CalcIgammaIfEESt5arrayIPcLm3EEEEviT0_T1_
                                        ; -- End function
	.set _ZN2at6native29vectorized_elementwise_kernelILi8EN12_GLOBAL__N_110CalcIgammaIfEESt5arrayIPcLm3EEEEviT0_T1_.num_vgpr, max(73, .L_ZN12_GLOBAL__N_112calc_igammacIfEET_S1_S1_.num_vgpr, .L_ZN12_GLOBAL__N_111calc_igammaIfEET_S1_S1_.num_vgpr)
	.set _ZN2at6native29vectorized_elementwise_kernelILi8EN12_GLOBAL__N_110CalcIgammaIfEESt5arrayIPcLm3EEEEviT0_T1_.num_agpr, max(0, .L_ZN12_GLOBAL__N_112calc_igammacIfEET_S1_S1_.num_agpr, .L_ZN12_GLOBAL__N_111calc_igammaIfEET_S1_S1_.num_agpr)
	.set _ZN2at6native29vectorized_elementwise_kernelILi8EN12_GLOBAL__N_110CalcIgammaIfEESt5arrayIPcLm3EEEEviT0_T1_.numbered_sgpr, max(52, .L_ZN12_GLOBAL__N_112calc_igammacIfEET_S1_S1_.numbered_sgpr, .L_ZN12_GLOBAL__N_111calc_igammaIfEET_S1_S1_.numbered_sgpr)
	.set _ZN2at6native29vectorized_elementwise_kernelILi8EN12_GLOBAL__N_110CalcIgammaIfEESt5arrayIPcLm3EEEEviT0_T1_.num_named_barrier, max(0, .L_ZN12_GLOBAL__N_112calc_igammacIfEET_S1_S1_.num_named_barrier, .L_ZN12_GLOBAL__N_111calc_igammaIfEET_S1_S1_.num_named_barrier)
	.set _ZN2at6native29vectorized_elementwise_kernelILi8EN12_GLOBAL__N_110CalcIgammaIfEESt5arrayIPcLm3EEEEviT0_T1_.private_seg_size, 0+max(.L_ZN12_GLOBAL__N_112calc_igammacIfEET_S1_S1_.private_seg_size, .L_ZN12_GLOBAL__N_111calc_igammaIfEET_S1_S1_.private_seg_size)
	.set _ZN2at6native29vectorized_elementwise_kernelILi8EN12_GLOBAL__N_110CalcIgammaIfEESt5arrayIPcLm3EEEEviT0_T1_.uses_vcc, or(1, .L_ZN12_GLOBAL__N_112calc_igammacIfEET_S1_S1_.uses_vcc, .L_ZN12_GLOBAL__N_111calc_igammaIfEET_S1_S1_.uses_vcc)
	.set _ZN2at6native29vectorized_elementwise_kernelILi8EN12_GLOBAL__N_110CalcIgammaIfEESt5arrayIPcLm3EEEEviT0_T1_.uses_flat_scratch, or(0, .L_ZN12_GLOBAL__N_112calc_igammacIfEET_S1_S1_.uses_flat_scratch, .L_ZN12_GLOBAL__N_111calc_igammaIfEET_S1_S1_.uses_flat_scratch)
	.set _ZN2at6native29vectorized_elementwise_kernelILi8EN12_GLOBAL__N_110CalcIgammaIfEESt5arrayIPcLm3EEEEviT0_T1_.has_dyn_sized_stack, or(0, .L_ZN12_GLOBAL__N_112calc_igammacIfEET_S1_S1_.has_dyn_sized_stack, .L_ZN12_GLOBAL__N_111calc_igammaIfEET_S1_S1_.has_dyn_sized_stack)
	.set _ZN2at6native29vectorized_elementwise_kernelILi8EN12_GLOBAL__N_110CalcIgammaIfEESt5arrayIPcLm3EEEEviT0_T1_.has_recursion, or(0, .L_ZN12_GLOBAL__N_112calc_igammacIfEET_S1_S1_.has_recursion, .L_ZN12_GLOBAL__N_111calc_igammaIfEET_S1_S1_.has_recursion)
	.set _ZN2at6native29vectorized_elementwise_kernelILi8EN12_GLOBAL__N_110CalcIgammaIfEESt5arrayIPcLm3EEEEviT0_T1_.has_indirect_call, or(0, .L_ZN12_GLOBAL__N_112calc_igammacIfEET_S1_S1_.has_indirect_call, .L_ZN12_GLOBAL__N_111calc_igammaIfEET_S1_S1_.has_indirect_call)
	.section	.AMDGPU.csdata,"",@progbits
; Kernel info:
; codeLenInByte = 2048
; TotalNumSgprs: 54
; NumVgprs: 84
; ScratchSize: 144
; MemoryBound: 0
; FloatMode: 240
; IeeeMode: 1
; LDSByteSize: 1024 bytes/workgroup (compile time only)
; SGPRBlocks: 0
; VGPRBlocks: 5
; NumSGPRsForWavesPerEU: 54
; NumVGPRsForWavesPerEU: 84
; NamedBarCnt: 0
; Occupancy: 10
; WaveLimiterHint : 0
; COMPUTE_PGM_RSRC2:SCRATCH_EN: 1
; COMPUTE_PGM_RSRC2:USER_SGPR: 4
; COMPUTE_PGM_RSRC2:TRAP_HANDLER: 0
; COMPUTE_PGM_RSRC2:TGID_X_EN: 1
; COMPUTE_PGM_RSRC2:TGID_Y_EN: 0
; COMPUTE_PGM_RSRC2:TGID_Z_EN: 0
; COMPUTE_PGM_RSRC2:TIDIG_COMP_CNT: 2
	.section	.text._ZN2at6native29vectorized_elementwise_kernelILi4EN12_GLOBAL__N_110CalcIgammaIfEESt5arrayIPcLm3EEEEviT0_T1_,"axG",@progbits,_ZN2at6native29vectorized_elementwise_kernelILi4EN12_GLOBAL__N_110CalcIgammaIfEESt5arrayIPcLm3EEEEviT0_T1_,comdat
	.globl	_ZN2at6native29vectorized_elementwise_kernelILi4EN12_GLOBAL__N_110CalcIgammaIfEESt5arrayIPcLm3EEEEviT0_T1_ ; -- Begin function _ZN2at6native29vectorized_elementwise_kernelILi4EN12_GLOBAL__N_110CalcIgammaIfEESt5arrayIPcLm3EEEEviT0_T1_
	.p2align	8
	.type	_ZN2at6native29vectorized_elementwise_kernelILi4EN12_GLOBAL__N_110CalcIgammaIfEESt5arrayIPcLm3EEEEviT0_T1_,@function
_ZN2at6native29vectorized_elementwise_kernelILi4EN12_GLOBAL__N_110CalcIgammaIfEESt5arrayIPcLm3EEEEviT0_T1_: ; @_ZN2at6native29vectorized_elementwise_kernelILi4EN12_GLOBAL__N_110CalcIgammaIfEESt5arrayIPcLm3EEEEviT0_T1_
; %bb.0:
	s_load_b64 s[4:5], s[0:1], 0x4
	s_load_b64 s[6:7], s[2:3], 0x0
	v_and_b32_e32 v60, 0x3ff, v0
	v_bfe_u32 v2, v0, 10, 10
	v_bfe_u32 v0, v0, 20, 10
	s_clause 0x1
	s_load_b128 s[36:39], s[2:3], 0x8
	s_load_b64 s[48:49], s[2:3], 0x18
	s_wait_xcnt 0x0
	s_and_b32 s1, ttmp6, 15
	s_getreg_b32 s2, hwreg(HW_REG_IB_STS2, 6, 4)
	s_mov_b32 s32, 0
	s_wait_kmcnt 0x0
	s_lshr_b32 s0, s4, 16
	v_mul_u32_u24_e32 v2, s5, v2
	s_mul_i32 s0, s0, s5
	s_delay_alu instid0(SALU_CYCLE_1) | instskip(SKIP_1) | instid1(SALU_CYCLE_1)
	v_mul_lo_u32 v1, s0, v60
	s_and_b32 s0, s7, 1
	v_mov_b32_e32 v3, s0
	s_bfe_u32 s0, ttmp6, 0x4000c
	s_delay_alu instid0(SALU_CYCLE_1) | instskip(NEXT) | instid1(SALU_CYCLE_1)
	s_add_co_i32 s0, s0, 1
	s_mul_i32 s0, ttmp9, s0
	s_delay_alu instid0(SALU_CYCLE_1) | instskip(NEXT) | instid1(VALU_DEP_2)
	s_add_co_i32 s1, s1, s0
	v_add3_u32 v63, v1, v2, v0
	s_cmp_eq_u32 s2, 0
	s_cselect_b32 s0, ttmp9, s1
	s_delay_alu instid0(SALU_CYCLE_1)
	s_lshl_b32 s46, s0, 10
	ds_store_b8 v63, v3
	ds_load_u8 v0, v63
	s_sub_co_i32 s50, s6, s46
	s_mov_b32 s0, -1
	s_cmp_gt_i32 s50, 0x3ff
	s_wait_dscnt 0x0
	v_and_b32_e32 v0, 1, v0
	s_delay_alu instid0(VALU_DEP_1)
	v_cmp_eq_u32_e32 vcc_lo, 1, v0
	ds_store_b8 v63, v0 offset:256
	v_cndmask_b32_e64 v72, 0, 1, vcc_lo
	s_cbranch_scc0 .LBB20_11
; %bb.1:
	s_ashr_i32 s47, s46, 31
                                        ; implicit-def: $vgpr42
	s_delay_alu instid0(SALU_CYCLE_1) | instskip(NEXT) | instid1(SALU_CYCLE_1)
	s_lshl_b64 s[34:35], s[46:47], 2
	s_add_nc_u64 s[0:1], s[38:39], s[34:35]
	s_add_nc_u64 s[2:3], s[48:49], s[34:35]
	s_clause 0x1
	global_load_b128 v[44:47], v60, s[0:1] scale_offset
	global_load_b128 v[56:59], v60, s[2:3] scale_offset
	ds_store_b8 v63, v72 offset:512
	ds_load_u8 v0, v63 offset:512
	s_wait_dscnt 0x0
	v_and_b32_e32 v0, 1, v0
	s_delay_alu instid0(VALU_DEP_1) | instskip(SKIP_3) | instid1(SALU_CYCLE_1)
	v_cmp_eq_u32_e32 vcc_lo, 1, v0
	s_xor_b32 s47, vcc_lo, -1
	s_wait_xcnt 0x0
	s_and_saveexec_b32 s0, s47
	s_xor_b32 s51, exec_lo, s0
	s_cbranch_execnz .LBB20_45
; %bb.2:
	s_and_not1_saveexec_b32 s26, s51
	s_cbranch_execnz .LBB20_46
.LBB20_3:
	s_or_b32 exec_lo, exec_lo, s26
	s_and_saveexec_b32 s0, s47
	s_delay_alu instid0(SALU_CYCLE_1)
	s_xor_b32 s51, exec_lo, s0
	s_cbranch_execnz .LBB20_47
.LBB20_4:
	s_and_not1_saveexec_b32 s26, s51
	s_cbranch_execnz .LBB20_48
.LBB20_5:
	s_or_b32 exec_lo, exec_lo, s26
	s_and_saveexec_b32 s0, s47
	s_delay_alu instid0(SALU_CYCLE_1)
	s_xor_b32 s51, exec_lo, s0
	s_cbranch_execnz .LBB20_49
.LBB20_6:
	s_and_not1_saveexec_b32 s26, s51
	s_cbranch_execnz .LBB20_50
.LBB20_7:
	s_or_b32 exec_lo, exec_lo, s26
	s_and_saveexec_b32 s0, s47
	s_delay_alu instid0(SALU_CYCLE_1)
	s_xor_b32 s47, exec_lo, s0
	s_cbranch_execnz .LBB20_51
.LBB20_8:
	s_and_not1_saveexec_b32 s26, s47
	s_cbranch_execz .LBB20_10
.LBB20_9:
	s_wait_loadcnt 0x0
	v_dual_mov_b32 v0, v47 :: v_dual_mov_b32 v1, v59
	s_get_pc_i64 s[0:1]
	s_add_nc_u64 s[0:1], s[0:1], _ZN12_GLOBAL__N_112calc_igammacIfEET_S1_S1_@rel64+4
	s_delay_alu instid0(SALU_CYCLE_1) | instskip(NEXT) | instid1(VALU_DEP_1)
	s_swap_pc_i64 s[30:31], s[0:1]
	v_mov_b32_e32 v45, v0
.LBB20_10:
	s_or_b32 exec_lo, exec_lo, s26
	s_add_nc_u64 s[2:3], s[36:37], s[34:35]
	s_mov_b32 s0, 0
	s_wait_loadcnt 0x1
	global_store_b128 v60, v[42:45], s[2:3] scale_offset
.LBB20_11:
	s_and_b32 vcc_lo, exec_lo, s0
	s_cbranch_vccz .LBB20_44
; %bb.12:
	v_cmp_gt_i32_e64 s34, s50, v60
	v_dual_mov_b32 v47, 0 :: v_dual_bitop2_b32 v61, s46, v60 bitop3:0x54
	v_dual_mov_b32 v1, 0 :: v_dual_add_nc_u32 v62, 0x100, v60
	v_dual_mov_b32 v0, 0 :: v_dual_mov_b32 v2, v60
	ds_store_b8 v63, v72 offset:768
	s_wait_xcnt 0x0
	s_and_saveexec_b32 s0, s34
	s_cbranch_execz .LBB20_14
; %bb.13:
	s_clause 0x1
	global_load_b32 v0, v61, s[38:39] scale_offset
	global_load_b32 v1, v61, s[48:49] scale_offset
	v_add_nc_u32_e32 v2, 0x100, v60
.LBB20_14:
	s_wait_xcnt 0x0
	s_or_b32 exec_lo, exec_lo, s0
	s_wait_loadcnt 0x0
	v_mov_b32_e32 v56, 0
	s_mov_b32 s0, exec_lo
	v_cmpx_gt_i32_e64 s50, v2
	s_cbranch_execz .LBB20_16
; %bb.15:
	v_add_nc_u32_e32 v3, s46, v2
	v_add_nc_u32_e32 v2, 0x100, v2
	s_clause 0x1
	global_load_b32 v47, v3, s[38:39] scale_offset
	global_load_b32 v56, v3, s[48:49] scale_offset
.LBB20_16:
	s_wait_xcnt 0x0
	s_or_b32 exec_lo, exec_lo, s0
	v_dual_mov_b32 v43, 0 :: v_dual_mov_b32 v45, 0
	v_mov_b32_e32 v46, 0
	s_mov_b32 s0, exec_lo
	v_cmpx_gt_i32_e64 s50, v2
	s_cbranch_execz .LBB20_18
; %bb.17:
	v_add_nc_u32_e32 v3, s46, v2
	v_add_nc_u32_e32 v2, 0x100, v2
	s_clause 0x1
	global_load_b32 v45, v3, s[38:39] scale_offset
	global_load_b32 v46, v3, s[48:49] scale_offset
.LBB20_18:
	s_wait_xcnt 0x0
	s_or_b32 exec_lo, exec_lo, s0
	v_mov_b32_e32 v44, 0
	s_mov_b32 s0, exec_lo
	v_cmpx_gt_i32_e64 s50, v2
	s_cbranch_execz .LBB20_20
; %bb.19:
	v_add_nc_u32_e32 v2, s46, v2
	s_clause 0x1
	global_load_b32 v43, v2, s[38:39] scale_offset
	global_load_b32 v44, v2, s[48:49] scale_offset
.LBB20_20:
	s_wait_xcnt 0x0
	s_or_b32 exec_lo, exec_lo, s0
	ds_load_u8 v2, v63 offset:768
	v_mov_b32_e32 v42, 0
	s_delay_alu instid0(VALU_DEP_1) | instskip(SKIP_2) | instid1(VALU_DEP_1)
	v_dual_mov_b32 v57, v42 :: v_dual_mov_b32 v58, v42
	s_wait_dscnt 0x0
	v_dual_mov_b32 v59, v42 :: v_dual_bitop2_b32 v2, 1, v2 bitop3:0x40
	v_cmp_eq_u32_e32 vcc_lo, 1, v2
	s_xor_b32 s35, vcc_lo, -1
	s_and_saveexec_b32 s38, s34
	s_cbranch_execz .LBB20_26
; %bb.21:
                                        ; implicit-def: $vgpr42
	s_and_saveexec_b32 s0, s35
	s_delay_alu instid0(SALU_CYCLE_1)
	s_xor_b32 s39, exec_lo, s0
	s_cbranch_execz .LBB20_23
; %bb.22:
	s_get_pc_i64 s[0:1]
	s_add_nc_u64 s[0:1], s[0:1], _ZN12_GLOBAL__N_111calc_igammaIfEET_S1_S1_@rel64+4
	s_delay_alu instid0(SALU_CYCLE_1)
	s_swap_pc_i64 s[30:31], s[0:1]
	v_mov_b32_e32 v42, v0
                                        ; implicit-def: $vgpr0
                                        ; implicit-def: $vgpr1
.LBB20_23:
	s_and_not1_saveexec_b32 s26, s39
	s_cbranch_execz .LBB20_25
; %bb.24:
	s_get_pc_i64 s[0:1]
	s_add_nc_u64 s[0:1], s[0:1], _ZN12_GLOBAL__N_112calc_igammacIfEET_S1_S1_@rel64+4
	s_delay_alu instid0(SALU_CYCLE_1)
	s_swap_pc_i64 s[30:31], s[0:1]
	v_mov_b32_e32 v42, v0
.LBB20_25:
	s_or_b32 exec_lo, exec_lo, s26
	v_mov_b32_e32 v57, 0
	s_delay_alu instid0(VALU_DEP_1)
	v_dual_mov_b32 v58, v57 :: v_dual_mov_b32 v59, v57
.LBB20_26:
	s_or_b32 exec_lo, exec_lo, s38
	s_delay_alu instid0(SALU_CYCLE_1)
	s_mov_b32 s38, exec_lo
	v_cmpx_gt_i32_e64 s50, v62
	s_cbranch_execz .LBB20_32
; %bb.27:
	s_and_saveexec_b32 s0, s35
	s_delay_alu instid0(SALU_CYCLE_1)
	s_xor_b32 s39, exec_lo, s0
                                        ; implicit-def: $vgpr57
	s_cbranch_execz .LBB20_29
; %bb.28:
	s_wait_loadcnt 0x0
	v_dual_mov_b32 v0, v47 :: v_dual_mov_b32 v1, v56
	s_get_pc_i64 s[0:1]
	s_add_nc_u64 s[0:1], s[0:1], _ZN12_GLOBAL__N_111calc_igammaIfEET_S1_S1_@rel64+4
	s_delay_alu instid0(SALU_CYCLE_1) | instskip(NEXT) | instid1(VALU_DEP_1)
	s_swap_pc_i64 s[30:31], s[0:1]
	v_mov_b32_e32 v57, v0
                                        ; implicit-def: $vgpr47
                                        ; implicit-def: $vgpr56
.LBB20_29:
	s_and_not1_saveexec_b32 s26, s39
	s_cbranch_execz .LBB20_31
; %bb.30:
	s_wait_loadcnt 0x0
	v_dual_mov_b32 v0, v47 :: v_dual_mov_b32 v1, v56
	s_get_pc_i64 s[0:1]
	s_add_nc_u64 s[0:1], s[0:1], _ZN12_GLOBAL__N_112calc_igammacIfEET_S1_S1_@rel64+4
	s_delay_alu instid0(SALU_CYCLE_1) | instskip(NEXT) | instid1(VALU_DEP_1)
	s_swap_pc_i64 s[30:31], s[0:1]
	v_mov_b32_e32 v57, v0
.LBB20_31:
	s_or_b32 exec_lo, exec_lo, s26
.LBB20_32:
	s_delay_alu instid0(SALU_CYCLE_1) | instskip(SKIP_2) | instid1(VALU_DEP_1)
	s_or_b32 exec_lo, exec_lo, s38
	v_add_nc_u32_e32 v0, 0x200, v60
	s_mov_b32 s38, exec_lo
	v_cmpx_gt_i32_e64 s50, v0
	s_cbranch_execz .LBB20_38
; %bb.33:
	s_and_saveexec_b32 s0, s35
	s_delay_alu instid0(SALU_CYCLE_1)
	s_xor_b32 s39, exec_lo, s0
                                        ; implicit-def: $vgpr58
	s_cbranch_execz .LBB20_35
; %bb.34:
	s_wait_loadcnt 0x0
	v_dual_mov_b32 v0, v45 :: v_dual_mov_b32 v1, v46
	s_get_pc_i64 s[0:1]
	s_add_nc_u64 s[0:1], s[0:1], _ZN12_GLOBAL__N_111calc_igammaIfEET_S1_S1_@rel64+4
	s_delay_alu instid0(SALU_CYCLE_1) | instskip(NEXT) | instid1(VALU_DEP_1)
	s_swap_pc_i64 s[30:31], s[0:1]
	v_mov_b32_e32 v58, v0
                                        ; implicit-def: $vgpr45
                                        ; implicit-def: $vgpr46
.LBB20_35:
	s_and_not1_saveexec_b32 s26, s39
	s_cbranch_execz .LBB20_37
; %bb.36:
	s_wait_loadcnt 0x0
	v_dual_mov_b32 v0, v45 :: v_dual_mov_b32 v1, v46
	s_get_pc_i64 s[0:1]
	s_add_nc_u64 s[0:1], s[0:1], _ZN12_GLOBAL__N_112calc_igammacIfEET_S1_S1_@rel64+4
	s_delay_alu instid0(SALU_CYCLE_1) | instskip(NEXT) | instid1(VALU_DEP_1)
	s_swap_pc_i64 s[30:31], s[0:1]
	v_mov_b32_e32 v58, v0
.LBB20_37:
	s_or_b32 exec_lo, exec_lo, s26
.LBB20_38:
	s_delay_alu instid0(SALU_CYCLE_1) | instskip(SKIP_2) | instid1(VALU_DEP_1)
	s_or_b32 exec_lo, exec_lo, s38
	v_add_nc_u32_e32 v0, 0x300, v60
	s_mov_b32 s38, exec_lo
	v_cmpx_gt_i32_e64 s50, v0
	s_cbranch_execnz .LBB20_52
; %bb.39:
	s_or_b32 exec_lo, exec_lo, s38
	s_and_saveexec_b32 s0, s34
	s_delay_alu instid0(SALU_CYCLE_1)
	s_xor_b32 s0, exec_lo, s0
	s_cbranch_execnz .LBB20_57
.LBB20_40:
	s_or_b32 exec_lo, exec_lo, s0
	s_delay_alu instid0(SALU_CYCLE_1)
	s_mov_b32 s0, exec_lo
	v_cmpx_gt_i32_e64 s50, v60
	s_cbranch_execnz .LBB20_58
.LBB20_41:
	s_or_b32 exec_lo, exec_lo, s0
	s_delay_alu instid0(SALU_CYCLE_1)
	s_mov_b32 s0, exec_lo
	v_cmpx_gt_i32_e64 s50, v60
	s_cbranch_execnz .LBB20_59
.LBB20_42:
	s_or_b32 exec_lo, exec_lo, s0
	s_delay_alu instid0(SALU_CYCLE_1)
	s_mov_b32 s0, exec_lo
	v_cmpx_gt_i32_e64 s50, v60
	s_cbranch_execz .LBB20_44
.LBB20_43:
	v_add_nc_u32_e32 v0, s46, v60
	global_store_b32 v0, v59, s[36:37] scale_offset
.LBB20_44:
	s_endpgm
.LBB20_45:
	s_wait_loadcnt 0x0
	v_dual_mov_b32 v0, v44 :: v_dual_mov_b32 v1, v56
	s_get_pc_i64 s[0:1]
	s_add_nc_u64 s[0:1], s[0:1], _ZN12_GLOBAL__N_111calc_igammaIfEET_S1_S1_@rel64+4
	s_delay_alu instid0(SALU_CYCLE_1) | instskip(NEXT) | instid1(VALU_DEP_1)
	s_swap_pc_i64 s[30:31], s[0:1]
	v_mov_b32_e32 v42, v0
	s_and_not1_saveexec_b32 s26, s51
	s_cbranch_execz .LBB20_3
.LBB20_46:
	s_wait_loadcnt 0x0
	v_dual_mov_b32 v0, v44 :: v_dual_mov_b32 v1, v56
	s_get_pc_i64 s[0:1]
	s_add_nc_u64 s[0:1], s[0:1], _ZN12_GLOBAL__N_112calc_igammacIfEET_S1_S1_@rel64+4
	s_delay_alu instid0(SALU_CYCLE_1) | instskip(NEXT) | instid1(VALU_DEP_1)
	s_swap_pc_i64 s[30:31], s[0:1]
	v_mov_b32_e32 v42, v0
	s_or_b32 exec_lo, exec_lo, s26
	s_and_saveexec_b32 s0, s47
	s_delay_alu instid0(SALU_CYCLE_1)
	s_xor_b32 s51, exec_lo, s0
	s_cbranch_execz .LBB20_4
.LBB20_47:
	s_wait_loadcnt 0x0
	v_dual_mov_b32 v0, v45 :: v_dual_mov_b32 v1, v57
	s_get_pc_i64 s[0:1]
	s_add_nc_u64 s[0:1], s[0:1], _ZN12_GLOBAL__N_111calc_igammaIfEET_S1_S1_@rel64+4
	s_delay_alu instid0(SALU_CYCLE_1) | instskip(NEXT) | instid1(VALU_DEP_1)
	s_swap_pc_i64 s[30:31], s[0:1]
	v_mov_b32_e32 v43, v0
	s_and_not1_saveexec_b32 s26, s51
	s_cbranch_execz .LBB20_5
.LBB20_48:
	s_wait_loadcnt 0x0
	v_dual_mov_b32 v0, v45 :: v_dual_mov_b32 v1, v57
	s_get_pc_i64 s[0:1]
	s_add_nc_u64 s[0:1], s[0:1], _ZN12_GLOBAL__N_112calc_igammacIfEET_S1_S1_@rel64+4
	s_delay_alu instid0(SALU_CYCLE_1) | instskip(NEXT) | instid1(VALU_DEP_1)
	s_swap_pc_i64 s[30:31], s[0:1]
	v_mov_b32_e32 v43, v0
	s_or_b32 exec_lo, exec_lo, s26
	s_and_saveexec_b32 s0, s47
	s_delay_alu instid0(SALU_CYCLE_1)
	s_xor_b32 s51, exec_lo, s0
	s_cbranch_execz .LBB20_6
.LBB20_49:
	s_wait_loadcnt 0x0
	v_dual_mov_b32 v0, v46 :: v_dual_mov_b32 v1, v58
	s_get_pc_i64 s[0:1]
	s_add_nc_u64 s[0:1], s[0:1], _ZN12_GLOBAL__N_111calc_igammaIfEET_S1_S1_@rel64+4
	s_delay_alu instid0(SALU_CYCLE_1) | instskip(NEXT) | instid1(VALU_DEP_1)
	s_swap_pc_i64 s[30:31], s[0:1]
	v_mov_b32_e32 v44, v0
	s_and_not1_saveexec_b32 s26, s51
	s_cbranch_execz .LBB20_7
.LBB20_50:
	s_wait_loadcnt 0x0
	v_dual_mov_b32 v0, v46 :: v_dual_mov_b32 v1, v58
	s_get_pc_i64 s[0:1]
	s_add_nc_u64 s[0:1], s[0:1], _ZN12_GLOBAL__N_112calc_igammacIfEET_S1_S1_@rel64+4
	s_delay_alu instid0(SALU_CYCLE_1) | instskip(NEXT) | instid1(VALU_DEP_1)
	s_swap_pc_i64 s[30:31], s[0:1]
	v_mov_b32_e32 v44, v0
	s_or_b32 exec_lo, exec_lo, s26
	s_and_saveexec_b32 s0, s47
	s_delay_alu instid0(SALU_CYCLE_1)
	s_xor_b32 s47, exec_lo, s0
	s_cbranch_execz .LBB20_8
.LBB20_51:
	s_wait_loadcnt 0x0
	v_dual_mov_b32 v0, v47 :: v_dual_mov_b32 v1, v59
	s_get_pc_i64 s[0:1]
	s_add_nc_u64 s[0:1], s[0:1], _ZN12_GLOBAL__N_111calc_igammaIfEET_S1_S1_@rel64+4
	s_delay_alu instid0(SALU_CYCLE_1) | instskip(NEXT) | instid1(VALU_DEP_1)
	s_swap_pc_i64 s[30:31], s[0:1]
	v_mov_b32_e32 v45, v0
                                        ; implicit-def: $vgpr47
                                        ; implicit-def: $vgpr59
	s_and_not1_saveexec_b32 s26, s47
	s_cbranch_execnz .LBB20_9
	s_branch .LBB20_10
.LBB20_52:
	s_and_saveexec_b32 s0, s35
	s_delay_alu instid0(SALU_CYCLE_1)
	s_xor_b32 s35, exec_lo, s0
                                        ; implicit-def: $vgpr59
	s_cbranch_execz .LBB20_54
; %bb.53:
	s_wait_loadcnt 0x0
	v_dual_mov_b32 v0, v43 :: v_dual_mov_b32 v1, v44
	s_get_pc_i64 s[0:1]
	s_add_nc_u64 s[0:1], s[0:1], _ZN12_GLOBAL__N_111calc_igammaIfEET_S1_S1_@rel64+4
	s_delay_alu instid0(SALU_CYCLE_1) | instskip(NEXT) | instid1(VALU_DEP_1)
	s_swap_pc_i64 s[30:31], s[0:1]
	v_mov_b32_e32 v59, v0
                                        ; implicit-def: $vgpr43
                                        ; implicit-def: $vgpr44
.LBB20_54:
	s_and_not1_saveexec_b32 s26, s35
	s_cbranch_execz .LBB20_56
; %bb.55:
	s_wait_loadcnt 0x0
	v_dual_mov_b32 v0, v43 :: v_dual_mov_b32 v1, v44
	s_get_pc_i64 s[0:1]
	s_add_nc_u64 s[0:1], s[0:1], _ZN12_GLOBAL__N_112calc_igammacIfEET_S1_S1_@rel64+4
	s_delay_alu instid0(SALU_CYCLE_1) | instskip(NEXT) | instid1(VALU_DEP_1)
	s_swap_pc_i64 s[30:31], s[0:1]
	v_mov_b32_e32 v59, v0
.LBB20_56:
	s_or_b32 exec_lo, exec_lo, s26
	s_delay_alu instid0(SALU_CYCLE_1) | instskip(SKIP_1) | instid1(SALU_CYCLE_1)
	s_or_b32 exec_lo, exec_lo, s38
	s_and_saveexec_b32 s0, s34
	s_xor_b32 s0, exec_lo, s0
	s_cbranch_execz .LBB20_40
.LBB20_57:
	v_mov_b32_e32 v60, v62
	global_store_b32 v61, v42, s[36:37] scale_offset
	s_wait_xcnt 0x0
	s_or_b32 exec_lo, exec_lo, s0
	s_delay_alu instid0(SALU_CYCLE_1)
	s_mov_b32 s0, exec_lo
	v_cmpx_gt_i32_e64 s50, v60
	s_cbranch_execz .LBB20_41
.LBB20_58:
	v_add_nc_u32_e32 v0, s46, v60
	v_add_nc_u32_e32 v60, 0x100, v60
	global_store_b32 v0, v57, s[36:37] scale_offset
	s_wait_xcnt 0x0
	s_or_b32 exec_lo, exec_lo, s0
	s_delay_alu instid0(SALU_CYCLE_1)
	s_mov_b32 s0, exec_lo
	v_cmpx_gt_i32_e64 s50, v60
	s_cbranch_execz .LBB20_42
.LBB20_59:
	v_add_nc_u32_e32 v0, s46, v60
	v_add_nc_u32_e32 v60, 0x100, v60
	global_store_b32 v0, v58, s[36:37] scale_offset
	s_wait_xcnt 0x0
	s_or_b32 exec_lo, exec_lo, s0
	s_delay_alu instid0(SALU_CYCLE_1)
	s_mov_b32 s0, exec_lo
	v_cmpx_gt_i32_e64 s50, v60
	s_cbranch_execnz .LBB20_43
	s_branch .LBB20_44
	.section	.rodata,"a",@progbits
	.p2align	6, 0x0
	.amdhsa_kernel _ZN2at6native29vectorized_elementwise_kernelILi4EN12_GLOBAL__N_110CalcIgammaIfEESt5arrayIPcLm3EEEEviT0_T1_
		.amdhsa_group_segment_fixed_size 1024
		.amdhsa_private_segment_fixed_size 144
		.amdhsa_kernarg_size 32
		.amdhsa_user_sgpr_count 4
		.amdhsa_user_sgpr_dispatch_ptr 1
		.amdhsa_user_sgpr_queue_ptr 0
		.amdhsa_user_sgpr_kernarg_segment_ptr 1
		.amdhsa_user_sgpr_dispatch_id 0
		.amdhsa_user_sgpr_kernarg_preload_length 0
		.amdhsa_user_sgpr_kernarg_preload_offset 0
		.amdhsa_user_sgpr_private_segment_size 0
		.amdhsa_wavefront_size32 1
		.amdhsa_uses_dynamic_stack 0
		.amdhsa_enable_private_segment 1
		.amdhsa_system_sgpr_workgroup_id_x 1
		.amdhsa_system_sgpr_workgroup_id_y 0
		.amdhsa_system_sgpr_workgroup_id_z 0
		.amdhsa_system_sgpr_workgroup_info 0
		.amdhsa_system_vgpr_workitem_id 2
		.amdhsa_next_free_vgpr 84
		.amdhsa_next_free_sgpr 52
		.amdhsa_named_barrier_count 0
		.amdhsa_reserve_vcc 1
		.amdhsa_float_round_mode_32 0
		.amdhsa_float_round_mode_16_64 0
		.amdhsa_float_denorm_mode_32 3
		.amdhsa_float_denorm_mode_16_64 3
		.amdhsa_fp16_overflow 0
		.amdhsa_memory_ordered 1
		.amdhsa_forward_progress 1
		.amdhsa_inst_pref_size 16
		.amdhsa_round_robin_scheduling 0
		.amdhsa_exception_fp_ieee_invalid_op 0
		.amdhsa_exception_fp_denorm_src 0
		.amdhsa_exception_fp_ieee_div_zero 0
		.amdhsa_exception_fp_ieee_overflow 0
		.amdhsa_exception_fp_ieee_underflow 0
		.amdhsa_exception_fp_ieee_inexact 0
		.amdhsa_exception_int_div_zero 0
	.end_amdhsa_kernel
	.section	.text._ZN2at6native29vectorized_elementwise_kernelILi4EN12_GLOBAL__N_110CalcIgammaIfEESt5arrayIPcLm3EEEEviT0_T1_,"axG",@progbits,_ZN2at6native29vectorized_elementwise_kernelILi4EN12_GLOBAL__N_110CalcIgammaIfEESt5arrayIPcLm3EEEEviT0_T1_,comdat
.Lfunc_end20:
	.size	_ZN2at6native29vectorized_elementwise_kernelILi4EN12_GLOBAL__N_110CalcIgammaIfEESt5arrayIPcLm3EEEEviT0_T1_, .Lfunc_end20-_ZN2at6native29vectorized_elementwise_kernelILi4EN12_GLOBAL__N_110CalcIgammaIfEESt5arrayIPcLm3EEEEviT0_T1_
                                        ; -- End function
	.set _ZN2at6native29vectorized_elementwise_kernelILi4EN12_GLOBAL__N_110CalcIgammaIfEESt5arrayIPcLm3EEEEviT0_T1_.num_vgpr, max(73, .L_ZN12_GLOBAL__N_112calc_igammacIfEET_S1_S1_.num_vgpr, .L_ZN12_GLOBAL__N_111calc_igammaIfEET_S1_S1_.num_vgpr)
	.set _ZN2at6native29vectorized_elementwise_kernelILi4EN12_GLOBAL__N_110CalcIgammaIfEESt5arrayIPcLm3EEEEviT0_T1_.num_agpr, max(0, .L_ZN12_GLOBAL__N_112calc_igammacIfEET_S1_S1_.num_agpr, .L_ZN12_GLOBAL__N_111calc_igammaIfEET_S1_S1_.num_agpr)
	.set _ZN2at6native29vectorized_elementwise_kernelILi4EN12_GLOBAL__N_110CalcIgammaIfEESt5arrayIPcLm3EEEEviT0_T1_.numbered_sgpr, max(52, .L_ZN12_GLOBAL__N_112calc_igammacIfEET_S1_S1_.numbered_sgpr, .L_ZN12_GLOBAL__N_111calc_igammaIfEET_S1_S1_.numbered_sgpr)
	.set _ZN2at6native29vectorized_elementwise_kernelILi4EN12_GLOBAL__N_110CalcIgammaIfEESt5arrayIPcLm3EEEEviT0_T1_.num_named_barrier, max(0, .L_ZN12_GLOBAL__N_112calc_igammacIfEET_S1_S1_.num_named_barrier, .L_ZN12_GLOBAL__N_111calc_igammaIfEET_S1_S1_.num_named_barrier)
	.set _ZN2at6native29vectorized_elementwise_kernelILi4EN12_GLOBAL__N_110CalcIgammaIfEESt5arrayIPcLm3EEEEviT0_T1_.private_seg_size, 0+max(.L_ZN12_GLOBAL__N_112calc_igammacIfEET_S1_S1_.private_seg_size, .L_ZN12_GLOBAL__N_111calc_igammaIfEET_S1_S1_.private_seg_size)
	.set _ZN2at6native29vectorized_elementwise_kernelILi4EN12_GLOBAL__N_110CalcIgammaIfEESt5arrayIPcLm3EEEEviT0_T1_.uses_vcc, or(1, .L_ZN12_GLOBAL__N_112calc_igammacIfEET_S1_S1_.uses_vcc, .L_ZN12_GLOBAL__N_111calc_igammaIfEET_S1_S1_.uses_vcc)
	.set _ZN2at6native29vectorized_elementwise_kernelILi4EN12_GLOBAL__N_110CalcIgammaIfEESt5arrayIPcLm3EEEEviT0_T1_.uses_flat_scratch, or(0, .L_ZN12_GLOBAL__N_112calc_igammacIfEET_S1_S1_.uses_flat_scratch, .L_ZN12_GLOBAL__N_111calc_igammaIfEET_S1_S1_.uses_flat_scratch)
	.set _ZN2at6native29vectorized_elementwise_kernelILi4EN12_GLOBAL__N_110CalcIgammaIfEESt5arrayIPcLm3EEEEviT0_T1_.has_dyn_sized_stack, or(0, .L_ZN12_GLOBAL__N_112calc_igammacIfEET_S1_S1_.has_dyn_sized_stack, .L_ZN12_GLOBAL__N_111calc_igammaIfEET_S1_S1_.has_dyn_sized_stack)
	.set _ZN2at6native29vectorized_elementwise_kernelILi4EN12_GLOBAL__N_110CalcIgammaIfEESt5arrayIPcLm3EEEEviT0_T1_.has_recursion, or(0, .L_ZN12_GLOBAL__N_112calc_igammacIfEET_S1_S1_.has_recursion, .L_ZN12_GLOBAL__N_111calc_igammaIfEET_S1_S1_.has_recursion)
	.set _ZN2at6native29vectorized_elementwise_kernelILi4EN12_GLOBAL__N_110CalcIgammaIfEESt5arrayIPcLm3EEEEviT0_T1_.has_indirect_call, or(0, .L_ZN12_GLOBAL__N_112calc_igammacIfEET_S1_S1_.has_indirect_call, .L_ZN12_GLOBAL__N_111calc_igammaIfEET_S1_S1_.has_indirect_call)
	.section	.AMDGPU.csdata,"",@progbits
; Kernel info:
; codeLenInByte = 2048
; TotalNumSgprs: 54
; NumVgprs: 84
; ScratchSize: 144
; MemoryBound: 0
; FloatMode: 240
; IeeeMode: 1
; LDSByteSize: 1024 bytes/workgroup (compile time only)
; SGPRBlocks: 0
; VGPRBlocks: 5
; NumSGPRsForWavesPerEU: 54
; NumVGPRsForWavesPerEU: 84
; NamedBarCnt: 0
; Occupancy: 10
; WaveLimiterHint : 0
; COMPUTE_PGM_RSRC2:SCRATCH_EN: 1
; COMPUTE_PGM_RSRC2:USER_SGPR: 4
; COMPUTE_PGM_RSRC2:TRAP_HANDLER: 0
; COMPUTE_PGM_RSRC2:TGID_X_EN: 1
; COMPUTE_PGM_RSRC2:TGID_Y_EN: 0
; COMPUTE_PGM_RSRC2:TGID_Z_EN: 0
; COMPUTE_PGM_RSRC2:TIDIG_COMP_CNT: 2
	.section	.text._ZN2at6native29vectorized_elementwise_kernelILi2EN12_GLOBAL__N_110CalcIgammaIfEESt5arrayIPcLm3EEEEviT0_T1_,"axG",@progbits,_ZN2at6native29vectorized_elementwise_kernelILi2EN12_GLOBAL__N_110CalcIgammaIfEESt5arrayIPcLm3EEEEviT0_T1_,comdat
	.globl	_ZN2at6native29vectorized_elementwise_kernelILi2EN12_GLOBAL__N_110CalcIgammaIfEESt5arrayIPcLm3EEEEviT0_T1_ ; -- Begin function _ZN2at6native29vectorized_elementwise_kernelILi2EN12_GLOBAL__N_110CalcIgammaIfEESt5arrayIPcLm3EEEEviT0_T1_
	.p2align	8
	.type	_ZN2at6native29vectorized_elementwise_kernelILi2EN12_GLOBAL__N_110CalcIgammaIfEESt5arrayIPcLm3EEEEviT0_T1_,@function
_ZN2at6native29vectorized_elementwise_kernelILi2EN12_GLOBAL__N_110CalcIgammaIfEESt5arrayIPcLm3EEEEviT0_T1_: ; @_ZN2at6native29vectorized_elementwise_kernelILi2EN12_GLOBAL__N_110CalcIgammaIfEESt5arrayIPcLm3EEEEviT0_T1_
; %bb.0:
	s_load_b64 s[4:5], s[0:1], 0x4
	s_load_b64 s[6:7], s[2:3], 0x0
	v_and_b32_e32 v60, 0x3ff, v0
	v_bfe_u32 v2, v0, 10, 10
	v_bfe_u32 v0, v0, 20, 10
	s_clause 0x1
	s_load_b128 s[36:39], s[2:3], 0x8
	s_load_b64 s[48:49], s[2:3], 0x18
	s_wait_xcnt 0x0
	s_and_b32 s1, ttmp6, 15
	s_getreg_b32 s2, hwreg(HW_REG_IB_STS2, 6, 4)
	s_mov_b32 s32, 0
	s_wait_kmcnt 0x0
	s_lshr_b32 s0, s4, 16
	v_mul_u32_u24_e32 v2, s5, v2
	s_mul_i32 s0, s0, s5
	s_delay_alu instid0(SALU_CYCLE_1) | instskip(SKIP_1) | instid1(SALU_CYCLE_1)
	v_mul_lo_u32 v1, s0, v60
	s_and_b32 s0, s7, 1
	v_mov_b32_e32 v3, s0
	s_bfe_u32 s0, ttmp6, 0x4000c
	s_delay_alu instid0(SALU_CYCLE_1) | instskip(NEXT) | instid1(SALU_CYCLE_1)
	s_add_co_i32 s0, s0, 1
	s_mul_i32 s0, ttmp9, s0
	s_delay_alu instid0(SALU_CYCLE_1) | instskip(NEXT) | instid1(VALU_DEP_2)
	s_add_co_i32 s1, s1, s0
	v_add3_u32 v63, v1, v2, v0
	s_cmp_eq_u32 s2, 0
	s_cselect_b32 s0, ttmp9, s1
	s_delay_alu instid0(SALU_CYCLE_1)
	s_lshl_b32 s46, s0, 10
	ds_store_b8 v63, v3
	ds_load_u8 v0, v63
	s_sub_co_i32 s50, s6, s46
	s_mov_b32 s0, -1
	s_cmp_gt_i32 s50, 0x3ff
	s_wait_dscnt 0x0
	v_and_b32_e32 v0, 1, v0
	s_delay_alu instid0(VALU_DEP_1)
	v_cmp_eq_u32_e32 vcc_lo, 1, v0
	ds_store_b8 v63, v0 offset:256
	v_cndmask_b32_e64 v72, 0, 1, vcc_lo
	s_cbranch_scc0 .LBB21_18
; %bb.1:
	s_ashr_i32 s47, s46, 31
                                        ; implicit-def: $vgpr42
	s_delay_alu instid0(SALU_CYCLE_1) | instskip(NEXT) | instid1(SALU_CYCLE_1)
	s_lshl_b64 s[34:35], s[46:47], 2
	s_add_nc_u64 s[0:1], s[38:39], s[34:35]
	s_add_nc_u64 s[2:3], s[48:49], s[34:35]
	s_clause 0x3
	global_load_b64 v[56:57], v60, s[0:1] scale_offset
	global_load_b64 v[44:45], v60, s[0:1] offset:2048 scale_offset
	global_load_b64 v[58:59], v60, s[2:3] scale_offset
	global_load_b64 v[46:47], v60, s[2:3] offset:2048 scale_offset
	ds_store_b8 v63, v72 offset:512
	ds_load_u8 v0, v63 offset:512
	s_wait_dscnt 0x0
	v_and_b32_e32 v0, 1, v0
	s_delay_alu instid0(VALU_DEP_1) | instskip(SKIP_3) | instid1(SALU_CYCLE_1)
	v_cmp_eq_u32_e32 vcc_lo, 1, v0
	s_xor_b32 s47, vcc_lo, -1
	s_wait_xcnt 0x0
	s_and_saveexec_b32 s0, s47
	s_xor_b32 s51, exec_lo, s0
	s_cbranch_execz .LBB21_5
; %bb.2:
	s_wait_loadcnt 0x1
	v_dual_mov_b32 v0, v56 :: v_dual_mov_b32 v1, v58
	s_get_pc_i64 s[0:1]
	s_add_nc_u64 s[0:1], s[0:1], _ZN12_GLOBAL__N_111calc_igammaIfEET_S1_S1_@rel64+4
	s_delay_alu instid0(SALU_CYCLE_1) | instskip(NEXT) | instid1(VALU_DEP_1)
	s_swap_pc_i64 s[30:31], s[0:1]
	v_mov_b32_e32 v42, v0
	s_and_not1_saveexec_b32 s26, s51
	s_cbranch_execnz .LBB21_6
.LBB21_3:
	s_or_b32 exec_lo, exec_lo, s26
	s_and_saveexec_b32 s0, s47
	s_delay_alu instid0(SALU_CYCLE_1)
	s_xor_b32 s51, exec_lo, s0
	s_cbranch_execz .LBB21_7
.LBB21_4:
	s_wait_loadcnt 0x1
	v_dual_mov_b32 v0, v57 :: v_dual_mov_b32 v1, v59
	s_get_pc_i64 s[0:1]
	s_add_nc_u64 s[0:1], s[0:1], _ZN12_GLOBAL__N_111calc_igammaIfEET_S1_S1_@rel64+4
	s_delay_alu instid0(SALU_CYCLE_1) | instskip(NEXT) | instid1(VALU_DEP_1)
	s_swap_pc_i64 s[30:31], s[0:1]
	v_mov_b32_e32 v43, v0
                                        ; implicit-def: $vgpr57
                                        ; implicit-def: $vgpr59
	s_and_not1_saveexec_b32 s26, s51
	s_cbranch_execz .LBB21_9
	s_branch .LBB21_8
.LBB21_5:
	s_and_not1_saveexec_b32 s26, s51
	s_cbranch_execz .LBB21_3
.LBB21_6:
	s_wait_loadcnt 0x1
	v_dual_mov_b32 v0, v56 :: v_dual_mov_b32 v1, v58
	s_get_pc_i64 s[0:1]
	s_add_nc_u64 s[0:1], s[0:1], _ZN12_GLOBAL__N_112calc_igammacIfEET_S1_S1_@rel64+4
	s_delay_alu instid0(SALU_CYCLE_1) | instskip(NEXT) | instid1(VALU_DEP_1)
	s_swap_pc_i64 s[30:31], s[0:1]
	v_mov_b32_e32 v42, v0
	s_or_b32 exec_lo, exec_lo, s26
	s_and_saveexec_b32 s0, s47
	s_delay_alu instid0(SALU_CYCLE_1)
	s_xor_b32 s51, exec_lo, s0
	s_cbranch_execnz .LBB21_4
.LBB21_7:
	s_and_not1_saveexec_b32 s26, s51
	s_cbranch_execz .LBB21_9
.LBB21_8:
	s_wait_loadcnt 0x1
	v_dual_mov_b32 v0, v57 :: v_dual_mov_b32 v1, v59
	s_get_pc_i64 s[0:1]
	s_add_nc_u64 s[0:1], s[0:1], _ZN12_GLOBAL__N_112calc_igammacIfEET_S1_S1_@rel64+4
	s_delay_alu instid0(SALU_CYCLE_1) | instskip(NEXT) | instid1(VALU_DEP_1)
	s_swap_pc_i64 s[30:31], s[0:1]
	v_mov_b32_e32 v43, v0
.LBB21_9:
	s_or_b32 exec_lo, exec_lo, s26
                                        ; implicit-def: $vgpr56
	s_and_saveexec_b32 s0, s47
	s_delay_alu instid0(SALU_CYCLE_1)
	s_xor_b32 s51, exec_lo, s0
	s_cbranch_execz .LBB21_13
; %bb.10:
	s_wait_loadcnt 0x0
	v_dual_mov_b32 v0, v44 :: v_dual_mov_b32 v1, v46
	s_get_pc_i64 s[0:1]
	s_add_nc_u64 s[0:1], s[0:1], _ZN12_GLOBAL__N_111calc_igammaIfEET_S1_S1_@rel64+4
	s_delay_alu instid0(SALU_CYCLE_1) | instskip(NEXT) | instid1(VALU_DEP_1)
	s_swap_pc_i64 s[30:31], s[0:1]
	v_mov_b32_e32 v56, v0
	s_and_not1_saveexec_b32 s26, s51
	s_cbranch_execnz .LBB21_14
.LBB21_11:
	s_or_b32 exec_lo, exec_lo, s26
	s_and_saveexec_b32 s0, s47
	s_delay_alu instid0(SALU_CYCLE_1)
	s_xor_b32 s47, exec_lo, s0
	s_cbranch_execz .LBB21_15
.LBB21_12:
	s_wait_loadcnt 0x0
	v_dual_mov_b32 v0, v45 :: v_dual_mov_b32 v1, v47
	s_get_pc_i64 s[0:1]
	s_add_nc_u64 s[0:1], s[0:1], _ZN12_GLOBAL__N_111calc_igammaIfEET_S1_S1_@rel64+4
	s_delay_alu instid0(SALU_CYCLE_1) | instskip(NEXT) | instid1(VALU_DEP_1)
	s_swap_pc_i64 s[30:31], s[0:1]
	v_mov_b32_e32 v57, v0
                                        ; implicit-def: $vgpr45
                                        ; implicit-def: $vgpr47
	s_and_not1_saveexec_b32 s26, s47
	s_cbranch_execnz .LBB21_16
	s_branch .LBB21_17
.LBB21_13:
	s_and_not1_saveexec_b32 s26, s51
	s_cbranch_execz .LBB21_11
.LBB21_14:
	s_wait_loadcnt 0x0
	v_dual_mov_b32 v0, v44 :: v_dual_mov_b32 v1, v46
	s_get_pc_i64 s[0:1]
	s_add_nc_u64 s[0:1], s[0:1], _ZN12_GLOBAL__N_112calc_igammacIfEET_S1_S1_@rel64+4
	s_delay_alu instid0(SALU_CYCLE_1) | instskip(NEXT) | instid1(VALU_DEP_1)
	s_swap_pc_i64 s[30:31], s[0:1]
	v_mov_b32_e32 v56, v0
	s_or_b32 exec_lo, exec_lo, s26
	s_and_saveexec_b32 s0, s47
	s_delay_alu instid0(SALU_CYCLE_1)
	s_xor_b32 s47, exec_lo, s0
	s_cbranch_execnz .LBB21_12
.LBB21_15:
	s_and_not1_saveexec_b32 s26, s47
	s_cbranch_execz .LBB21_17
.LBB21_16:
	s_wait_loadcnt 0x0
	v_dual_mov_b32 v0, v45 :: v_dual_mov_b32 v1, v47
	s_get_pc_i64 s[0:1]
	s_add_nc_u64 s[0:1], s[0:1], _ZN12_GLOBAL__N_112calc_igammacIfEET_S1_S1_@rel64+4
	s_delay_alu instid0(SALU_CYCLE_1) | instskip(NEXT) | instid1(VALU_DEP_1)
	s_swap_pc_i64 s[30:31], s[0:1]
	v_mov_b32_e32 v57, v0
.LBB21_17:
	s_or_b32 exec_lo, exec_lo, s26
	s_add_nc_u64 s[2:3], s[36:37], s[34:35]
	s_mov_b32 s0, 0
	global_store_b64 v60, v[42:43], s[2:3] scale_offset
	s_wait_loadcnt 0x3
	global_store_b64 v60, v[56:57], s[2:3] offset:2048 scale_offset
.LBB21_18:
	s_and_b32 vcc_lo, exec_lo, s0
	s_cbranch_vccz .LBB21_55
; %bb.19:
	v_cmp_gt_i32_e64 s34, s50, v60
	s_wait_loadcnt 0x0
	v_dual_mov_b32 v47, 0 :: v_dual_bitop2_b32 v61, s46, v60 bitop3:0x54
	v_dual_mov_b32 v1, 0 :: v_dual_add_nc_u32 v62, 0x100, v60
	v_dual_mov_b32 v0, 0 :: v_dual_mov_b32 v2, v60
	ds_store_b8 v63, v72 offset:768
	s_wait_xcnt 0x0
	s_and_saveexec_b32 s0, s34
	s_cbranch_execz .LBB21_21
; %bb.20:
	s_clause 0x1
	global_load_b32 v0, v61, s[38:39] scale_offset
	global_load_b32 v1, v61, s[48:49] scale_offset
	v_add_nc_u32_e32 v2, 0x100, v60
.LBB21_21:
	s_wait_xcnt 0x0
	s_or_b32 exec_lo, exec_lo, s0
	v_mov_b32_e32 v56, 0
	s_mov_b32 s0, exec_lo
	v_cmpx_gt_i32_e64 s50, v2
	s_cbranch_execz .LBB21_23
; %bb.22:
	v_add_nc_u32_e32 v3, s46, v2
	v_add_nc_u32_e32 v2, 0x100, v2
	s_clause 0x1
	global_load_b32 v47, v3, s[38:39] scale_offset
	global_load_b32 v56, v3, s[48:49] scale_offset
.LBB21_23:
	s_wait_xcnt 0x0
	s_or_b32 exec_lo, exec_lo, s0
	v_dual_mov_b32 v43, 0 :: v_dual_mov_b32 v45, 0
	v_mov_b32_e32 v46, 0
	s_mov_b32 s0, exec_lo
	v_cmpx_gt_i32_e64 s50, v2
	s_cbranch_execz .LBB21_25
; %bb.24:
	v_add_nc_u32_e32 v3, s46, v2
	v_add_nc_u32_e32 v2, 0x100, v2
	s_clause 0x1
	global_load_b32 v45, v3, s[38:39] scale_offset
	global_load_b32 v46, v3, s[48:49] scale_offset
.LBB21_25:
	s_wait_xcnt 0x0
	s_or_b32 exec_lo, exec_lo, s0
	v_mov_b32_e32 v44, 0
	s_mov_b32 s0, exec_lo
	v_cmpx_gt_i32_e64 s50, v2
	s_cbranch_execz .LBB21_27
; %bb.26:
	v_add_nc_u32_e32 v2, s46, v2
	s_clause 0x1
	global_load_b32 v43, v2, s[38:39] scale_offset
	global_load_b32 v44, v2, s[48:49] scale_offset
.LBB21_27:
	s_wait_xcnt 0x0
	s_or_b32 exec_lo, exec_lo, s0
	ds_load_u8 v2, v63 offset:768
	v_mov_b32_e32 v42, 0
	s_delay_alu instid0(VALU_DEP_1) | instskip(SKIP_2) | instid1(VALU_DEP_1)
	v_dual_mov_b32 v57, v42 :: v_dual_mov_b32 v58, v42
	s_wait_dscnt 0x0
	v_dual_mov_b32 v59, v42 :: v_dual_bitop2_b32 v2, 1, v2 bitop3:0x40
	v_cmp_eq_u32_e32 vcc_lo, 1, v2
	s_xor_b32 s35, vcc_lo, -1
	s_and_saveexec_b32 s38, s34
	s_cbranch_execz .LBB21_33
; %bb.28:
                                        ; implicit-def: $vgpr42
	s_and_saveexec_b32 s0, s35
	s_delay_alu instid0(SALU_CYCLE_1)
	s_xor_b32 s39, exec_lo, s0
	s_cbranch_execz .LBB21_30
; %bb.29:
	s_get_pc_i64 s[0:1]
	s_add_nc_u64 s[0:1], s[0:1], _ZN12_GLOBAL__N_111calc_igammaIfEET_S1_S1_@rel64+4
	s_delay_alu instid0(SALU_CYCLE_1)
	s_swap_pc_i64 s[30:31], s[0:1]
	v_mov_b32_e32 v42, v0
                                        ; implicit-def: $vgpr0
                                        ; implicit-def: $vgpr1
.LBB21_30:
	s_and_not1_saveexec_b32 s26, s39
	s_cbranch_execz .LBB21_32
; %bb.31:
	s_get_pc_i64 s[0:1]
	s_add_nc_u64 s[0:1], s[0:1], _ZN12_GLOBAL__N_112calc_igammacIfEET_S1_S1_@rel64+4
	s_delay_alu instid0(SALU_CYCLE_1)
	s_swap_pc_i64 s[30:31], s[0:1]
	v_mov_b32_e32 v42, v0
.LBB21_32:
	s_or_b32 exec_lo, exec_lo, s26
	v_mov_b32_e32 v57, 0
	s_delay_alu instid0(VALU_DEP_1)
	v_dual_mov_b32 v58, v57 :: v_dual_mov_b32 v59, v57
.LBB21_33:
	s_or_b32 exec_lo, exec_lo, s38
	s_delay_alu instid0(SALU_CYCLE_1)
	s_mov_b32 s38, exec_lo
	v_cmpx_gt_i32_e64 s50, v62
	s_cbranch_execz .LBB21_39
; %bb.34:
	s_and_saveexec_b32 s0, s35
	s_delay_alu instid0(SALU_CYCLE_1)
	s_xor_b32 s39, exec_lo, s0
                                        ; implicit-def: $vgpr57
	s_cbranch_execz .LBB21_36
; %bb.35:
	s_wait_loadcnt 0x0
	v_dual_mov_b32 v0, v47 :: v_dual_mov_b32 v1, v56
	s_get_pc_i64 s[0:1]
	s_add_nc_u64 s[0:1], s[0:1], _ZN12_GLOBAL__N_111calc_igammaIfEET_S1_S1_@rel64+4
	s_delay_alu instid0(SALU_CYCLE_1) | instskip(NEXT) | instid1(VALU_DEP_1)
	s_swap_pc_i64 s[30:31], s[0:1]
	v_mov_b32_e32 v57, v0
                                        ; implicit-def: $vgpr47
                                        ; implicit-def: $vgpr56
.LBB21_36:
	s_and_not1_saveexec_b32 s26, s39
	s_cbranch_execz .LBB21_38
; %bb.37:
	s_wait_loadcnt 0x0
	v_dual_mov_b32 v0, v47 :: v_dual_mov_b32 v1, v56
	s_get_pc_i64 s[0:1]
	s_add_nc_u64 s[0:1], s[0:1], _ZN12_GLOBAL__N_112calc_igammacIfEET_S1_S1_@rel64+4
	s_delay_alu instid0(SALU_CYCLE_1) | instskip(NEXT) | instid1(VALU_DEP_1)
	s_swap_pc_i64 s[30:31], s[0:1]
	v_mov_b32_e32 v57, v0
.LBB21_38:
	s_or_b32 exec_lo, exec_lo, s26
.LBB21_39:
	s_delay_alu instid0(SALU_CYCLE_1) | instskip(SKIP_3) | instid1(VALU_DEP_1)
	s_or_b32 exec_lo, exec_lo, s38
	s_wait_loadcnt 0x1
	v_add_nc_u32_e32 v0, 0x200, v60
	s_mov_b32 s38, exec_lo
	v_cmpx_gt_i32_e64 s50, v0
	s_cbranch_execz .LBB21_45
; %bb.40:
	s_and_saveexec_b32 s0, s35
	s_delay_alu instid0(SALU_CYCLE_1)
	s_xor_b32 s39, exec_lo, s0
                                        ; implicit-def: $vgpr58
	s_cbranch_execz .LBB21_42
; %bb.41:
	s_wait_loadcnt 0x0
	v_dual_mov_b32 v0, v45 :: v_dual_mov_b32 v1, v46
	s_get_pc_i64 s[0:1]
	s_add_nc_u64 s[0:1], s[0:1], _ZN12_GLOBAL__N_111calc_igammaIfEET_S1_S1_@rel64+4
	s_delay_alu instid0(SALU_CYCLE_1) | instskip(NEXT) | instid1(VALU_DEP_1)
	s_swap_pc_i64 s[30:31], s[0:1]
	v_mov_b32_e32 v58, v0
                                        ; implicit-def: $vgpr45
                                        ; implicit-def: $vgpr46
.LBB21_42:
	s_and_not1_saveexec_b32 s26, s39
	s_cbranch_execz .LBB21_44
; %bb.43:
	s_wait_loadcnt 0x0
	v_dual_mov_b32 v0, v45 :: v_dual_mov_b32 v1, v46
	s_get_pc_i64 s[0:1]
	s_add_nc_u64 s[0:1], s[0:1], _ZN12_GLOBAL__N_112calc_igammacIfEET_S1_S1_@rel64+4
	s_delay_alu instid0(SALU_CYCLE_1) | instskip(NEXT) | instid1(VALU_DEP_1)
	s_swap_pc_i64 s[30:31], s[0:1]
	v_mov_b32_e32 v58, v0
.LBB21_44:
	s_or_b32 exec_lo, exec_lo, s26
.LBB21_45:
	s_delay_alu instid0(SALU_CYCLE_1) | instskip(SKIP_2) | instid1(VALU_DEP_1)
	s_or_b32 exec_lo, exec_lo, s38
	v_add_nc_u32_e32 v0, 0x300, v60
	s_mov_b32 s38, exec_lo
	v_cmpx_gt_i32_e64 s50, v0
	s_cbranch_execz .LBB21_56
; %bb.46:
	s_and_saveexec_b32 s0, s35
	s_delay_alu instid0(SALU_CYCLE_1)
	s_xor_b32 s35, exec_lo, s0
                                        ; implicit-def: $vgpr59
	s_cbranch_execz .LBB21_48
; %bb.47:
	s_wait_loadcnt 0x0
	v_dual_mov_b32 v0, v43 :: v_dual_mov_b32 v1, v44
	s_get_pc_i64 s[0:1]
	s_add_nc_u64 s[0:1], s[0:1], _ZN12_GLOBAL__N_111calc_igammaIfEET_S1_S1_@rel64+4
	s_delay_alu instid0(SALU_CYCLE_1) | instskip(NEXT) | instid1(VALU_DEP_1)
	s_swap_pc_i64 s[30:31], s[0:1]
	v_mov_b32_e32 v59, v0
                                        ; implicit-def: $vgpr43
                                        ; implicit-def: $vgpr44
.LBB21_48:
	s_and_not1_saveexec_b32 s26, s35
	s_cbranch_execz .LBB21_50
; %bb.49:
	s_wait_loadcnt 0x0
	v_dual_mov_b32 v0, v43 :: v_dual_mov_b32 v1, v44
	s_get_pc_i64 s[0:1]
	s_add_nc_u64 s[0:1], s[0:1], _ZN12_GLOBAL__N_112calc_igammacIfEET_S1_S1_@rel64+4
	s_delay_alu instid0(SALU_CYCLE_1) | instskip(NEXT) | instid1(VALU_DEP_1)
	s_swap_pc_i64 s[30:31], s[0:1]
	v_mov_b32_e32 v59, v0
.LBB21_50:
	s_or_b32 exec_lo, exec_lo, s26
	s_delay_alu instid0(SALU_CYCLE_1) | instskip(SKIP_1) | instid1(SALU_CYCLE_1)
	s_or_b32 exec_lo, exec_lo, s38
	s_and_saveexec_b32 s0, s34
	s_xor_b32 s0, exec_lo, s0
	s_cbranch_execnz .LBB21_57
.LBB21_51:
	s_or_b32 exec_lo, exec_lo, s0
	s_delay_alu instid0(SALU_CYCLE_1)
	s_mov_b32 s0, exec_lo
	v_cmpx_gt_i32_e64 s50, v60
	s_cbranch_execz .LBB21_58
.LBB21_52:
	v_add_nc_u32_e32 v0, s46, v60
	v_add_nc_u32_e32 v60, 0x100, v60
	global_store_b32 v0, v57, s[36:37] scale_offset
	s_wait_xcnt 0x0
	s_or_b32 exec_lo, exec_lo, s0
	s_delay_alu instid0(SALU_CYCLE_1)
	s_mov_b32 s0, exec_lo
	v_cmpx_gt_i32_e64 s50, v60
	s_cbranch_execnz .LBB21_59
.LBB21_53:
	s_or_b32 exec_lo, exec_lo, s0
	s_delay_alu instid0(SALU_CYCLE_1)
	s_mov_b32 s0, exec_lo
	v_cmpx_gt_i32_e64 s50, v60
	s_cbranch_execz .LBB21_55
.LBB21_54:
	v_add_nc_u32_e32 v0, s46, v60
	global_store_b32 v0, v59, s[36:37] scale_offset
.LBB21_55:
	s_endpgm
.LBB21_56:
	s_or_b32 exec_lo, exec_lo, s38
	s_and_saveexec_b32 s0, s34
	s_delay_alu instid0(SALU_CYCLE_1)
	s_xor_b32 s0, exec_lo, s0
	s_cbranch_execz .LBB21_51
.LBB21_57:
	v_mov_b32_e32 v60, v62
	global_store_b32 v61, v42, s[36:37] scale_offset
	s_wait_xcnt 0x0
	s_or_b32 exec_lo, exec_lo, s0
	s_delay_alu instid0(SALU_CYCLE_1)
	s_mov_b32 s0, exec_lo
	v_cmpx_gt_i32_e64 s50, v60
	s_cbranch_execnz .LBB21_52
.LBB21_58:
	s_or_b32 exec_lo, exec_lo, s0
	s_delay_alu instid0(SALU_CYCLE_1)
	s_mov_b32 s0, exec_lo
	v_cmpx_gt_i32_e64 s50, v60
	s_cbranch_execz .LBB21_53
.LBB21_59:
	v_add_nc_u32_e32 v0, s46, v60
	v_add_nc_u32_e32 v60, 0x100, v60
	global_store_b32 v0, v58, s[36:37] scale_offset
	s_wait_xcnt 0x0
	s_or_b32 exec_lo, exec_lo, s0
	s_delay_alu instid0(SALU_CYCLE_1)
	s_mov_b32 s0, exec_lo
	v_cmpx_gt_i32_e64 s50, v60
	s_cbranch_execnz .LBB21_54
	s_branch .LBB21_55
	.section	.rodata,"a",@progbits
	.p2align	6, 0x0
	.amdhsa_kernel _ZN2at6native29vectorized_elementwise_kernelILi2EN12_GLOBAL__N_110CalcIgammaIfEESt5arrayIPcLm3EEEEviT0_T1_
		.amdhsa_group_segment_fixed_size 1024
		.amdhsa_private_segment_fixed_size 144
		.amdhsa_kernarg_size 32
		.amdhsa_user_sgpr_count 4
		.amdhsa_user_sgpr_dispatch_ptr 1
		.amdhsa_user_sgpr_queue_ptr 0
		.amdhsa_user_sgpr_kernarg_segment_ptr 1
		.amdhsa_user_sgpr_dispatch_id 0
		.amdhsa_user_sgpr_kernarg_preload_length 0
		.amdhsa_user_sgpr_kernarg_preload_offset 0
		.amdhsa_user_sgpr_private_segment_size 0
		.amdhsa_wavefront_size32 1
		.amdhsa_uses_dynamic_stack 0
		.amdhsa_enable_private_segment 1
		.amdhsa_system_sgpr_workgroup_id_x 1
		.amdhsa_system_sgpr_workgroup_id_y 0
		.amdhsa_system_sgpr_workgroup_id_z 0
		.amdhsa_system_sgpr_workgroup_info 0
		.amdhsa_system_vgpr_workitem_id 2
		.amdhsa_next_free_vgpr 84
		.amdhsa_next_free_sgpr 52
		.amdhsa_named_barrier_count 0
		.amdhsa_reserve_vcc 1
		.amdhsa_float_round_mode_32 0
		.amdhsa_float_round_mode_16_64 0
		.amdhsa_float_denorm_mode_32 3
		.amdhsa_float_denorm_mode_16_64 3
		.amdhsa_fp16_overflow 0
		.amdhsa_memory_ordered 1
		.amdhsa_forward_progress 1
		.amdhsa_inst_pref_size 17
		.amdhsa_round_robin_scheduling 0
		.amdhsa_exception_fp_ieee_invalid_op 0
		.amdhsa_exception_fp_denorm_src 0
		.amdhsa_exception_fp_ieee_div_zero 0
		.amdhsa_exception_fp_ieee_overflow 0
		.amdhsa_exception_fp_ieee_underflow 0
		.amdhsa_exception_fp_ieee_inexact 0
		.amdhsa_exception_int_div_zero 0
	.end_amdhsa_kernel
	.section	.text._ZN2at6native29vectorized_elementwise_kernelILi2EN12_GLOBAL__N_110CalcIgammaIfEESt5arrayIPcLm3EEEEviT0_T1_,"axG",@progbits,_ZN2at6native29vectorized_elementwise_kernelILi2EN12_GLOBAL__N_110CalcIgammaIfEESt5arrayIPcLm3EEEEviT0_T1_,comdat
.Lfunc_end21:
	.size	_ZN2at6native29vectorized_elementwise_kernelILi2EN12_GLOBAL__N_110CalcIgammaIfEESt5arrayIPcLm3EEEEviT0_T1_, .Lfunc_end21-_ZN2at6native29vectorized_elementwise_kernelILi2EN12_GLOBAL__N_110CalcIgammaIfEESt5arrayIPcLm3EEEEviT0_T1_
                                        ; -- End function
	.set _ZN2at6native29vectorized_elementwise_kernelILi2EN12_GLOBAL__N_110CalcIgammaIfEESt5arrayIPcLm3EEEEviT0_T1_.num_vgpr, max(73, .L_ZN12_GLOBAL__N_111calc_igammaIfEET_S1_S1_.num_vgpr, .L_ZN12_GLOBAL__N_112calc_igammacIfEET_S1_S1_.num_vgpr)
	.set _ZN2at6native29vectorized_elementwise_kernelILi2EN12_GLOBAL__N_110CalcIgammaIfEESt5arrayIPcLm3EEEEviT0_T1_.num_agpr, max(0, .L_ZN12_GLOBAL__N_111calc_igammaIfEET_S1_S1_.num_agpr, .L_ZN12_GLOBAL__N_112calc_igammacIfEET_S1_S1_.num_agpr)
	.set _ZN2at6native29vectorized_elementwise_kernelILi2EN12_GLOBAL__N_110CalcIgammaIfEESt5arrayIPcLm3EEEEviT0_T1_.numbered_sgpr, max(52, .L_ZN12_GLOBAL__N_111calc_igammaIfEET_S1_S1_.numbered_sgpr, .L_ZN12_GLOBAL__N_112calc_igammacIfEET_S1_S1_.numbered_sgpr)
	.set _ZN2at6native29vectorized_elementwise_kernelILi2EN12_GLOBAL__N_110CalcIgammaIfEESt5arrayIPcLm3EEEEviT0_T1_.num_named_barrier, max(0, .L_ZN12_GLOBAL__N_111calc_igammaIfEET_S1_S1_.num_named_barrier, .L_ZN12_GLOBAL__N_112calc_igammacIfEET_S1_S1_.num_named_barrier)
	.set _ZN2at6native29vectorized_elementwise_kernelILi2EN12_GLOBAL__N_110CalcIgammaIfEESt5arrayIPcLm3EEEEviT0_T1_.private_seg_size, 0+max(.L_ZN12_GLOBAL__N_111calc_igammaIfEET_S1_S1_.private_seg_size, .L_ZN12_GLOBAL__N_112calc_igammacIfEET_S1_S1_.private_seg_size)
	.set _ZN2at6native29vectorized_elementwise_kernelILi2EN12_GLOBAL__N_110CalcIgammaIfEESt5arrayIPcLm3EEEEviT0_T1_.uses_vcc, or(1, .L_ZN12_GLOBAL__N_111calc_igammaIfEET_S1_S1_.uses_vcc, .L_ZN12_GLOBAL__N_112calc_igammacIfEET_S1_S1_.uses_vcc)
	.set _ZN2at6native29vectorized_elementwise_kernelILi2EN12_GLOBAL__N_110CalcIgammaIfEESt5arrayIPcLm3EEEEviT0_T1_.uses_flat_scratch, or(0, .L_ZN12_GLOBAL__N_111calc_igammaIfEET_S1_S1_.uses_flat_scratch, .L_ZN12_GLOBAL__N_112calc_igammacIfEET_S1_S1_.uses_flat_scratch)
	.set _ZN2at6native29vectorized_elementwise_kernelILi2EN12_GLOBAL__N_110CalcIgammaIfEESt5arrayIPcLm3EEEEviT0_T1_.has_dyn_sized_stack, or(0, .L_ZN12_GLOBAL__N_111calc_igammaIfEET_S1_S1_.has_dyn_sized_stack, .L_ZN12_GLOBAL__N_112calc_igammacIfEET_S1_S1_.has_dyn_sized_stack)
	.set _ZN2at6native29vectorized_elementwise_kernelILi2EN12_GLOBAL__N_110CalcIgammaIfEESt5arrayIPcLm3EEEEviT0_T1_.has_recursion, or(0, .L_ZN12_GLOBAL__N_111calc_igammaIfEET_S1_S1_.has_recursion, .L_ZN12_GLOBAL__N_112calc_igammacIfEET_S1_S1_.has_recursion)
	.set _ZN2at6native29vectorized_elementwise_kernelILi2EN12_GLOBAL__N_110CalcIgammaIfEESt5arrayIPcLm3EEEEviT0_T1_.has_indirect_call, or(0, .L_ZN12_GLOBAL__N_111calc_igammaIfEET_S1_S1_.has_indirect_call, .L_ZN12_GLOBAL__N_112calc_igammacIfEET_S1_S1_.has_indirect_call)
	.section	.AMDGPU.csdata,"",@progbits
; Kernel info:
; codeLenInByte = 2072
; TotalNumSgprs: 54
; NumVgprs: 84
; ScratchSize: 144
; MemoryBound: 0
; FloatMode: 240
; IeeeMode: 1
; LDSByteSize: 1024 bytes/workgroup (compile time only)
; SGPRBlocks: 0
; VGPRBlocks: 5
; NumSGPRsForWavesPerEU: 54
; NumVGPRsForWavesPerEU: 84
; NamedBarCnt: 0
; Occupancy: 10
; WaveLimiterHint : 0
; COMPUTE_PGM_RSRC2:SCRATCH_EN: 1
; COMPUTE_PGM_RSRC2:USER_SGPR: 4
; COMPUTE_PGM_RSRC2:TRAP_HANDLER: 0
; COMPUTE_PGM_RSRC2:TGID_X_EN: 1
; COMPUTE_PGM_RSRC2:TGID_Y_EN: 0
; COMPUTE_PGM_RSRC2:TGID_Z_EN: 0
; COMPUTE_PGM_RSRC2:TIDIG_COMP_CNT: 2
	.section	.text._ZN2at6native27unrolled_elementwise_kernelIN12_GLOBAL__N_110CalcIgammaIfEESt5arrayIPcLm3EELi4E23TrivialOffsetCalculatorILi2EjES8_ILi1EjENS0_6memory15LoadWithoutCastENSB_16StoreWithoutCastEEEviT_T0_T2_T3_T4_T5_,"axG",@progbits,_ZN2at6native27unrolled_elementwise_kernelIN12_GLOBAL__N_110CalcIgammaIfEESt5arrayIPcLm3EELi4E23TrivialOffsetCalculatorILi2EjES8_ILi1EjENS0_6memory15LoadWithoutCastENSB_16StoreWithoutCastEEEviT_T0_T2_T3_T4_T5_,comdat
	.globl	_ZN2at6native27unrolled_elementwise_kernelIN12_GLOBAL__N_110CalcIgammaIfEESt5arrayIPcLm3EELi4E23TrivialOffsetCalculatorILi2EjES8_ILi1EjENS0_6memory15LoadWithoutCastENSB_16StoreWithoutCastEEEviT_T0_T2_T3_T4_T5_ ; -- Begin function _ZN2at6native27unrolled_elementwise_kernelIN12_GLOBAL__N_110CalcIgammaIfEESt5arrayIPcLm3EELi4E23TrivialOffsetCalculatorILi2EjES8_ILi1EjENS0_6memory15LoadWithoutCastENSB_16StoreWithoutCastEEEviT_T0_T2_T3_T4_T5_
	.p2align	8
	.type	_ZN2at6native27unrolled_elementwise_kernelIN12_GLOBAL__N_110CalcIgammaIfEESt5arrayIPcLm3EELi4E23TrivialOffsetCalculatorILi2EjES8_ILi1EjENS0_6memory15LoadWithoutCastENSB_16StoreWithoutCastEEEviT_T0_T2_T3_T4_T5_,@function
_ZN2at6native27unrolled_elementwise_kernelIN12_GLOBAL__N_110CalcIgammaIfEESt5arrayIPcLm3EELi4E23TrivialOffsetCalculatorILi2EjES8_ILi1EjENS0_6memory15LoadWithoutCastENSB_16StoreWithoutCastEEEviT_T0_T2_T3_T4_T5_: ; @_ZN2at6native27unrolled_elementwise_kernelIN12_GLOBAL__N_110CalcIgammaIfEESt5arrayIPcLm3EELi4E23TrivialOffsetCalculatorILi2EjES8_ILi1EjENS0_6memory15LoadWithoutCastENSB_16StoreWithoutCastEEEviT_T0_T2_T3_T4_T5_
; %bb.0:
	s_load_b64 s[4:5], s[0:1], 0x4
	s_load_b64 s[6:7], s[2:3], 0x0
	v_and_b32_e32 v60, 0x3ff, v0
	v_bfe_u32 v2, v0, 10, 10
	v_bfe_u32 v0, v0, 20, 10
	s_load_b128 s[36:39], s[2:3], 0x8
	s_mov_b32 s32, 0
	v_mov_b32_e32 v47, 0
	v_add_nc_u32_e32 v61, 0x100, v60
	s_wait_kmcnt 0x0
	s_lshr_b32 s0, s4, 16
	v_mul_u32_u24_e32 v2, s5, v2
	s_mul_i32 s0, s0, s5
	s_and_b32 s4, ttmp6, 15
	v_mul_lo_u32 v1, s0, v60
	s_and_b32 s0, s7, 1
	s_delay_alu instid0(SALU_CYCLE_1) | instskip(SKIP_1) | instid1(SALU_CYCLE_1)
	v_mov_b32_e32 v3, s0
	s_bfe_u32 s0, ttmp6, 0x4000c
	s_add_co_i32 s5, s0, 1
	s_load_b64 s[0:1], s[2:3], 0x18
	s_wait_xcnt 0x0
	s_mul_i32 s2, ttmp9, s5
	s_getreg_b32 s3, hwreg(HW_REG_IB_STS2, 6, 4)
	s_add_co_i32 s4, s4, s2
	s_delay_alu instid0(VALU_DEP_2) | instskip(SKIP_3) | instid1(SALU_CYCLE_1)
	v_add3_u32 v2, v1, v2, v0
	s_cmp_eq_u32 s3, 0
	v_mov_b32_e32 v0, 0
	s_cselect_b32 s2, ttmp9, s4
	s_lshl_b32 s35, s2, 10
	ds_store_b8 v2, v3
	ds_load_u8 v1, v2
	s_sub_co_i32 s46, s6, s35
	v_or_b32_e32 v62, s35, v60
	v_cmp_gt_i32_e64 s34, s46, v60
	s_wait_dscnt 0x0
	v_dual_mov_b32 v3, v60 :: v_dual_bitop2_b32 v4, 1, v1 bitop3:0x40
	v_mov_b32_e32 v1, 0
	ds_store_b8 v2, v4 offset:256
	s_and_saveexec_b32 s2, s34
	s_cbranch_execz .LBB22_2
; %bb.1:
	global_load_b32 v0, v62, s[38:39] scale_offset
	s_wait_kmcnt 0x0
	global_load_b32 v1, v62, s[0:1] scale_offset
	v_add_nc_u32_e32 v3, 0x100, v60
.LBB22_2:
	s_wait_xcnt 0x0
	s_or_b32 exec_lo, exec_lo, s2
	v_mov_b32_e32 v56, 0
	s_mov_b32 s2, exec_lo
	v_cmpx_gt_i32_e64 s46, v3
	s_cbranch_execz .LBB22_4
; %bb.3:
	v_add_nc_u32_e32 v4, s35, v3
	v_add_nc_u32_e32 v3, 0x100, v3
	global_load_b32 v47, v4, s[38:39] scale_offset
	s_wait_kmcnt 0x0
	global_load_b32 v56, v4, s[0:1] scale_offset
.LBB22_4:
	s_wait_xcnt 0x0
	s_or_b32 exec_lo, exec_lo, s2
	v_dual_mov_b32 v43, 0 :: v_dual_mov_b32 v45, 0
	v_mov_b32_e32 v46, 0
	s_mov_b32 s2, exec_lo
	v_cmpx_gt_i32_e64 s46, v3
	s_cbranch_execz .LBB22_6
; %bb.5:
	v_add_nc_u32_e32 v4, s35, v3
	v_add_nc_u32_e32 v3, 0x100, v3
	global_load_b32 v45, v4, s[38:39] scale_offset
	s_wait_kmcnt 0x0
	global_load_b32 v46, v4, s[0:1] scale_offset
.LBB22_6:
	s_wait_xcnt 0x0
	s_or_b32 exec_lo, exec_lo, s2
	v_mov_b32_e32 v44, 0
	s_mov_b32 s2, exec_lo
	v_cmpx_gt_i32_e64 s46, v3
	s_cbranch_execz .LBB22_8
; %bb.7:
	v_add_nc_u32_e32 v3, s35, v3
	global_load_b32 v43, v3, s[38:39] scale_offset
	s_wait_kmcnt 0x0
	global_load_b32 v44, v3, s[0:1] scale_offset
.LBB22_8:
	s_wait_xcnt 0x0
	s_or_b32 exec_lo, exec_lo, s2
	ds_load_u8 v2, v2 offset:256
	v_mov_b32_e32 v42, 0
	s_delay_alu instid0(VALU_DEP_1) | instskip(SKIP_2) | instid1(VALU_DEP_1)
	v_dual_mov_b32 v57, v42 :: v_dual_mov_b32 v58, v42
	s_wait_dscnt 0x0
	v_dual_mov_b32 v59, v42 :: v_dual_bitop2_b32 v2, 1, v2 bitop3:0x40
	v_cmp_eq_u32_e32 vcc_lo, 1, v2
	s_xor_b32 s38, vcc_lo, -1
	s_and_saveexec_b32 s39, s34
	s_cbranch_execz .LBB22_14
; %bb.9:
                                        ; implicit-def: $vgpr42
	s_wait_kmcnt 0x0
	s_and_saveexec_b32 s0, s38
	s_delay_alu instid0(SALU_CYCLE_1)
	s_xor_b32 s47, exec_lo, s0
	s_cbranch_execz .LBB22_11
; %bb.10:
	s_get_pc_i64 s[0:1]
	s_add_nc_u64 s[0:1], s[0:1], _ZN12_GLOBAL__N_111calc_igammaIfEET_S1_S1_@rel64+4
	s_delay_alu instid0(SALU_CYCLE_1)
	s_swap_pc_i64 s[30:31], s[0:1]
	v_mov_b32_e32 v42, v0
                                        ; implicit-def: $vgpr0
                                        ; implicit-def: $vgpr1
.LBB22_11:
	s_and_not1_saveexec_b32 s26, s47
	s_cbranch_execz .LBB22_13
; %bb.12:
	s_get_pc_i64 s[0:1]
	s_add_nc_u64 s[0:1], s[0:1], _ZN12_GLOBAL__N_112calc_igammacIfEET_S1_S1_@rel64+4
	s_delay_alu instid0(SALU_CYCLE_1)
	s_swap_pc_i64 s[30:31], s[0:1]
	v_mov_b32_e32 v42, v0
.LBB22_13:
	s_or_b32 exec_lo, exec_lo, s26
	v_mov_b32_e32 v57, 0
	s_delay_alu instid0(VALU_DEP_1)
	v_dual_mov_b32 v58, v57 :: v_dual_mov_b32 v59, v57
.LBB22_14:
	s_or_b32 exec_lo, exec_lo, s39
	s_delay_alu instid0(SALU_CYCLE_1)
	s_mov_b32 s39, exec_lo
	v_cmpx_gt_i32_e64 s46, v61
	s_cbranch_execz .LBB22_20
; %bb.15:
	s_wait_kmcnt 0x0
	s_and_saveexec_b32 s0, s38
	s_delay_alu instid0(SALU_CYCLE_1)
	s_xor_b32 s47, exec_lo, s0
                                        ; implicit-def: $vgpr57
	s_cbranch_execz .LBB22_17
; %bb.16:
	s_wait_loadcnt 0x0
	v_dual_mov_b32 v0, v47 :: v_dual_mov_b32 v1, v56
	s_get_pc_i64 s[0:1]
	s_add_nc_u64 s[0:1], s[0:1], _ZN12_GLOBAL__N_111calc_igammaIfEET_S1_S1_@rel64+4
	s_delay_alu instid0(SALU_CYCLE_1) | instskip(NEXT) | instid1(VALU_DEP_1)
	s_swap_pc_i64 s[30:31], s[0:1]
	v_mov_b32_e32 v57, v0
                                        ; implicit-def: $vgpr47
                                        ; implicit-def: $vgpr56
.LBB22_17:
	s_and_not1_saveexec_b32 s26, s47
	s_cbranch_execz .LBB22_19
; %bb.18:
	s_wait_loadcnt 0x0
	v_dual_mov_b32 v0, v47 :: v_dual_mov_b32 v1, v56
	s_get_pc_i64 s[0:1]
	s_add_nc_u64 s[0:1], s[0:1], _ZN12_GLOBAL__N_112calc_igammacIfEET_S1_S1_@rel64+4
	s_delay_alu instid0(SALU_CYCLE_1) | instskip(NEXT) | instid1(VALU_DEP_1)
	s_swap_pc_i64 s[30:31], s[0:1]
	v_mov_b32_e32 v57, v0
.LBB22_19:
	s_or_b32 exec_lo, exec_lo, s26
.LBB22_20:
	s_delay_alu instid0(SALU_CYCLE_1) | instskip(SKIP_3) | instid1(VALU_DEP_1)
	s_or_b32 exec_lo, exec_lo, s39
	s_wait_loadcnt 0x1
	v_add_nc_u32_e32 v0, 0x200, v60
	s_mov_b32 s39, exec_lo
	v_cmpx_gt_i32_e64 s46, v0
	s_cbranch_execz .LBB22_26
; %bb.21:
	s_wait_kmcnt 0x0
	s_and_saveexec_b32 s0, s38
	s_delay_alu instid0(SALU_CYCLE_1)
	s_xor_b32 s47, exec_lo, s0
                                        ; implicit-def: $vgpr58
	s_cbranch_execz .LBB22_23
; %bb.22:
	s_wait_loadcnt 0x0
	v_dual_mov_b32 v0, v45 :: v_dual_mov_b32 v1, v46
	s_get_pc_i64 s[0:1]
	s_add_nc_u64 s[0:1], s[0:1], _ZN12_GLOBAL__N_111calc_igammaIfEET_S1_S1_@rel64+4
	s_delay_alu instid0(SALU_CYCLE_1) | instskip(NEXT) | instid1(VALU_DEP_1)
	s_swap_pc_i64 s[30:31], s[0:1]
	v_mov_b32_e32 v58, v0
                                        ; implicit-def: $vgpr45
                                        ; implicit-def: $vgpr46
.LBB22_23:
	s_and_not1_saveexec_b32 s26, s47
	s_cbranch_execz .LBB22_25
; %bb.24:
	s_wait_loadcnt 0x0
	v_dual_mov_b32 v0, v45 :: v_dual_mov_b32 v1, v46
	s_get_pc_i64 s[0:1]
	s_add_nc_u64 s[0:1], s[0:1], _ZN12_GLOBAL__N_112calc_igammacIfEET_S1_S1_@rel64+4
	s_delay_alu instid0(SALU_CYCLE_1) | instskip(NEXT) | instid1(VALU_DEP_1)
	s_swap_pc_i64 s[30:31], s[0:1]
	v_mov_b32_e32 v58, v0
.LBB22_25:
	s_or_b32 exec_lo, exec_lo, s26
.LBB22_26:
	s_delay_alu instid0(SALU_CYCLE_1) | instskip(SKIP_2) | instid1(VALU_DEP_1)
	s_or_b32 exec_lo, exec_lo, s39
	v_add_nc_u32_e32 v0, 0x300, v60
	s_mov_b32 s39, exec_lo
	v_cmpx_gt_i32_e64 s46, v0
	s_cbranch_execnz .LBB22_32
; %bb.27:
	s_or_b32 exec_lo, exec_lo, s39
	s_wait_kmcnt 0x0
	s_and_saveexec_b32 s0, s34
	s_delay_alu instid0(SALU_CYCLE_1)
	s_xor_b32 s0, exec_lo, s0
	s_cbranch_execnz .LBB22_37
.LBB22_28:
	s_or_b32 exec_lo, exec_lo, s0
	s_delay_alu instid0(SALU_CYCLE_1)
	s_mov_b32 s0, exec_lo
	v_cmpx_gt_i32_e64 s46, v60
	s_cbranch_execnz .LBB22_38
.LBB22_29:
	s_or_b32 exec_lo, exec_lo, s0
	s_delay_alu instid0(SALU_CYCLE_1)
	s_mov_b32 s0, exec_lo
	v_cmpx_gt_i32_e64 s46, v60
	s_cbranch_execnz .LBB22_39
.LBB22_30:
	s_or_b32 exec_lo, exec_lo, s0
	s_delay_alu instid0(SALU_CYCLE_1)
	s_mov_b32 s0, exec_lo
	v_cmpx_gt_i32_e64 s46, v60
	s_cbranch_execnz .LBB22_40
.LBB22_31:
	s_endpgm
.LBB22_32:
	s_wait_kmcnt 0x0
	s_and_saveexec_b32 s0, s38
	s_delay_alu instid0(SALU_CYCLE_1)
	s_xor_b32 s38, exec_lo, s0
                                        ; implicit-def: $vgpr59
	s_cbranch_execz .LBB22_34
; %bb.33:
	s_wait_loadcnt 0x0
	v_dual_mov_b32 v0, v43 :: v_dual_mov_b32 v1, v44
	s_get_pc_i64 s[0:1]
	s_add_nc_u64 s[0:1], s[0:1], _ZN12_GLOBAL__N_111calc_igammaIfEET_S1_S1_@rel64+4
	s_delay_alu instid0(SALU_CYCLE_1) | instskip(NEXT) | instid1(VALU_DEP_1)
	s_swap_pc_i64 s[30:31], s[0:1]
	v_mov_b32_e32 v59, v0
                                        ; implicit-def: $vgpr43
                                        ; implicit-def: $vgpr44
.LBB22_34:
	s_and_not1_saveexec_b32 s26, s38
	s_cbranch_execz .LBB22_36
; %bb.35:
	s_wait_loadcnt 0x0
	v_dual_mov_b32 v0, v43 :: v_dual_mov_b32 v1, v44
	s_get_pc_i64 s[0:1]
	s_add_nc_u64 s[0:1], s[0:1], _ZN12_GLOBAL__N_112calc_igammacIfEET_S1_S1_@rel64+4
	s_delay_alu instid0(SALU_CYCLE_1) | instskip(NEXT) | instid1(VALU_DEP_1)
	s_swap_pc_i64 s[30:31], s[0:1]
	v_mov_b32_e32 v59, v0
.LBB22_36:
	s_or_b32 exec_lo, exec_lo, s26
	s_delay_alu instid0(SALU_CYCLE_1) | instskip(SKIP_1) | instid1(SALU_CYCLE_1)
	s_or_b32 exec_lo, exec_lo, s39
	s_and_saveexec_b32 s0, s34
	s_xor_b32 s0, exec_lo, s0
	s_cbranch_execz .LBB22_28
.LBB22_37:
	v_mov_b32_e32 v60, v61
	global_store_b32 v62, v42, s[36:37] scale_offset
	s_wait_xcnt 0x0
	s_or_b32 exec_lo, exec_lo, s0
	s_delay_alu instid0(SALU_CYCLE_1)
	s_mov_b32 s0, exec_lo
	v_cmpx_gt_i32_e64 s46, v60
	s_cbranch_execz .LBB22_29
.LBB22_38:
	v_add_nc_u32_e32 v0, 0x100, v60
	s_wait_loadcnt 0x0
	s_delay_alu instid0(VALU_DEP_1) | instskip(SKIP_3) | instid1(SALU_CYCLE_1)
	v_dual_mov_b32 v60, v0 :: v_dual_add_nc_u32 v1, s35, v60
	global_store_b32 v1, v57, s[36:37] scale_offset
	s_wait_xcnt 0x0
	s_or_b32 exec_lo, exec_lo, s0
	s_mov_b32 s0, exec_lo
	v_cmpx_gt_i32_e64 s46, v60
	s_cbranch_execz .LBB22_30
.LBB22_39:
	v_add_nc_u32_e32 v0, 0x100, v60
	s_wait_loadcnt 0x0
	s_delay_alu instid0(VALU_DEP_1) | instskip(SKIP_3) | instid1(SALU_CYCLE_1)
	v_dual_mov_b32 v60, v0 :: v_dual_add_nc_u32 v1, s35, v60
	global_store_b32 v1, v58, s[36:37] scale_offset
	s_wait_xcnt 0x0
	s_or_b32 exec_lo, exec_lo, s0
	s_mov_b32 s0, exec_lo
	v_cmpx_gt_i32_e64 s46, v60
	s_cbranch_execz .LBB22_31
.LBB22_40:
	v_add_nc_u32_e32 v0, s35, v60
	global_store_b32 v0, v59, s[36:37] scale_offset
	s_endpgm
	.section	.rodata,"a",@progbits
	.p2align	6, 0x0
	.amdhsa_kernel _ZN2at6native27unrolled_elementwise_kernelIN12_GLOBAL__N_110CalcIgammaIfEESt5arrayIPcLm3EELi4E23TrivialOffsetCalculatorILi2EjES8_ILi1EjENS0_6memory15LoadWithoutCastENSB_16StoreWithoutCastEEEviT_T0_T2_T3_T4_T5_
		.amdhsa_group_segment_fixed_size 512
		.amdhsa_private_segment_fixed_size 144
		.amdhsa_kernarg_size 36
		.amdhsa_user_sgpr_count 4
		.amdhsa_user_sgpr_dispatch_ptr 1
		.amdhsa_user_sgpr_queue_ptr 0
		.amdhsa_user_sgpr_kernarg_segment_ptr 1
		.amdhsa_user_sgpr_dispatch_id 0
		.amdhsa_user_sgpr_kernarg_preload_length 0
		.amdhsa_user_sgpr_kernarg_preload_offset 0
		.amdhsa_user_sgpr_private_segment_size 0
		.amdhsa_wavefront_size32 1
		.amdhsa_uses_dynamic_stack 0
		.amdhsa_enable_private_segment 1
		.amdhsa_system_sgpr_workgroup_id_x 1
		.amdhsa_system_sgpr_workgroup_id_y 0
		.amdhsa_system_sgpr_workgroup_id_z 0
		.amdhsa_system_sgpr_workgroup_info 0
		.amdhsa_system_vgpr_workitem_id 2
		.amdhsa_next_free_vgpr 84
		.amdhsa_next_free_sgpr 48
		.amdhsa_named_barrier_count 0
		.amdhsa_reserve_vcc 1
		.amdhsa_float_round_mode_32 0
		.amdhsa_float_round_mode_16_64 0
		.amdhsa_float_denorm_mode_32 3
		.amdhsa_float_denorm_mode_16_64 3
		.amdhsa_fp16_overflow 0
		.amdhsa_memory_ordered 1
		.amdhsa_forward_progress 1
		.amdhsa_inst_pref_size 11
		.amdhsa_round_robin_scheduling 0
		.amdhsa_exception_fp_ieee_invalid_op 0
		.amdhsa_exception_fp_denorm_src 0
		.amdhsa_exception_fp_ieee_div_zero 0
		.amdhsa_exception_fp_ieee_overflow 0
		.amdhsa_exception_fp_ieee_underflow 0
		.amdhsa_exception_fp_ieee_inexact 0
		.amdhsa_exception_int_div_zero 0
	.end_amdhsa_kernel
	.section	.text._ZN2at6native27unrolled_elementwise_kernelIN12_GLOBAL__N_110CalcIgammaIfEESt5arrayIPcLm3EELi4E23TrivialOffsetCalculatorILi2EjES8_ILi1EjENS0_6memory15LoadWithoutCastENSB_16StoreWithoutCastEEEviT_T0_T2_T3_T4_T5_,"axG",@progbits,_ZN2at6native27unrolled_elementwise_kernelIN12_GLOBAL__N_110CalcIgammaIfEESt5arrayIPcLm3EELi4E23TrivialOffsetCalculatorILi2EjES8_ILi1EjENS0_6memory15LoadWithoutCastENSB_16StoreWithoutCastEEEviT_T0_T2_T3_T4_T5_,comdat
.Lfunc_end22:
	.size	_ZN2at6native27unrolled_elementwise_kernelIN12_GLOBAL__N_110CalcIgammaIfEESt5arrayIPcLm3EELi4E23TrivialOffsetCalculatorILi2EjES8_ILi1EjENS0_6memory15LoadWithoutCastENSB_16StoreWithoutCastEEEviT_T0_T2_T3_T4_T5_, .Lfunc_end22-_ZN2at6native27unrolled_elementwise_kernelIN12_GLOBAL__N_110CalcIgammaIfEESt5arrayIPcLm3EELi4E23TrivialOffsetCalculatorILi2EjES8_ILi1EjENS0_6memory15LoadWithoutCastENSB_16StoreWithoutCastEEEviT_T0_T2_T3_T4_T5_
                                        ; -- End function
	.set _ZN2at6native27unrolled_elementwise_kernelIN12_GLOBAL__N_110CalcIgammaIfEESt5arrayIPcLm3EELi4E23TrivialOffsetCalculatorILi2EjES8_ILi1EjENS0_6memory15LoadWithoutCastENSB_16StoreWithoutCastEEEviT_T0_T2_T3_T4_T5_.num_vgpr, max(63, .L_ZN12_GLOBAL__N_111calc_igammaIfEET_S1_S1_.num_vgpr, .L_ZN12_GLOBAL__N_112calc_igammacIfEET_S1_S1_.num_vgpr)
	.set _ZN2at6native27unrolled_elementwise_kernelIN12_GLOBAL__N_110CalcIgammaIfEESt5arrayIPcLm3EELi4E23TrivialOffsetCalculatorILi2EjES8_ILi1EjENS0_6memory15LoadWithoutCastENSB_16StoreWithoutCastEEEviT_T0_T2_T3_T4_T5_.num_agpr, max(0, .L_ZN12_GLOBAL__N_111calc_igammaIfEET_S1_S1_.num_agpr, .L_ZN12_GLOBAL__N_112calc_igammacIfEET_S1_S1_.num_agpr)
	.set _ZN2at6native27unrolled_elementwise_kernelIN12_GLOBAL__N_110CalcIgammaIfEESt5arrayIPcLm3EELi4E23TrivialOffsetCalculatorILi2EjES8_ILi1EjENS0_6memory15LoadWithoutCastENSB_16StoreWithoutCastEEEviT_T0_T2_T3_T4_T5_.numbered_sgpr, max(48, .L_ZN12_GLOBAL__N_111calc_igammaIfEET_S1_S1_.numbered_sgpr, .L_ZN12_GLOBAL__N_112calc_igammacIfEET_S1_S1_.numbered_sgpr)
	.set _ZN2at6native27unrolled_elementwise_kernelIN12_GLOBAL__N_110CalcIgammaIfEESt5arrayIPcLm3EELi4E23TrivialOffsetCalculatorILi2EjES8_ILi1EjENS0_6memory15LoadWithoutCastENSB_16StoreWithoutCastEEEviT_T0_T2_T3_T4_T5_.num_named_barrier, max(0, .L_ZN12_GLOBAL__N_111calc_igammaIfEET_S1_S1_.num_named_barrier, .L_ZN12_GLOBAL__N_112calc_igammacIfEET_S1_S1_.num_named_barrier)
	.set _ZN2at6native27unrolled_elementwise_kernelIN12_GLOBAL__N_110CalcIgammaIfEESt5arrayIPcLm3EELi4E23TrivialOffsetCalculatorILi2EjES8_ILi1EjENS0_6memory15LoadWithoutCastENSB_16StoreWithoutCastEEEviT_T0_T2_T3_T4_T5_.private_seg_size, 0+max(.L_ZN12_GLOBAL__N_111calc_igammaIfEET_S1_S1_.private_seg_size, .L_ZN12_GLOBAL__N_112calc_igammacIfEET_S1_S1_.private_seg_size)
	.set _ZN2at6native27unrolled_elementwise_kernelIN12_GLOBAL__N_110CalcIgammaIfEESt5arrayIPcLm3EELi4E23TrivialOffsetCalculatorILi2EjES8_ILi1EjENS0_6memory15LoadWithoutCastENSB_16StoreWithoutCastEEEviT_T0_T2_T3_T4_T5_.uses_vcc, or(1, .L_ZN12_GLOBAL__N_111calc_igammaIfEET_S1_S1_.uses_vcc, .L_ZN12_GLOBAL__N_112calc_igammacIfEET_S1_S1_.uses_vcc)
	.set _ZN2at6native27unrolled_elementwise_kernelIN12_GLOBAL__N_110CalcIgammaIfEESt5arrayIPcLm3EELi4E23TrivialOffsetCalculatorILi2EjES8_ILi1EjENS0_6memory15LoadWithoutCastENSB_16StoreWithoutCastEEEviT_T0_T2_T3_T4_T5_.uses_flat_scratch, or(0, .L_ZN12_GLOBAL__N_111calc_igammaIfEET_S1_S1_.uses_flat_scratch, .L_ZN12_GLOBAL__N_112calc_igammacIfEET_S1_S1_.uses_flat_scratch)
	.set _ZN2at6native27unrolled_elementwise_kernelIN12_GLOBAL__N_110CalcIgammaIfEESt5arrayIPcLm3EELi4E23TrivialOffsetCalculatorILi2EjES8_ILi1EjENS0_6memory15LoadWithoutCastENSB_16StoreWithoutCastEEEviT_T0_T2_T3_T4_T5_.has_dyn_sized_stack, or(0, .L_ZN12_GLOBAL__N_111calc_igammaIfEET_S1_S1_.has_dyn_sized_stack, .L_ZN12_GLOBAL__N_112calc_igammacIfEET_S1_S1_.has_dyn_sized_stack)
	.set _ZN2at6native27unrolled_elementwise_kernelIN12_GLOBAL__N_110CalcIgammaIfEESt5arrayIPcLm3EELi4E23TrivialOffsetCalculatorILi2EjES8_ILi1EjENS0_6memory15LoadWithoutCastENSB_16StoreWithoutCastEEEviT_T0_T2_T3_T4_T5_.has_recursion, or(0, .L_ZN12_GLOBAL__N_111calc_igammaIfEET_S1_S1_.has_recursion, .L_ZN12_GLOBAL__N_112calc_igammacIfEET_S1_S1_.has_recursion)
	.set _ZN2at6native27unrolled_elementwise_kernelIN12_GLOBAL__N_110CalcIgammaIfEESt5arrayIPcLm3EELi4E23TrivialOffsetCalculatorILi2EjES8_ILi1EjENS0_6memory15LoadWithoutCastENSB_16StoreWithoutCastEEEviT_T0_T2_T3_T4_T5_.has_indirect_call, or(0, .L_ZN12_GLOBAL__N_111calc_igammaIfEET_S1_S1_.has_indirect_call, .L_ZN12_GLOBAL__N_112calc_igammacIfEET_S1_S1_.has_indirect_call)
	.section	.AMDGPU.csdata,"",@progbits
; Kernel info:
; codeLenInByte = 1380
; TotalNumSgprs: 50
; NumVgprs: 84
; ScratchSize: 144
; MemoryBound: 0
; FloatMode: 240
; IeeeMode: 1
; LDSByteSize: 512 bytes/workgroup (compile time only)
; SGPRBlocks: 0
; VGPRBlocks: 5
; NumSGPRsForWavesPerEU: 50
; NumVGPRsForWavesPerEU: 84
; NamedBarCnt: 0
; Occupancy: 10
; WaveLimiterHint : 0
; COMPUTE_PGM_RSRC2:SCRATCH_EN: 1
; COMPUTE_PGM_RSRC2:USER_SGPR: 4
; COMPUTE_PGM_RSRC2:TRAP_HANDLER: 0
; COMPUTE_PGM_RSRC2:TGID_X_EN: 1
; COMPUTE_PGM_RSRC2:TGID_Y_EN: 0
; COMPUTE_PGM_RSRC2:TGID_Z_EN: 0
; COMPUTE_PGM_RSRC2:TIDIG_COMP_CNT: 2
	.section	.text._ZN2at6native32elementwise_kernel_manual_unrollILi128ELi4EZNS0_22gpu_kernel_impl_nocastIN12_GLOBAL__N_110CalcIgammaIfEEEEvRNS_18TensorIteratorBaseERKT_EUlibE_EEviT1_,"axG",@progbits,_ZN2at6native32elementwise_kernel_manual_unrollILi128ELi4EZNS0_22gpu_kernel_impl_nocastIN12_GLOBAL__N_110CalcIgammaIfEEEEvRNS_18TensorIteratorBaseERKT_EUlibE_EEviT1_,comdat
	.globl	_ZN2at6native32elementwise_kernel_manual_unrollILi128ELi4EZNS0_22gpu_kernel_impl_nocastIN12_GLOBAL__N_110CalcIgammaIfEEEEvRNS_18TensorIteratorBaseERKT_EUlibE_EEviT1_ ; -- Begin function _ZN2at6native32elementwise_kernel_manual_unrollILi128ELi4EZNS0_22gpu_kernel_impl_nocastIN12_GLOBAL__N_110CalcIgammaIfEEEEvRNS_18TensorIteratorBaseERKT_EUlibE_EEviT1_
	.p2align	8
	.type	_ZN2at6native32elementwise_kernel_manual_unrollILi128ELi4EZNS0_22gpu_kernel_impl_nocastIN12_GLOBAL__N_110CalcIgammaIfEEEEvRNS_18TensorIteratorBaseERKT_EUlibE_EEviT1_,@function
_ZN2at6native32elementwise_kernel_manual_unrollILi128ELi4EZNS0_22gpu_kernel_impl_nocastIN12_GLOBAL__N_110CalcIgammaIfEEEEvRNS_18TensorIteratorBaseERKT_EUlibE_EEviT1_: ; @_ZN2at6native32elementwise_kernel_manual_unrollILi128ELi4EZNS0_22gpu_kernel_impl_nocastIN12_GLOBAL__N_110CalcIgammaIfEEEEvRNS_18TensorIteratorBaseERKT_EUlibE_EEviT1_
; %bb.0:
	s_clause 0x1
	s_load_b32 s59, s[0:1], 0x8
	s_load_b32 s71, s[0:1], 0x0
	s_bfe_u32 s2, ttmp6, 0x4000c
	s_and_b32 s3, ttmp6, 15
	s_add_co_i32 s2, s2, 1
	s_getreg_b32 s4, hwreg(HW_REG_IB_STS2, 6, 4)
	s_mul_i32 s2, ttmp9, s2
	s_add_nc_u64 s[34:35], s[0:1], 8
	s_add_co_i32 s3, s3, s2
	s_cmp_eq_u32 s4, 0
	s_mov_b32 s61, 0
	s_cselect_b32 s2, ttmp9, s3
	s_mov_b32 s32, 0
	v_lshl_or_b32 v44, s2, 9, v0
	s_wait_xcnt 0x0
	s_mov_b32 s0, exec_lo
	s_delay_alu instid0(VALU_DEP_1) | instskip(SKIP_2) | instid1(SALU_CYCLE_1)
	v_or_b32_e32 v0, 0x180, v44
	s_wait_kmcnt 0x0
	s_add_co_i32 s66, s59, -1
	s_cmp_gt_u32 s66, 1
	s_cselect_b32 s67, -1, 0
	v_cmpx_le_i32_e64 s71, v0
	s_xor_b32 s68, exec_lo, s0
	s_cbranch_execz .LBB23_70
; %bb.1:
	s_clause 0x5
	s_load_b128 s[48:51], s[34:35], 0x4
	s_load_b64 s[46:47], s[34:35], 0x14
	s_load_b96 s[56:58], s[34:35], 0x198
	s_load_b128 s[52:55], s[34:35], 0xc4
	s_load_b64 s[62:63], s[34:35], 0xd4
	s_load_b128 s[36:39], s[34:35], 0x188
	s_cmp_lg_u32 s59, 0
	s_mov_b32 s65, s61
	s_cselect_b32 s72, -1, 0
	s_min_u32 s70, s66, 15
	s_cmp_gt_u32 s59, 1
	s_cselect_b32 s69, -1, 0
	s_wait_kmcnt 0x0
	s_mov_b32 s60, s49
	s_mov_b32 s64, s46
	s_bitcmp1_b32 s58, 0
	s_mov_b32 s49, exec_lo
	s_cselect_b32 s0, -1, 0
	s_delay_alu instid0(SALU_CYCLE_1)
	s_xor_b32 s46, s0, -1
	v_cmpx_gt_i32_e64 s71, v44
	s_cbranch_execnz .LBB23_5
; %bb.2:
	s_or_b32 exec_lo, exec_lo, s49
	s_delay_alu instid0(SALU_CYCLE_1)
	s_mov_b32 s49, exec_lo
	v_cmpx_gt_i32_e64 s71, v44
	s_cbranch_execnz .LBB23_21
.LBB23_3:
	s_or_b32 exec_lo, exec_lo, s49
	s_delay_alu instid0(SALU_CYCLE_1)
	s_mov_b32 s49, exec_lo
	v_cmpx_gt_i32_e64 s71, v44
	s_cbranch_execnz .LBB23_37
.LBB23_4:
	s_or_b32 exec_lo, exec_lo, s49
	s_delay_alu instid0(SALU_CYCLE_1)
	s_mov_b32 s49, exec_lo
	v_cmpx_gt_i32_e64 s71, v44
	s_cbranch_execnz .LBB23_53
	s_branch .LBB23_69
.LBB23_5:
	s_and_not1_b32 vcc_lo, exec_lo, s67
	s_cbranch_vccnz .LBB23_11
; %bb.6:
	s_and_not1_b32 vcc_lo, exec_lo, s72
	s_cbranch_vccnz .LBB23_12
; %bb.7:
	v_dual_mov_b32 v43, 0 :: v_dual_mov_b32 v0, v44
	v_dual_mov_b32 v3, 0 :: v_dual_mov_b32 v2, 0
	s_add_co_i32 s2, s70, 1
	s_mov_b64 s[0:1], 0xffffffffffffffe8
	s_and_b32 s2, s2, 30
	s_add_nc_u64 s[0:1], s[34:35], s[0:1]
.LBB23_8:                               ; =>This Inner Loop Header: Depth=1
	s_clause 0x1
	s_load_b128 s[4:7], s[0:1], 0x1c
	s_load_b64 s[12:13], s[0:1], 0x2c
	s_add_co_i32 s2, s2, -2
	s_delay_alu instid0(SALU_CYCLE_1) | instskip(SKIP_2) | instid1(VALU_DEP_1)
	s_cmp_lg_u32 s2, 0
	s_wait_kmcnt 0x0
	v_mul_hi_u32 v1, s5, v0
	v_add_nc_u32_e32 v1, v0, v1
	s_delay_alu instid0(VALU_DEP_1) | instskip(NEXT) | instid1(VALU_DEP_1)
	v_lshrrev_b32_e32 v1, s6, v1
	v_mul_hi_u32 v4, s12, v1
	v_mul_lo_u32 v5, v1, s4
	s_clause 0x1
	s_load_b128 s[8:11], s[0:1], 0xdc
	s_load_b64 s[4:5], s[0:1], 0xec
	s_wait_xcnt 0x0
	s_add_nc_u64 s[0:1], s[0:1], 24
	s_delay_alu instid0(VALU_DEP_1) | instskip(NEXT) | instid1(VALU_DEP_1)
	v_dual_add_nc_u32 v4, v1, v4 :: v_dual_sub_nc_u32 v5, v0, v5
	v_lshrrev_b32_e32 v0, s13, v4
	s_wait_kmcnt 0x0
	s_delay_alu instid0(VALU_DEP_2) | instskip(NEXT) | instid1(VALU_DEP_2)
	v_mad_u32 v6, v5, s8, v43
	v_mul_lo_u32 v4, v0, s7
	v_mad_u32 v2, v5, s10, v2
	v_mad_u32 v3, v5, s9, v3
	s_delay_alu instid0(VALU_DEP_3) | instskip(NEXT) | instid1(VALU_DEP_1)
	v_sub_nc_u32_e32 v1, v1, v4
	v_mad_u32 v43, v1, s11, v6
	s_delay_alu instid0(VALU_DEP_4) | instskip(NEXT) | instid1(VALU_DEP_4)
	v_mad_u32 v2, v1, s5, v2
	v_mad_u32 v3, v1, s4, v3
	s_cbranch_scc1 .LBB23_8
; %bb.9:
	s_bitcmp1_b32 s70, 0
	s_cselect_b32 s2, -1, 0
	s_delay_alu instid0(SALU_CYCLE_1)
	s_and_b32 vcc_lo, exec_lo, s2
	s_cbranch_vccnz .LBB23_13
; %bb.10:
	s_clause 0x1
	s_load_b96 s[4:6], s[0:1], 0x1c
	s_load_b96 s[8:10], s[0:1], 0xdc
	s_wait_xcnt 0x0
	s_wait_kmcnt 0x0
	v_mul_hi_u32 v1, s5, v0
	s_delay_alu instid0(VALU_DEP_1) | instskip(NEXT) | instid1(VALU_DEP_1)
	v_add_nc_u32_e32 v1, v0, v1
	v_lshrrev_b32_e32 v1, s6, v1
	s_delay_alu instid0(VALU_DEP_1) | instskip(NEXT) | instid1(VALU_DEP_1)
	v_mul_lo_u32 v1, v1, s4
	v_sub_nc_u32_e32 v0, v0, v1
	s_delay_alu instid0(VALU_DEP_1)
	v_mad_u32 v43, v0, s8, v43
	v_mad_u32 v3, v0, s9, v3
	;; [unrolled: 1-line block ×3, first 2 shown]
	s_cbranch_execz .LBB23_14
	s_branch .LBB23_16
.LBB23_11:
                                        ; implicit-def: $vgpr2
                                        ; implicit-def: $vgpr3
                                        ; implicit-def: $vgpr43
	s_branch .LBB23_14
.LBB23_12:
	v_dual_mov_b32 v2, 0 :: v_dual_mov_b32 v3, 0
	v_mov_b32_e32 v43, 0
.LBB23_13:
	s_cbranch_execnz .LBB23_16
.LBB23_14:
	v_mov_b32_e32 v45, 0
	s_and_not1_b32 vcc_lo, exec_lo, s69
	s_delay_alu instid0(VALU_DEP_1) | instskip(NEXT) | instid1(VALU_DEP_1)
	v_mul_u64_e32 v[0:1], s[60:61], v[44:45]
	v_add_nc_u32_e32 v0, v44, v1
	s_delay_alu instid0(VALU_DEP_1) | instskip(NEXT) | instid1(VALU_DEP_1)
	v_lshrrev_b32_e32 v0, s50, v0
	v_mul_lo_u32 v1, v0, s48
	s_delay_alu instid0(VALU_DEP_1) | instskip(NEXT) | instid1(VALU_DEP_1)
	v_sub_nc_u32_e32 v1, v44, v1
	v_mul_lo_u32 v43, v1, s52
	v_mul_lo_u32 v2, v1, s54
	;; [unrolled: 1-line block ×3, first 2 shown]
	s_cbranch_vccnz .LBB23_16
; %bb.15:
	v_mov_b32_e32 v1, v45
	s_delay_alu instid0(VALU_DEP_1) | instskip(NEXT) | instid1(VALU_DEP_1)
	v_mul_u64_e32 v[4:5], s[64:65], v[0:1]
	v_add_nc_u32_e32 v1, v0, v5
	s_delay_alu instid0(VALU_DEP_1) | instskip(NEXT) | instid1(VALU_DEP_1)
	v_lshrrev_b32_e32 v1, s47, v1
	v_mul_lo_u32 v1, v1, s51
	s_delay_alu instid0(VALU_DEP_1) | instskip(NEXT) | instid1(VALU_DEP_1)
	v_sub_nc_u32_e32 v0, v0, v1
	v_mad_u32 v43, v0, s55, v43
	v_mad_u32 v3, v0, s62, v3
	;; [unrolled: 1-line block ×3, first 2 shown]
.LBB23_16:
	global_load_b32 v40, v3, s[38:39]
	global_load_b32 v42, v2, s[56:57]
	s_and_b32 vcc_lo, exec_lo, s46
	s_cbranch_vccz .LBB23_18
; %bb.17:
	s_wait_loadcnt 0x0
	v_dual_mov_b32 v0, v40 :: v_dual_mov_b32 v1, v42
	s_get_pc_i64 s[0:1]
	s_add_nc_u64 s[0:1], s[0:1], _ZN12_GLOBAL__N_111calc_igammaIfEET_S1_S1_@rel64+4
	s_delay_alu instid0(SALU_CYCLE_1)
	s_swap_pc_i64 s[30:31], s[0:1]
	s_cbranch_execz .LBB23_19
	s_branch .LBB23_20
.LBB23_18:
                                        ; implicit-def: $vgpr0
.LBB23_19:
	s_wait_loadcnt 0x0
	v_dual_mov_b32 v0, v40 :: v_dual_mov_b32 v1, v42
	s_get_pc_i64 s[0:1]
	s_add_nc_u64 s[0:1], s[0:1], _ZN12_GLOBAL__N_112calc_igammacIfEET_S1_S1_@rel64+4
	s_delay_alu instid0(SALU_CYCLE_1)
	s_swap_pc_i64 s[30:31], s[0:1]
.LBB23_20:
	v_add_nc_u32_e32 v44, 0x80, v44
	global_store_b32 v43, v0, s[36:37]
	s_wait_xcnt 0x0
	s_or_b32 exec_lo, exec_lo, s49
	s_delay_alu instid0(SALU_CYCLE_1)
	s_mov_b32 s49, exec_lo
	v_cmpx_gt_i32_e64 s71, v44
	s_cbranch_execz .LBB23_3
.LBB23_21:
	s_and_not1_b32 vcc_lo, exec_lo, s67
	s_cbranch_vccnz .LBB23_27
; %bb.22:
	s_and_not1_b32 vcc_lo, exec_lo, s72
	s_cbranch_vccnz .LBB23_28
; %bb.23:
	v_dual_mov_b32 v43, 0 :: v_dual_mov_b32 v0, v44
	v_dual_mov_b32 v3, 0 :: v_dual_mov_b32 v2, 0
	s_add_co_i32 s2, s70, 1
	s_mov_b64 s[0:1], 0xffffffffffffffe8
	s_and_b32 s2, s2, 30
	s_add_nc_u64 s[0:1], s[34:35], s[0:1]
.LBB23_24:                              ; =>This Inner Loop Header: Depth=1
	s_clause 0x1
	s_load_b128 s[4:7], s[0:1], 0x1c
	s_load_b64 s[12:13], s[0:1], 0x2c
	s_add_co_i32 s2, s2, -2
	s_delay_alu instid0(SALU_CYCLE_1) | instskip(SKIP_2) | instid1(VALU_DEP_1)
	s_cmp_eq_u32 s2, 0
	s_wait_kmcnt 0x0
	v_mul_hi_u32 v1, s5, v0
	v_add_nc_u32_e32 v1, v0, v1
	s_delay_alu instid0(VALU_DEP_1) | instskip(NEXT) | instid1(VALU_DEP_1)
	v_lshrrev_b32_e32 v1, s6, v1
	v_mul_hi_u32 v4, s12, v1
	v_mul_lo_u32 v5, v1, s4
	s_clause 0x1
	s_load_b128 s[8:11], s[0:1], 0xdc
	s_load_b64 s[4:5], s[0:1], 0xec
	s_wait_xcnt 0x0
	s_add_nc_u64 s[0:1], s[0:1], 24
	s_delay_alu instid0(VALU_DEP_1) | instskip(NEXT) | instid1(VALU_DEP_1)
	v_dual_add_nc_u32 v4, v1, v4 :: v_dual_sub_nc_u32 v5, v0, v5
	v_lshrrev_b32_e32 v0, s13, v4
	s_wait_kmcnt 0x0
	s_delay_alu instid0(VALU_DEP_2) | instskip(NEXT) | instid1(VALU_DEP_2)
	v_mad_u32 v6, v5, s8, v43
	v_mul_lo_u32 v4, v0, s7
	v_mad_u32 v2, v5, s10, v2
	v_mad_u32 v3, v5, s9, v3
	s_delay_alu instid0(VALU_DEP_3) | instskip(NEXT) | instid1(VALU_DEP_1)
	v_sub_nc_u32_e32 v1, v1, v4
	v_mad_u32 v43, v1, s11, v6
	s_delay_alu instid0(VALU_DEP_4) | instskip(NEXT) | instid1(VALU_DEP_4)
	v_mad_u32 v2, v1, s5, v2
	v_mad_u32 v3, v1, s4, v3
	s_cbranch_scc0 .LBB23_24
; %bb.25:
	s_bitcmp1_b32 s70, 0
	s_cselect_b32 s2, -1, 0
	s_delay_alu instid0(SALU_CYCLE_1)
	s_and_b32 vcc_lo, exec_lo, s2
	s_cbranch_vccnz .LBB23_29
; %bb.26:
	s_clause 0x1
	s_load_b96 s[4:6], s[0:1], 0x1c
	s_load_b96 s[8:10], s[0:1], 0xdc
	s_wait_kmcnt 0x0
	v_mul_hi_u32 v1, s5, v0
	s_delay_alu instid0(VALU_DEP_1) | instskip(NEXT) | instid1(VALU_DEP_1)
	v_add_nc_u32_e32 v1, v0, v1
	v_lshrrev_b32_e32 v1, s6, v1
	s_delay_alu instid0(VALU_DEP_1) | instskip(NEXT) | instid1(VALU_DEP_1)
	v_mul_lo_u32 v1, v1, s4
	v_sub_nc_u32_e32 v0, v0, v1
	s_delay_alu instid0(VALU_DEP_1)
	v_mad_u32 v43, v0, s8, v43
	v_mad_u32 v3, v0, s9, v3
	;; [unrolled: 1-line block ×3, first 2 shown]
	s_branch .LBB23_29
.LBB23_27:
                                        ; implicit-def: $vgpr2
                                        ; implicit-def: $vgpr3
                                        ; implicit-def: $vgpr43
	s_branch .LBB23_30
.LBB23_28:
	v_dual_mov_b32 v2, 0 :: v_dual_mov_b32 v3, 0
	v_mov_b32_e32 v43, 0
.LBB23_29:
	s_cbranch_execnz .LBB23_32
.LBB23_30:
	v_mov_b32_e32 v45, 0
	s_and_not1_b32 vcc_lo, exec_lo, s69
	s_delay_alu instid0(VALU_DEP_1) | instskip(NEXT) | instid1(VALU_DEP_1)
	v_mul_u64_e32 v[0:1], s[60:61], v[44:45]
	v_add_nc_u32_e32 v0, v44, v1
	s_delay_alu instid0(VALU_DEP_1) | instskip(NEXT) | instid1(VALU_DEP_1)
	v_lshrrev_b32_e32 v0, s50, v0
	v_mul_lo_u32 v1, v0, s48
	s_delay_alu instid0(VALU_DEP_1) | instskip(NEXT) | instid1(VALU_DEP_1)
	v_sub_nc_u32_e32 v1, v44, v1
	v_mul_lo_u32 v43, v1, s52
	v_mul_lo_u32 v2, v1, s54
	;; [unrolled: 1-line block ×3, first 2 shown]
	s_cbranch_vccnz .LBB23_32
; %bb.31:
	v_mov_b32_e32 v1, v45
	s_delay_alu instid0(VALU_DEP_1) | instskip(NEXT) | instid1(VALU_DEP_1)
	v_mul_u64_e32 v[4:5], s[64:65], v[0:1]
	v_add_nc_u32_e32 v1, v0, v5
	s_delay_alu instid0(VALU_DEP_1) | instskip(NEXT) | instid1(VALU_DEP_1)
	v_lshrrev_b32_e32 v1, s47, v1
	v_mul_lo_u32 v1, v1, s51
	s_delay_alu instid0(VALU_DEP_1) | instskip(NEXT) | instid1(VALU_DEP_1)
	v_sub_nc_u32_e32 v0, v0, v1
	v_mad_u32 v43, v0, s55, v43
	v_mad_u32 v3, v0, s62, v3
	;; [unrolled: 1-line block ×3, first 2 shown]
.LBB23_32:
	s_wait_loadcnt 0x1
	global_load_b32 v40, v3, s[38:39]
	s_wait_loadcnt 0x1
	global_load_b32 v42, v2, s[56:57]
	s_and_not1_b32 vcc_lo, exec_lo, s46
	s_cbranch_vccnz .LBB23_34
; %bb.33:
	s_wait_loadcnt 0x0
	v_dual_mov_b32 v0, v40 :: v_dual_mov_b32 v1, v42
	s_get_pc_i64 s[0:1]
	s_add_nc_u64 s[0:1], s[0:1], _ZN12_GLOBAL__N_111calc_igammaIfEET_S1_S1_@rel64+4
	s_delay_alu instid0(SALU_CYCLE_1)
	s_swap_pc_i64 s[30:31], s[0:1]
	s_cbranch_execz .LBB23_35
	s_branch .LBB23_36
.LBB23_34:
                                        ; implicit-def: $vgpr0
.LBB23_35:
	s_wait_loadcnt 0x0
	v_dual_mov_b32 v0, v40 :: v_dual_mov_b32 v1, v42
	s_get_pc_i64 s[0:1]
	s_add_nc_u64 s[0:1], s[0:1], _ZN12_GLOBAL__N_112calc_igammacIfEET_S1_S1_@rel64+4
	s_delay_alu instid0(SALU_CYCLE_1)
	s_swap_pc_i64 s[30:31], s[0:1]
.LBB23_36:
	v_add_nc_u32_e32 v44, 0x80, v44
	global_store_b32 v43, v0, s[36:37]
	s_wait_xcnt 0x0
	s_or_b32 exec_lo, exec_lo, s49
	s_delay_alu instid0(SALU_CYCLE_1)
	s_mov_b32 s49, exec_lo
	v_cmpx_gt_i32_e64 s71, v44
	s_cbranch_execz .LBB23_4
.LBB23_37:
	s_and_not1_b32 vcc_lo, exec_lo, s67
	s_cbranch_vccnz .LBB23_43
; %bb.38:
	s_and_not1_b32 vcc_lo, exec_lo, s72
	s_cbranch_vccnz .LBB23_44
; %bb.39:
	v_dual_mov_b32 v43, 0 :: v_dual_mov_b32 v0, v44
	v_dual_mov_b32 v3, 0 :: v_dual_mov_b32 v2, 0
	s_add_co_i32 s2, s70, 1
	s_mov_b64 s[0:1], 0xffffffffffffffe8
	s_and_b32 s2, s2, 30
	s_add_nc_u64 s[0:1], s[34:35], s[0:1]
.LBB23_40:                              ; =>This Inner Loop Header: Depth=1
	s_clause 0x1
	s_load_b128 s[4:7], s[0:1], 0x1c
	s_load_b64 s[12:13], s[0:1], 0x2c
	s_add_co_i32 s2, s2, -2
	s_delay_alu instid0(SALU_CYCLE_1) | instskip(SKIP_2) | instid1(VALU_DEP_1)
	s_cmp_eq_u32 s2, 0
	s_wait_kmcnt 0x0
	v_mul_hi_u32 v1, s5, v0
	v_add_nc_u32_e32 v1, v0, v1
	s_delay_alu instid0(VALU_DEP_1) | instskip(NEXT) | instid1(VALU_DEP_1)
	v_lshrrev_b32_e32 v1, s6, v1
	v_mul_hi_u32 v4, s12, v1
	v_mul_lo_u32 v5, v1, s4
	s_clause 0x1
	s_load_b128 s[8:11], s[0:1], 0xdc
	s_load_b64 s[4:5], s[0:1], 0xec
	s_wait_xcnt 0x0
	s_add_nc_u64 s[0:1], s[0:1], 24
	s_delay_alu instid0(VALU_DEP_1) | instskip(NEXT) | instid1(VALU_DEP_1)
	v_dual_add_nc_u32 v4, v1, v4 :: v_dual_sub_nc_u32 v5, v0, v5
	v_lshrrev_b32_e32 v0, s13, v4
	s_wait_kmcnt 0x0
	s_delay_alu instid0(VALU_DEP_2) | instskip(NEXT) | instid1(VALU_DEP_2)
	v_mad_u32 v6, v5, s8, v43
	v_mul_lo_u32 v4, v0, s7
	v_mad_u32 v2, v5, s10, v2
	v_mad_u32 v3, v5, s9, v3
	s_delay_alu instid0(VALU_DEP_3) | instskip(NEXT) | instid1(VALU_DEP_1)
	v_sub_nc_u32_e32 v1, v1, v4
	v_mad_u32 v43, v1, s11, v6
	s_delay_alu instid0(VALU_DEP_4) | instskip(NEXT) | instid1(VALU_DEP_4)
	v_mad_u32 v2, v1, s5, v2
	v_mad_u32 v3, v1, s4, v3
	s_cbranch_scc0 .LBB23_40
; %bb.41:
	s_bitcmp1_b32 s70, 0
	s_cselect_b32 s2, -1, 0
	s_delay_alu instid0(SALU_CYCLE_1)
	s_and_b32 vcc_lo, exec_lo, s2
	s_cbranch_vccnz .LBB23_45
; %bb.42:
	s_clause 0x1
	s_load_b96 s[4:6], s[0:1], 0x1c
	s_load_b96 s[8:10], s[0:1], 0xdc
	s_wait_kmcnt 0x0
	v_mul_hi_u32 v1, s5, v0
	s_delay_alu instid0(VALU_DEP_1) | instskip(NEXT) | instid1(VALU_DEP_1)
	v_add_nc_u32_e32 v1, v0, v1
	v_lshrrev_b32_e32 v1, s6, v1
	s_delay_alu instid0(VALU_DEP_1) | instskip(NEXT) | instid1(VALU_DEP_1)
	v_mul_lo_u32 v1, v1, s4
	v_sub_nc_u32_e32 v0, v0, v1
	s_delay_alu instid0(VALU_DEP_1)
	v_mad_u32 v43, v0, s8, v43
	v_mad_u32 v3, v0, s9, v3
	;; [unrolled: 1-line block ×3, first 2 shown]
	s_branch .LBB23_45
.LBB23_43:
                                        ; implicit-def: $vgpr2
                                        ; implicit-def: $vgpr3
                                        ; implicit-def: $vgpr43
	s_branch .LBB23_46
.LBB23_44:
	v_dual_mov_b32 v2, 0 :: v_dual_mov_b32 v3, 0
	v_mov_b32_e32 v43, 0
.LBB23_45:
	s_cbranch_execnz .LBB23_48
.LBB23_46:
	v_mov_b32_e32 v45, 0
	s_and_not1_b32 vcc_lo, exec_lo, s69
	s_delay_alu instid0(VALU_DEP_1) | instskip(NEXT) | instid1(VALU_DEP_1)
	v_mul_u64_e32 v[0:1], s[60:61], v[44:45]
	v_add_nc_u32_e32 v0, v44, v1
	s_delay_alu instid0(VALU_DEP_1) | instskip(NEXT) | instid1(VALU_DEP_1)
	v_lshrrev_b32_e32 v0, s50, v0
	v_mul_lo_u32 v1, v0, s48
	s_delay_alu instid0(VALU_DEP_1) | instskip(NEXT) | instid1(VALU_DEP_1)
	v_sub_nc_u32_e32 v1, v44, v1
	v_mul_lo_u32 v43, v1, s52
	v_mul_lo_u32 v2, v1, s54
	;; [unrolled: 1-line block ×3, first 2 shown]
	s_cbranch_vccnz .LBB23_48
; %bb.47:
	v_mov_b32_e32 v1, v45
	s_delay_alu instid0(VALU_DEP_1) | instskip(NEXT) | instid1(VALU_DEP_1)
	v_mul_u64_e32 v[4:5], s[64:65], v[0:1]
	v_add_nc_u32_e32 v1, v0, v5
	s_delay_alu instid0(VALU_DEP_1) | instskip(NEXT) | instid1(VALU_DEP_1)
	v_lshrrev_b32_e32 v1, s47, v1
	v_mul_lo_u32 v1, v1, s51
	s_delay_alu instid0(VALU_DEP_1) | instskip(NEXT) | instid1(VALU_DEP_1)
	v_sub_nc_u32_e32 v0, v0, v1
	v_mad_u32 v43, v0, s55, v43
	v_mad_u32 v3, v0, s62, v3
	;; [unrolled: 1-line block ×3, first 2 shown]
.LBB23_48:
	s_wait_loadcnt 0x1
	global_load_b32 v40, v3, s[38:39]
	s_wait_loadcnt 0x1
	global_load_b32 v42, v2, s[56:57]
	s_and_not1_b32 vcc_lo, exec_lo, s46
	s_cbranch_vccnz .LBB23_50
; %bb.49:
	s_wait_loadcnt 0x0
	v_dual_mov_b32 v0, v40 :: v_dual_mov_b32 v1, v42
	s_get_pc_i64 s[0:1]
	s_add_nc_u64 s[0:1], s[0:1], _ZN12_GLOBAL__N_111calc_igammaIfEET_S1_S1_@rel64+4
	s_delay_alu instid0(SALU_CYCLE_1)
	s_swap_pc_i64 s[30:31], s[0:1]
	s_cbranch_execz .LBB23_51
	s_branch .LBB23_52
.LBB23_50:
                                        ; implicit-def: $vgpr0
.LBB23_51:
	s_wait_loadcnt 0x0
	v_dual_mov_b32 v0, v40 :: v_dual_mov_b32 v1, v42
	s_get_pc_i64 s[0:1]
	s_add_nc_u64 s[0:1], s[0:1], _ZN12_GLOBAL__N_112calc_igammacIfEET_S1_S1_@rel64+4
	s_delay_alu instid0(SALU_CYCLE_1)
	s_swap_pc_i64 s[30:31], s[0:1]
.LBB23_52:
	v_add_nc_u32_e32 v44, 0x80, v44
	global_store_b32 v43, v0, s[36:37]
	s_wait_xcnt 0x0
	s_or_b32 exec_lo, exec_lo, s49
	s_delay_alu instid0(SALU_CYCLE_1)
	s_mov_b32 s49, exec_lo
	v_cmpx_gt_i32_e64 s71, v44
	s_cbranch_execz .LBB23_69
.LBB23_53:
	s_and_not1_b32 vcc_lo, exec_lo, s67
	s_cbranch_vccnz .LBB23_59
; %bb.54:
	s_and_not1_b32 vcc_lo, exec_lo, s72
	s_cbranch_vccnz .LBB23_60
; %bb.55:
	v_dual_mov_b32 v43, 0 :: v_dual_mov_b32 v0, v44
	v_dual_mov_b32 v3, 0 :: v_dual_mov_b32 v2, 0
	s_add_co_i32 s2, s70, 1
	s_mov_b64 s[0:1], 0xffffffffffffffe8
	s_and_b32 s2, s2, 30
	s_add_nc_u64 s[0:1], s[34:35], s[0:1]
.LBB23_56:                              ; =>This Inner Loop Header: Depth=1
	s_clause 0x1
	s_load_b128 s[4:7], s[0:1], 0x1c
	s_load_b64 s[12:13], s[0:1], 0x2c
	s_add_co_i32 s2, s2, -2
	s_delay_alu instid0(SALU_CYCLE_1) | instskip(SKIP_2) | instid1(VALU_DEP_1)
	s_cmp_eq_u32 s2, 0
	s_wait_kmcnt 0x0
	v_mul_hi_u32 v1, s5, v0
	v_add_nc_u32_e32 v1, v0, v1
	s_delay_alu instid0(VALU_DEP_1) | instskip(NEXT) | instid1(VALU_DEP_1)
	v_lshrrev_b32_e32 v1, s6, v1
	v_mul_hi_u32 v4, s12, v1
	v_mul_lo_u32 v5, v1, s4
	s_clause 0x1
	s_load_b128 s[8:11], s[0:1], 0xdc
	s_load_b64 s[4:5], s[0:1], 0xec
	s_wait_xcnt 0x0
	s_add_nc_u64 s[0:1], s[0:1], 24
	s_delay_alu instid0(VALU_DEP_1) | instskip(NEXT) | instid1(VALU_DEP_1)
	v_dual_add_nc_u32 v4, v1, v4 :: v_dual_sub_nc_u32 v5, v0, v5
	v_lshrrev_b32_e32 v0, s13, v4
	s_wait_kmcnt 0x0
	s_delay_alu instid0(VALU_DEP_2) | instskip(NEXT) | instid1(VALU_DEP_2)
	v_mad_u32 v6, v5, s8, v43
	v_mul_lo_u32 v4, v0, s7
	v_mad_u32 v2, v5, s10, v2
	v_mad_u32 v3, v5, s9, v3
	s_delay_alu instid0(VALU_DEP_3) | instskip(NEXT) | instid1(VALU_DEP_1)
	v_sub_nc_u32_e32 v1, v1, v4
	v_mad_u32 v43, v1, s11, v6
	s_delay_alu instid0(VALU_DEP_4) | instskip(NEXT) | instid1(VALU_DEP_4)
	v_mad_u32 v2, v1, s5, v2
	v_mad_u32 v3, v1, s4, v3
	s_cbranch_scc0 .LBB23_56
; %bb.57:
	s_bitcmp1_b32 s70, 0
	s_cselect_b32 s2, -1, 0
	s_delay_alu instid0(SALU_CYCLE_1)
	s_and_b32 vcc_lo, exec_lo, s2
	s_cbranch_vccnz .LBB23_61
; %bb.58:
	s_clause 0x1
	s_load_b96 s[4:6], s[0:1], 0x1c
	s_load_b96 s[8:10], s[0:1], 0xdc
	s_wait_kmcnt 0x0
	v_mul_hi_u32 v1, s5, v0
	s_delay_alu instid0(VALU_DEP_1) | instskip(NEXT) | instid1(VALU_DEP_1)
	v_add_nc_u32_e32 v1, v0, v1
	v_lshrrev_b32_e32 v1, s6, v1
	s_delay_alu instid0(VALU_DEP_1) | instskip(NEXT) | instid1(VALU_DEP_1)
	v_mul_lo_u32 v1, v1, s4
	v_sub_nc_u32_e32 v0, v0, v1
	s_delay_alu instid0(VALU_DEP_1)
	v_mad_u32 v43, v0, s8, v43
	v_mad_u32 v3, v0, s9, v3
	;; [unrolled: 1-line block ×3, first 2 shown]
	s_branch .LBB23_61
.LBB23_59:
                                        ; implicit-def: $vgpr2
                                        ; implicit-def: $vgpr3
                                        ; implicit-def: $vgpr43
	s_branch .LBB23_62
.LBB23_60:
	v_dual_mov_b32 v2, 0 :: v_dual_mov_b32 v3, 0
	v_mov_b32_e32 v43, 0
.LBB23_61:
	s_cbranch_execnz .LBB23_64
.LBB23_62:
	v_mov_b32_e32 v45, 0
	s_and_not1_b32 vcc_lo, exec_lo, s69
	s_delay_alu instid0(VALU_DEP_1) | instskip(NEXT) | instid1(VALU_DEP_1)
	v_mul_u64_e32 v[0:1], s[60:61], v[44:45]
	v_add_nc_u32_e32 v0, v44, v1
	s_delay_alu instid0(VALU_DEP_1) | instskip(NEXT) | instid1(VALU_DEP_1)
	v_lshrrev_b32_e32 v0, s50, v0
	v_mul_lo_u32 v1, v0, s48
	s_delay_alu instid0(VALU_DEP_1) | instskip(NEXT) | instid1(VALU_DEP_1)
	v_sub_nc_u32_e32 v1, v44, v1
	v_mul_lo_u32 v43, v1, s52
	v_mul_lo_u32 v2, v1, s54
	;; [unrolled: 1-line block ×3, first 2 shown]
	s_cbranch_vccnz .LBB23_64
; %bb.63:
	v_mov_b32_e32 v1, v45
	s_delay_alu instid0(VALU_DEP_1) | instskip(NEXT) | instid1(VALU_DEP_1)
	v_mul_u64_e32 v[4:5], s[64:65], v[0:1]
	v_add_nc_u32_e32 v1, v0, v5
	s_delay_alu instid0(VALU_DEP_1) | instskip(NEXT) | instid1(VALU_DEP_1)
	v_lshrrev_b32_e32 v1, s47, v1
	v_mul_lo_u32 v1, v1, s51
	s_delay_alu instid0(VALU_DEP_1) | instskip(NEXT) | instid1(VALU_DEP_1)
	v_sub_nc_u32_e32 v0, v0, v1
	v_mad_u32 v43, v0, s55, v43
	v_mad_u32 v3, v0, s62, v3
	;; [unrolled: 1-line block ×3, first 2 shown]
.LBB23_64:
	s_wait_loadcnt 0x1
	global_load_b32 v40, v3, s[38:39]
	s_wait_loadcnt 0x1
	global_load_b32 v42, v2, s[56:57]
	s_and_not1_b32 vcc_lo, exec_lo, s46
	s_cbranch_vccnz .LBB23_66
; %bb.65:
	s_wait_loadcnt 0x0
	v_dual_mov_b32 v0, v40 :: v_dual_mov_b32 v1, v42
	s_get_pc_i64 s[0:1]
	s_add_nc_u64 s[0:1], s[0:1], _ZN12_GLOBAL__N_111calc_igammaIfEET_S1_S1_@rel64+4
	s_delay_alu instid0(SALU_CYCLE_1)
	s_swap_pc_i64 s[30:31], s[0:1]
	s_cbranch_execz .LBB23_67
	s_branch .LBB23_68
.LBB23_66:
                                        ; implicit-def: $vgpr0
.LBB23_67:
	s_wait_loadcnt 0x0
	v_dual_mov_b32 v0, v40 :: v_dual_mov_b32 v1, v42
	s_get_pc_i64 s[0:1]
	s_add_nc_u64 s[0:1], s[0:1], _ZN12_GLOBAL__N_112calc_igammacIfEET_S1_S1_@rel64+4
	s_delay_alu instid0(SALU_CYCLE_1)
	s_swap_pc_i64 s[30:31], s[0:1]
.LBB23_68:
	global_store_b32 v43, v0, s[36:37]
.LBB23_69:
	s_wait_xcnt 0x0
	s_or_b32 exec_lo, exec_lo, s49
                                        ; implicit-def: $vgpr0
                                        ; implicit-def: $vgpr44
.LBB23_70:
	s_and_not1_saveexec_b32 s0, s68
	s_cbranch_execz .LBB23_77
; %bb.71:
	v_cndmask_b32_e64 v3, 0, 1, s67
	s_and_not1_b32 vcc_lo, exec_lo, s67
	s_cbranch_vccnz .LBB23_78
; %bb.72:
	s_cmp_lg_u32 s59, 0
	s_mov_b32 s2, 0
	s_cbranch_scc0 .LBB23_82
; %bb.73:
	s_min_u32 s3, s66, 15
	v_dual_mov_b32 v46, 0 :: v_dual_mov_b32 v4, v44
	v_dual_mov_b32 v2, 0 :: v_dual_mov_b32 v1, 0
	s_add_co_i32 s4, s3, 1
	s_mov_b64 s[0:1], 0xffffffffffffffe8
	s_and_b32 s4, s4, 30
	s_add_nc_u64 s[0:1], s[34:35], s[0:1]
.LBB23_74:                              ; =>This Inner Loop Header: Depth=1
	s_clause 0x1
	s_load_b128 s[8:11], s[0:1], 0x1c
	s_load_b64 s[6:7], s[0:1], 0x2c
	s_add_co_i32 s4, s4, -2
	s_delay_alu instid0(SALU_CYCLE_1) | instskip(SKIP_2) | instid1(VALU_DEP_1)
	s_cmp_lg_u32 s4, 0
	s_wait_kmcnt 0x0
	v_mul_hi_u32 v5, s9, v4
	v_add_nc_u32_e32 v5, v4, v5
	s_delay_alu instid0(VALU_DEP_1) | instskip(NEXT) | instid1(VALU_DEP_1)
	v_lshrrev_b32_e32 v5, s10, v5
	v_mul_hi_u32 v6, s6, v5
	v_mul_lo_u32 v7, v5, s8
	s_clause 0x1
	s_load_b128 s[12:15], s[0:1], 0xdc
	s_load_b64 s[8:9], s[0:1], 0xec
	s_wait_xcnt 0x0
	s_add_nc_u64 s[0:1], s[0:1], 24
	s_delay_alu instid0(VALU_DEP_1) | instskip(NEXT) | instid1(VALU_DEP_1)
	v_dual_add_nc_u32 v6, v5, v6 :: v_dual_sub_nc_u32 v7, v4, v7
	v_lshrrev_b32_e32 v4, s7, v6
	s_wait_kmcnt 0x0
	s_delay_alu instid0(VALU_DEP_2) | instskip(NEXT) | instid1(VALU_DEP_2)
	v_mad_u32 v8, v7, s12, v46
	v_mul_lo_u32 v6, v4, s11
	v_mad_u32 v1, v7, s14, v1
	v_mad_u32 v2, v7, s13, v2
	s_delay_alu instid0(VALU_DEP_3) | instskip(NEXT) | instid1(VALU_DEP_1)
	v_sub_nc_u32_e32 v5, v5, v6
	v_mad_u32 v46, v5, s15, v8
	s_delay_alu instid0(VALU_DEP_4) | instskip(NEXT) | instid1(VALU_DEP_4)
	v_mad_u32 v1, v5, s9, v1
	v_mad_u32 v2, v5, s8, v2
	s_cbranch_scc1 .LBB23_74
; %bb.75:
	s_bitcmp1_b32 s3, 0
	s_cselect_b32 s3, -1, 0
	s_delay_alu instid0(SALU_CYCLE_1)
	s_and_b32 vcc_lo, exec_lo, s3
	s_cbranch_vccnz .LBB23_79
; %bb.76:
	s_clause 0x1
	s_load_b96 s[4:6], s[0:1], 0x1c
	s_load_b96 s[8:10], s[0:1], 0xdc
	s_wait_kmcnt 0x0
	v_mul_hi_u32 v5, s5, v4
	s_delay_alu instid0(VALU_DEP_1) | instskip(NEXT) | instid1(VALU_DEP_1)
	v_add_nc_u32_e32 v5, v4, v5
	v_lshrrev_b32_e32 v5, s6, v5
	s_delay_alu instid0(VALU_DEP_1) | instskip(NEXT) | instid1(VALU_DEP_1)
	v_mul_lo_u32 v5, v5, s4
	v_sub_nc_u32_e32 v4, v4, v5
	s_delay_alu instid0(VALU_DEP_1)
	v_mad_u32 v46, v4, s8, v46
	v_mad_u32 v2, v4, s9, v2
	v_mad_u32 v1, v4, s10, v1
	s_and_not1_b32 vcc_lo, exec_lo, s2
	s_cbranch_vccz .LBB23_80
	s_branch .LBB23_83
.LBB23_77:
	s_endpgm
.LBB23_78:
	s_mov_b32 s2, -1
                                        ; implicit-def: $vgpr1
                                        ; implicit-def: $vgpr2
                                        ; implicit-def: $vgpr46
.LBB23_79:
	s_delay_alu instid0(SALU_CYCLE_1)
	s_and_not1_b32 vcc_lo, exec_lo, s2
	s_cbranch_vccnz .LBB23_83
.LBB23_80:
	s_clause 0x1
	s_load_b96 s[0:2], s[34:35], 0x4
	s_load_b96 s[4:6], s[34:35], 0xc4
	s_cmp_lt_u32 s59, 2
	s_wait_kmcnt 0x0
	v_mul_hi_u32 v1, s1, v44
	s_delay_alu instid0(VALU_DEP_1) | instskip(NEXT) | instid1(VALU_DEP_1)
	v_add_nc_u32_e32 v1, v44, v1
	v_lshrrev_b32_e32 v4, s2, v1
	s_delay_alu instid0(VALU_DEP_1) | instskip(NEXT) | instid1(VALU_DEP_1)
	v_mul_lo_u32 v1, v4, s0
	v_sub_nc_u32_e32 v2, v44, v1
	s_delay_alu instid0(VALU_DEP_1)
	v_mul_lo_u32 v46, v2, s4
	v_mul_lo_u32 v1, v2, s6
	v_mul_lo_u32 v2, v2, s5
	s_cbranch_scc1 .LBB23_83
; %bb.81:
	s_clause 0x1
	s_load_b96 s[0:2], s[34:35], 0x10
	s_load_b96 s[4:6], s[34:35], 0xd0
	s_wait_kmcnt 0x0
	v_mul_hi_u32 v5, s1, v4
	s_delay_alu instid0(VALU_DEP_1) | instskip(NEXT) | instid1(VALU_DEP_1)
	v_add_nc_u32_e32 v5, v4, v5
	v_lshrrev_b32_e32 v5, s2, v5
	s_delay_alu instid0(VALU_DEP_1) | instskip(NEXT) | instid1(VALU_DEP_1)
	v_mul_lo_u32 v5, v5, s0
	v_sub_nc_u32_e32 v4, v4, v5
	s_delay_alu instid0(VALU_DEP_1)
	v_mad_u32 v46, v4, s4, v46
	v_mad_u32 v2, v4, s5, v2
	;; [unrolled: 1-line block ×3, first 2 shown]
	s_branch .LBB23_83
.LBB23_82:
	v_dual_mov_b32 v1, 0 :: v_dual_mov_b32 v2, 0
	v_mov_b32_e32 v46, 0
	s_and_not1_b32 vcc_lo, exec_lo, s2
	s_cbranch_vccz .LBB23_80
.LBB23_83:
	v_cmp_ne_u32_e32 vcc_lo, 1, v3
	v_add_nc_u32_e32 v4, 0x80, v44
	s_cbranch_vccnz .LBB23_89
; %bb.84:
	s_cmp_lg_u32 s59, 0
	s_mov_b32 s2, 0
	s_cbranch_scc0 .LBB23_93
; %bb.85:
	s_min_u32 s3, s66, 15
	v_dual_mov_b32 v47, 0 :: v_dual_mov_b32 v5, v4
	v_dual_mov_b32 v56, 0 :: v_dual_mov_b32 v45, 0
	s_add_co_i32 s4, s3, 1
	s_mov_b64 s[0:1], 0xffffffffffffffe8
	s_and_b32 s4, s4, 30
	s_add_nc_u64 s[0:1], s[34:35], s[0:1]
.LBB23_86:                              ; =>This Inner Loop Header: Depth=1
	s_clause 0x1
	s_load_b128 s[8:11], s[0:1], 0x1c
	s_load_b64 s[6:7], s[0:1], 0x2c
	s_add_co_i32 s4, s4, -2
	s_delay_alu instid0(SALU_CYCLE_1) | instskip(SKIP_2) | instid1(VALU_DEP_1)
	s_cmp_lg_u32 s4, 0
	s_wait_kmcnt 0x0
	v_mul_hi_u32 v6, s9, v5
	v_add_nc_u32_e32 v6, v5, v6
	s_delay_alu instid0(VALU_DEP_1) | instskip(NEXT) | instid1(VALU_DEP_1)
	v_lshrrev_b32_e32 v6, s10, v6
	v_mul_hi_u32 v7, s6, v6
	v_mul_lo_u32 v8, v6, s8
	s_clause 0x1
	s_load_b128 s[12:15], s[0:1], 0xdc
	s_load_b64 s[8:9], s[0:1], 0xec
	s_wait_xcnt 0x0
	s_add_nc_u64 s[0:1], s[0:1], 24
	s_delay_alu instid0(VALU_DEP_1) | instskip(NEXT) | instid1(VALU_DEP_1)
	v_dual_add_nc_u32 v7, v6, v7 :: v_dual_sub_nc_u32 v8, v5, v8
	v_lshrrev_b32_e32 v5, s7, v7
	s_wait_kmcnt 0x0
	s_delay_alu instid0(VALU_DEP_2) | instskip(NEXT) | instid1(VALU_DEP_2)
	v_mad_u32 v9, v8, s12, v47
	v_mul_lo_u32 v7, v5, s11
	v_mad_u32 v10, v8, s14, v45
	v_mad_u32 v8, v8, s13, v56
	s_delay_alu instid0(VALU_DEP_3) | instskip(NEXT) | instid1(VALU_DEP_1)
	v_sub_nc_u32_e32 v6, v6, v7
	v_mad_u32 v47, v6, s15, v9
	s_delay_alu instid0(VALU_DEP_4) | instskip(NEXT) | instid1(VALU_DEP_4)
	v_mad_u32 v45, v6, s9, v10
	v_mad_u32 v56, v6, s8, v8
	s_cbranch_scc1 .LBB23_86
; %bb.87:
	s_bitcmp1_b32 s3, 0
	s_cselect_b32 s3, -1, 0
	s_delay_alu instid0(SALU_CYCLE_1)
	s_and_b32 vcc_lo, exec_lo, s3
	s_cbranch_vccnz .LBB23_90
; %bb.88:
	s_clause 0x1
	s_load_b96 s[4:6], s[0:1], 0x1c
	s_load_b96 s[8:10], s[0:1], 0xdc
	s_wait_kmcnt 0x0
	v_mul_hi_u32 v6, s5, v5
	s_delay_alu instid0(VALU_DEP_1) | instskip(NEXT) | instid1(VALU_DEP_1)
	v_add_nc_u32_e32 v6, v5, v6
	v_lshrrev_b32_e32 v6, s6, v6
	s_delay_alu instid0(VALU_DEP_1) | instskip(NEXT) | instid1(VALU_DEP_1)
	v_mul_lo_u32 v6, v6, s4
	v_sub_nc_u32_e32 v5, v5, v6
	s_delay_alu instid0(VALU_DEP_1)
	v_mad_u32 v47, v5, s8, v47
	v_mad_u32 v56, v5, s9, v56
	v_mad_u32 v45, v5, s10, v45
	s_and_not1_b32 vcc_lo, exec_lo, s2
	s_cbranch_vccz .LBB23_91
	s_branch .LBB23_94
.LBB23_89:
	s_mov_b32 s2, -1
                                        ; implicit-def: $vgpr45
                                        ; implicit-def: $vgpr56
                                        ; implicit-def: $vgpr47
.LBB23_90:
	s_delay_alu instid0(SALU_CYCLE_1)
	s_and_not1_b32 vcc_lo, exec_lo, s2
	s_cbranch_vccnz .LBB23_94
.LBB23_91:
	s_clause 0x1
	s_load_b96 s[0:2], s[34:35], 0x4
	s_load_b96 s[4:6], s[34:35], 0xc4
	s_cmp_lt_u32 s59, 2
	s_wait_kmcnt 0x0
	v_mul_hi_u32 v5, s1, v4
	s_delay_alu instid0(VALU_DEP_1) | instskip(NEXT) | instid1(VALU_DEP_1)
	v_add_nc_u32_e32 v5, v4, v5
	v_lshrrev_b32_e32 v5, s2, v5
	s_delay_alu instid0(VALU_DEP_1) | instskip(NEXT) | instid1(VALU_DEP_1)
	v_mul_lo_u32 v6, v5, s0
	v_sub_nc_u32_e32 v4, v4, v6
	s_delay_alu instid0(VALU_DEP_1)
	v_mul_lo_u32 v47, v4, s4
	v_mul_lo_u32 v45, v4, s6
	;; [unrolled: 1-line block ×3, first 2 shown]
	s_cbranch_scc1 .LBB23_94
; %bb.92:
	s_clause 0x1
	s_load_b96 s[0:2], s[34:35], 0x10
	s_load_b96 s[4:6], s[34:35], 0xd0
	s_wait_kmcnt 0x0
	v_mul_hi_u32 v4, s1, v5
	s_delay_alu instid0(VALU_DEP_1) | instskip(NEXT) | instid1(VALU_DEP_1)
	v_add_nc_u32_e32 v4, v5, v4
	v_lshrrev_b32_e32 v4, s2, v4
	s_delay_alu instid0(VALU_DEP_1) | instskip(NEXT) | instid1(VALU_DEP_1)
	v_mul_lo_u32 v4, v4, s0
	v_sub_nc_u32_e32 v4, v5, v4
	s_delay_alu instid0(VALU_DEP_1)
	v_mad_u32 v47, v4, s4, v47
	v_mad_u32 v56, v4, s5, v56
	;; [unrolled: 1-line block ×3, first 2 shown]
	s_branch .LBB23_94
.LBB23_93:
	v_dual_mov_b32 v45, 0 :: v_dual_mov_b32 v56, 0
	v_mov_b32_e32 v47, 0
	s_and_not1_b32 vcc_lo, exec_lo, s2
	s_cbranch_vccz .LBB23_91
.LBB23_94:
	v_cmp_ne_u32_e32 vcc_lo, 1, v3
	v_add_nc_u32_e32 v4, 0x100, v44
	s_cbranch_vccnz .LBB23_100
; %bb.95:
	s_cmp_lg_u32 s59, 0
	s_mov_b32 s2, 0
	s_cbranch_scc0 .LBB23_104
; %bb.96:
	s_min_u32 s3, s66, 15
	v_dual_mov_b32 v57, 0 :: v_dual_mov_b32 v5, v4
	v_dual_mov_b32 v59, 0 :: v_dual_mov_b32 v58, 0
	s_add_co_i32 s4, s3, 1
	s_mov_b64 s[0:1], 0xffffffffffffffe8
	s_and_b32 s4, s4, 30
	s_add_nc_u64 s[0:1], s[34:35], s[0:1]
.LBB23_97:                              ; =>This Inner Loop Header: Depth=1
	s_clause 0x1
	s_load_b128 s[8:11], s[0:1], 0x1c
	s_load_b64 s[6:7], s[0:1], 0x2c
	s_add_co_i32 s4, s4, -2
	s_delay_alu instid0(SALU_CYCLE_1) | instskip(SKIP_2) | instid1(VALU_DEP_1)
	s_cmp_lg_u32 s4, 0
	s_wait_kmcnt 0x0
	v_mul_hi_u32 v6, s9, v5
	v_add_nc_u32_e32 v6, v5, v6
	s_delay_alu instid0(VALU_DEP_1) | instskip(NEXT) | instid1(VALU_DEP_1)
	v_lshrrev_b32_e32 v6, s10, v6
	v_mul_hi_u32 v7, s6, v6
	v_mul_lo_u32 v8, v6, s8
	s_clause 0x1
	s_load_b128 s[12:15], s[0:1], 0xdc
	s_load_b64 s[8:9], s[0:1], 0xec
	s_wait_xcnt 0x0
	s_add_nc_u64 s[0:1], s[0:1], 24
	s_delay_alu instid0(VALU_DEP_1) | instskip(NEXT) | instid1(VALU_DEP_1)
	v_dual_add_nc_u32 v7, v6, v7 :: v_dual_sub_nc_u32 v8, v5, v8
	v_lshrrev_b32_e32 v5, s7, v7
	s_wait_kmcnt 0x0
	s_delay_alu instid0(VALU_DEP_2) | instskip(NEXT) | instid1(VALU_DEP_2)
	v_mad_u32 v9, v8, s12, v57
	v_mul_lo_u32 v7, v5, s11
	v_mad_u32 v10, v8, s14, v58
	v_mad_u32 v8, v8, s13, v59
	s_delay_alu instid0(VALU_DEP_3) | instskip(NEXT) | instid1(VALU_DEP_1)
	v_sub_nc_u32_e32 v6, v6, v7
	v_mad_u32 v57, v6, s15, v9
	s_delay_alu instid0(VALU_DEP_4) | instskip(NEXT) | instid1(VALU_DEP_4)
	v_mad_u32 v58, v6, s9, v10
	v_mad_u32 v59, v6, s8, v8
	s_cbranch_scc1 .LBB23_97
; %bb.98:
	s_bitcmp1_b32 s3, 0
	s_cselect_b32 s3, -1, 0
	s_delay_alu instid0(SALU_CYCLE_1)
	s_and_b32 vcc_lo, exec_lo, s3
	s_cbranch_vccnz .LBB23_101
; %bb.99:
	s_clause 0x1
	s_load_b96 s[4:6], s[0:1], 0x1c
	s_load_b96 s[8:10], s[0:1], 0xdc
	s_wait_kmcnt 0x0
	v_mul_hi_u32 v6, s5, v5
	s_delay_alu instid0(VALU_DEP_1) | instskip(NEXT) | instid1(VALU_DEP_1)
	v_add_nc_u32_e32 v6, v5, v6
	v_lshrrev_b32_e32 v6, s6, v6
	s_delay_alu instid0(VALU_DEP_1) | instskip(NEXT) | instid1(VALU_DEP_1)
	v_mul_lo_u32 v6, v6, s4
	v_sub_nc_u32_e32 v5, v5, v6
	s_delay_alu instid0(VALU_DEP_1)
	v_mad_u32 v57, v5, s8, v57
	v_mad_u32 v59, v5, s9, v59
	;; [unrolled: 1-line block ×3, first 2 shown]
	s_and_not1_b32 vcc_lo, exec_lo, s2
	s_cbranch_vccz .LBB23_102
	s_branch .LBB23_105
.LBB23_100:
	s_mov_b32 s2, -1
                                        ; implicit-def: $vgpr58
                                        ; implicit-def: $vgpr59
                                        ; implicit-def: $vgpr57
.LBB23_101:
	s_delay_alu instid0(SALU_CYCLE_1)
	s_and_not1_b32 vcc_lo, exec_lo, s2
	s_cbranch_vccnz .LBB23_105
.LBB23_102:
	s_clause 0x1
	s_load_b96 s[0:2], s[34:35], 0x4
	s_load_b96 s[4:6], s[34:35], 0xc4
	s_cmp_lt_u32 s59, 2
	s_wait_kmcnt 0x0
	v_mul_hi_u32 v5, s1, v4
	s_delay_alu instid0(VALU_DEP_1) | instskip(NEXT) | instid1(VALU_DEP_1)
	v_add_nc_u32_e32 v5, v4, v5
	v_lshrrev_b32_e32 v5, s2, v5
	s_delay_alu instid0(VALU_DEP_1) | instskip(NEXT) | instid1(VALU_DEP_1)
	v_mul_lo_u32 v6, v5, s0
	v_sub_nc_u32_e32 v4, v4, v6
	s_delay_alu instid0(VALU_DEP_1)
	v_mul_lo_u32 v57, v4, s4
	v_mul_lo_u32 v58, v4, s6
	;; [unrolled: 1-line block ×3, first 2 shown]
	s_cbranch_scc1 .LBB23_105
; %bb.103:
	s_clause 0x1
	s_load_b96 s[0:2], s[34:35], 0x10
	s_load_b96 s[4:6], s[34:35], 0xd0
	s_wait_kmcnt 0x0
	v_mul_hi_u32 v4, s1, v5
	s_delay_alu instid0(VALU_DEP_1) | instskip(NEXT) | instid1(VALU_DEP_1)
	v_add_nc_u32_e32 v4, v5, v4
	v_lshrrev_b32_e32 v4, s2, v4
	s_delay_alu instid0(VALU_DEP_1) | instskip(NEXT) | instid1(VALU_DEP_1)
	v_mul_lo_u32 v4, v4, s0
	v_sub_nc_u32_e32 v4, v5, v4
	s_delay_alu instid0(VALU_DEP_1)
	v_mad_u32 v57, v4, s4, v57
	v_mad_u32 v59, v4, s5, v59
	;; [unrolled: 1-line block ×3, first 2 shown]
	s_branch .LBB23_105
.LBB23_104:
	v_dual_mov_b32 v58, 0 :: v_dual_mov_b32 v59, 0
	v_mov_b32_e32 v57, 0
	s_and_not1_b32 vcc_lo, exec_lo, s2
	s_cbranch_vccz .LBB23_102
.LBB23_105:
	v_cmp_ne_u32_e32 vcc_lo, 1, v3
	s_cbranch_vccnz .LBB23_111
; %bb.106:
	s_cmp_lg_u32 s59, 0
	s_mov_b32 s2, 0
	s_cbranch_scc0 .LBB23_115
; %bb.107:
	s_min_u32 s3, s66, 15
	v_dual_mov_b32 v60, 0 :: v_dual_mov_b32 v3, v0
	v_dual_mov_b32 v62, 0 :: v_dual_mov_b32 v61, 0
	s_add_co_i32 s4, s3, 1
	s_mov_b64 s[0:1], 0xffffffffffffffe8
	s_and_b32 s4, s4, 30
	s_add_nc_u64 s[0:1], s[34:35], s[0:1]
.LBB23_108:                             ; =>This Inner Loop Header: Depth=1
	s_clause 0x1
	s_load_b128 s[8:11], s[0:1], 0x1c
	s_load_b64 s[6:7], s[0:1], 0x2c
	s_add_co_i32 s4, s4, -2
	s_delay_alu instid0(SALU_CYCLE_1) | instskip(SKIP_2) | instid1(VALU_DEP_1)
	s_cmp_lg_u32 s4, 0
	s_wait_kmcnt 0x0
	v_mul_hi_u32 v4, s9, v3
	v_add_nc_u32_e32 v4, v3, v4
	s_delay_alu instid0(VALU_DEP_1) | instskip(NEXT) | instid1(VALU_DEP_1)
	v_lshrrev_b32_e32 v4, s10, v4
	v_mul_hi_u32 v5, s6, v4
	v_mul_lo_u32 v6, v4, s8
	s_clause 0x1
	s_load_b128 s[12:15], s[0:1], 0xdc
	s_load_b64 s[8:9], s[0:1], 0xec
	s_wait_xcnt 0x0
	s_add_nc_u64 s[0:1], s[0:1], 24
	s_delay_alu instid0(VALU_DEP_1) | instskip(NEXT) | instid1(VALU_DEP_1)
	v_dual_add_nc_u32 v5, v4, v5 :: v_dual_sub_nc_u32 v6, v3, v6
	v_lshrrev_b32_e32 v3, s7, v5
	s_wait_kmcnt 0x0
	s_delay_alu instid0(VALU_DEP_2) | instskip(NEXT) | instid1(VALU_DEP_2)
	v_mad_u32 v7, v6, s12, v60
	v_mul_lo_u32 v5, v3, s11
	v_mad_u32 v8, v6, s14, v61
	v_mad_u32 v6, v6, s13, v62
	s_delay_alu instid0(VALU_DEP_3) | instskip(NEXT) | instid1(VALU_DEP_1)
	v_sub_nc_u32_e32 v4, v4, v5
	v_mad_u32 v60, v4, s15, v7
	s_delay_alu instid0(VALU_DEP_4) | instskip(NEXT) | instid1(VALU_DEP_4)
	v_mad_u32 v61, v4, s9, v8
	v_mad_u32 v62, v4, s8, v6
	s_cbranch_scc1 .LBB23_108
; %bb.109:
	s_bitcmp1_b32 s3, 0
	s_cselect_b32 s3, -1, 0
	s_delay_alu instid0(SALU_CYCLE_1)
	s_and_b32 vcc_lo, exec_lo, s3
	s_cbranch_vccnz .LBB23_112
; %bb.110:
	s_clause 0x1
	s_load_b96 s[4:6], s[0:1], 0x1c
	s_load_b96 s[8:10], s[0:1], 0xdc
	s_wait_kmcnt 0x0
	v_mul_hi_u32 v4, s5, v3
	s_delay_alu instid0(VALU_DEP_1) | instskip(NEXT) | instid1(VALU_DEP_1)
	v_add_nc_u32_e32 v4, v3, v4
	v_lshrrev_b32_e32 v4, s6, v4
	s_delay_alu instid0(VALU_DEP_1) | instskip(NEXT) | instid1(VALU_DEP_1)
	v_mul_lo_u32 v4, v4, s4
	v_sub_nc_u32_e32 v3, v3, v4
	s_delay_alu instid0(VALU_DEP_1)
	v_mad_u32 v60, v3, s8, v60
	v_mad_u32 v62, v3, s9, v62
	;; [unrolled: 1-line block ×3, first 2 shown]
	s_and_not1_b32 vcc_lo, exec_lo, s2
	s_cbranch_vccz .LBB23_113
	s_branch .LBB23_116
.LBB23_111:
	s_mov_b32 s2, -1
                                        ; implicit-def: $vgpr61
                                        ; implicit-def: $vgpr62
                                        ; implicit-def: $vgpr60
.LBB23_112:
	s_delay_alu instid0(SALU_CYCLE_1)
	s_and_not1_b32 vcc_lo, exec_lo, s2
	s_cbranch_vccnz .LBB23_116
.LBB23_113:
	s_clause 0x1
	s_load_b96 s[0:2], s[34:35], 0x4
	s_load_b96 s[4:6], s[34:35], 0xc4
	s_cmp_lt_u32 s59, 2
	s_wait_kmcnt 0x0
	v_mul_hi_u32 v3, s1, v0
	s_delay_alu instid0(VALU_DEP_1) | instskip(NEXT) | instid1(VALU_DEP_1)
	v_add_nc_u32_e32 v3, v0, v3
	v_lshrrev_b32_e32 v3, s2, v3
	s_delay_alu instid0(VALU_DEP_1) | instskip(NEXT) | instid1(VALU_DEP_1)
	v_mul_lo_u32 v4, v3, s0
	v_sub_nc_u32_e32 v0, v0, v4
	s_delay_alu instid0(VALU_DEP_1)
	v_mul_lo_u32 v60, v0, s4
	v_mul_lo_u32 v61, v0, s6
	;; [unrolled: 1-line block ×3, first 2 shown]
	s_cbranch_scc1 .LBB23_116
; %bb.114:
	s_clause 0x1
	s_load_b96 s[0:2], s[34:35], 0x10
	s_load_b96 s[4:6], s[34:35], 0xd0
	s_wait_kmcnt 0x0
	v_mul_hi_u32 v0, s1, v3
	s_delay_alu instid0(VALU_DEP_1) | instskip(NEXT) | instid1(VALU_DEP_1)
	v_add_nc_u32_e32 v0, v3, v0
	v_lshrrev_b32_e32 v0, s2, v0
	s_delay_alu instid0(VALU_DEP_1) | instskip(NEXT) | instid1(VALU_DEP_1)
	v_mul_lo_u32 v0, v0, s0
	v_sub_nc_u32_e32 v0, v3, v0
	s_delay_alu instid0(VALU_DEP_1)
	v_mad_u32 v60, v0, s4, v60
	v_mad_u32 v62, v0, s5, v62
	;; [unrolled: 1-line block ×3, first 2 shown]
	s_branch .LBB23_116
.LBB23_115:
	v_dual_mov_b32 v61, 0 :: v_dual_mov_b32 v62, 0
	v_mov_b32_e32 v60, 0
	s_and_not1_b32 vcc_lo, exec_lo, s2
	s_cbranch_vccz .LBB23_113
.LBB23_116:
	s_clause 0x1
	s_load_b128 s[36:39], s[34:35], 0x188
	s_load_b96 s[48:50], s[34:35], 0x198
	s_get_pc_i64 s[46:47]
	s_add_nc_u64 s[46:47], s[46:47], _ZN12_GLOBAL__N_111calc_igammaIfEET_S1_S1_@rel64+4
                                        ; implicit-def: $vgpr42
	s_wait_loadcnt 0x1
	s_wait_kmcnt 0x0
	global_load_b32 v40, v2, s[38:39]
	global_load_b32 v43, v1, s[48:49]
	s_bitcmp1_b32 s50, 0
	s_cselect_b32 s0, -1, 0
	s_delay_alu instid0(SALU_CYCLE_1)
	s_xor_b32 s50, s0, -1
	s_mov_b32 s0, -1
	s_and_b32 vcc_lo, exec_lo, s50
	s_cbranch_vccnz .LBB23_120
; %bb.117:
	s_and_not1_b32 vcc_lo, exec_lo, s0
	s_get_pc_i64 s[34:35]
	s_add_nc_u64 s[34:35], s[34:35], _ZN12_GLOBAL__N_112calc_igammacIfEET_S1_S1_@rel64+4
	s_cbranch_vccz .LBB23_121
.LBB23_118:
	s_wait_loadcnt 0x1
	global_load_b32 v40, v56, s[38:39]
	global_load_b32 v44, v45, s[48:49]
	s_and_b32 vcc_lo, exec_lo, s50
	s_cbranch_vccz .LBB23_122
.LBB23_119:
	s_wait_loadcnt 0x0
	s_wait_xcnt 0x2
	v_dual_mov_b32 v0, v40 :: v_dual_mov_b32 v1, v44
	s_swap_pc_i64 s[30:31], s[46:47]
	s_delay_alu instid0(VALU_DEP_1)
	v_mov_b32_e32 v43, v0
	s_cbranch_execz .LBB23_123
	s_branch .LBB23_124
.LBB23_120:
	s_wait_loadcnt 0x0
	v_dual_mov_b32 v0, v40 :: v_dual_mov_b32 v1, v43
	s_swap_pc_i64 s[30:31], s[46:47]
	s_delay_alu instid0(VALU_DEP_1)
	v_mov_b32_e32 v42, v0
	s_get_pc_i64 s[34:35]
	s_add_nc_u64 s[34:35], s[34:35], _ZN12_GLOBAL__N_112calc_igammacIfEET_S1_S1_@rel64+4
	s_cbranch_execnz .LBB23_118
.LBB23_121:
	s_wait_loadcnt 0x0
	v_dual_mov_b32 v0, v40 :: v_dual_mov_b32 v1, v43
	s_swap_pc_i64 s[30:31], s[34:35]
	s_delay_alu instid0(VALU_DEP_1)
	v_mov_b32_e32 v42, v0
	global_load_b32 v40, v56, s[38:39]
	global_load_b32 v44, v45, s[48:49]
	s_and_b32 vcc_lo, exec_lo, s50
	s_cbranch_vccnz .LBB23_119
.LBB23_122:
                                        ; implicit-def: $vgpr43
.LBB23_123:
	s_wait_loadcnt 0x0
	s_wait_xcnt 0x2
	v_dual_mov_b32 v0, v40 :: v_dual_mov_b32 v1, v44
	s_swap_pc_i64 s[30:31], s[34:35]
	s_delay_alu instid0(VALU_DEP_1)
	v_mov_b32_e32 v43, v0
.LBB23_124:
	s_wait_loadcnt 0x1
	global_load_b32 v40, v59, s[38:39]
	global_load_b32 v45, v58, s[48:49]
	s_and_b32 vcc_lo, exec_lo, s50
	s_cbranch_vccz .LBB23_126
; %bb.125:
	s_wait_loadcnt 0x0
	v_dual_mov_b32 v0, v40 :: v_dual_mov_b32 v1, v45
	s_swap_pc_i64 s[30:31], s[46:47]
	s_delay_alu instid0(VALU_DEP_1)
	v_mov_b32_e32 v44, v0
	s_cbranch_execz .LBB23_127
	s_branch .LBB23_128
.LBB23_126:
                                        ; implicit-def: $vgpr44
.LBB23_127:
	s_wait_loadcnt 0x0
	v_dual_mov_b32 v0, v40 :: v_dual_mov_b32 v1, v45
	s_swap_pc_i64 s[30:31], s[34:35]
	s_delay_alu instid0(VALU_DEP_1)
	v_mov_b32_e32 v44, v0
.LBB23_128:
	s_wait_loadcnt 0x1
	global_load_b32 v40, v62, s[38:39]
	s_wait_loadcnt 0x1
	global_load_b32 v45, v61, s[48:49]
	s_and_b32 vcc_lo, exec_lo, s50
	s_cbranch_vccz .LBB23_130
; %bb.129:
	s_wait_loadcnt 0x0
	v_dual_mov_b32 v0, v40 :: v_dual_mov_b32 v1, v45
	s_swap_pc_i64 s[30:31], s[46:47]
	s_cbranch_execz .LBB23_131
	s_branch .LBB23_132
.LBB23_130:
                                        ; implicit-def: $vgpr0
.LBB23_131:
	s_wait_loadcnt 0x0
	v_dual_mov_b32 v0, v40 :: v_dual_mov_b32 v1, v45
	s_swap_pc_i64 s[30:31], s[34:35]
.LBB23_132:
	s_clause 0x3
	global_store_b32 v46, v42, s[36:37]
	global_store_b32 v47, v43, s[36:37]
	;; [unrolled: 1-line block ×4, first 2 shown]
	s_endpgm
	.section	.rodata,"a",@progbits
	.p2align	6, 0x0
	.amdhsa_kernel _ZN2at6native32elementwise_kernel_manual_unrollILi128ELi4EZNS0_22gpu_kernel_impl_nocastIN12_GLOBAL__N_110CalcIgammaIfEEEEvRNS_18TensorIteratorBaseERKT_EUlibE_EEviT1_
		.amdhsa_group_segment_fixed_size 0
		.amdhsa_private_segment_fixed_size 144
		.amdhsa_kernarg_size 432
		.amdhsa_user_sgpr_count 2
		.amdhsa_user_sgpr_dispatch_ptr 0
		.amdhsa_user_sgpr_queue_ptr 0
		.amdhsa_user_sgpr_kernarg_segment_ptr 1
		.amdhsa_user_sgpr_dispatch_id 0
		.amdhsa_user_sgpr_kernarg_preload_length 0
		.amdhsa_user_sgpr_kernarg_preload_offset 0
		.amdhsa_user_sgpr_private_segment_size 0
		.amdhsa_wavefront_size32 1
		.amdhsa_uses_dynamic_stack 0
		.amdhsa_enable_private_segment 1
		.amdhsa_system_sgpr_workgroup_id_x 1
		.amdhsa_system_sgpr_workgroup_id_y 0
		.amdhsa_system_sgpr_workgroup_id_z 0
		.amdhsa_system_sgpr_workgroup_info 0
		.amdhsa_system_vgpr_workitem_id 0
		.amdhsa_next_free_vgpr 84
		.amdhsa_next_free_sgpr 73
		.amdhsa_named_barrier_count 0
		.amdhsa_reserve_vcc 1
		.amdhsa_float_round_mode_32 0
		.amdhsa_float_round_mode_16_64 0
		.amdhsa_float_denorm_mode_32 3
		.amdhsa_float_denorm_mode_16_64 3
		.amdhsa_fp16_overflow 0
		.amdhsa_memory_ordered 1
		.amdhsa_forward_progress 1
		.amdhsa_inst_pref_size 48
		.amdhsa_round_robin_scheduling 0
		.amdhsa_exception_fp_ieee_invalid_op 0
		.amdhsa_exception_fp_denorm_src 0
		.amdhsa_exception_fp_ieee_div_zero 0
		.amdhsa_exception_fp_ieee_overflow 0
		.amdhsa_exception_fp_ieee_underflow 0
		.amdhsa_exception_fp_ieee_inexact 0
		.amdhsa_exception_int_div_zero 0
	.end_amdhsa_kernel
	.section	.text._ZN2at6native32elementwise_kernel_manual_unrollILi128ELi4EZNS0_22gpu_kernel_impl_nocastIN12_GLOBAL__N_110CalcIgammaIfEEEEvRNS_18TensorIteratorBaseERKT_EUlibE_EEviT1_,"axG",@progbits,_ZN2at6native32elementwise_kernel_manual_unrollILi128ELi4EZNS0_22gpu_kernel_impl_nocastIN12_GLOBAL__N_110CalcIgammaIfEEEEvRNS_18TensorIteratorBaseERKT_EUlibE_EEviT1_,comdat
.Lfunc_end23:
	.size	_ZN2at6native32elementwise_kernel_manual_unrollILi128ELi4EZNS0_22gpu_kernel_impl_nocastIN12_GLOBAL__N_110CalcIgammaIfEEEEvRNS_18TensorIteratorBaseERKT_EUlibE_EEviT1_, .Lfunc_end23-_ZN2at6native32elementwise_kernel_manual_unrollILi128ELi4EZNS0_22gpu_kernel_impl_nocastIN12_GLOBAL__N_110CalcIgammaIfEEEEvRNS_18TensorIteratorBaseERKT_EUlibE_EEviT1_
                                        ; -- End function
	.set _ZN2at6native32elementwise_kernel_manual_unrollILi128ELi4EZNS0_22gpu_kernel_impl_nocastIN12_GLOBAL__N_110CalcIgammaIfEEEEvRNS_18TensorIteratorBaseERKT_EUlibE_EEviT1_.num_vgpr, max(63, .L_ZN12_GLOBAL__N_111calc_igammaIfEET_S1_S1_.num_vgpr, .L_ZN12_GLOBAL__N_112calc_igammacIfEET_S1_S1_.num_vgpr)
	.set _ZN2at6native32elementwise_kernel_manual_unrollILi128ELi4EZNS0_22gpu_kernel_impl_nocastIN12_GLOBAL__N_110CalcIgammaIfEEEEvRNS_18TensorIteratorBaseERKT_EUlibE_EEviT1_.num_agpr, max(0, .L_ZN12_GLOBAL__N_111calc_igammaIfEET_S1_S1_.num_agpr, .L_ZN12_GLOBAL__N_112calc_igammacIfEET_S1_S1_.num_agpr)
	.set _ZN2at6native32elementwise_kernel_manual_unrollILi128ELi4EZNS0_22gpu_kernel_impl_nocastIN12_GLOBAL__N_110CalcIgammaIfEEEEvRNS_18TensorIteratorBaseERKT_EUlibE_EEviT1_.numbered_sgpr, max(73, .L_ZN12_GLOBAL__N_111calc_igammaIfEET_S1_S1_.numbered_sgpr, .L_ZN12_GLOBAL__N_112calc_igammacIfEET_S1_S1_.numbered_sgpr)
	.set _ZN2at6native32elementwise_kernel_manual_unrollILi128ELi4EZNS0_22gpu_kernel_impl_nocastIN12_GLOBAL__N_110CalcIgammaIfEEEEvRNS_18TensorIteratorBaseERKT_EUlibE_EEviT1_.num_named_barrier, max(0, .L_ZN12_GLOBAL__N_111calc_igammaIfEET_S1_S1_.num_named_barrier, .L_ZN12_GLOBAL__N_112calc_igammacIfEET_S1_S1_.num_named_barrier)
	.set _ZN2at6native32elementwise_kernel_manual_unrollILi128ELi4EZNS0_22gpu_kernel_impl_nocastIN12_GLOBAL__N_110CalcIgammaIfEEEEvRNS_18TensorIteratorBaseERKT_EUlibE_EEviT1_.private_seg_size, 0+max(.L_ZN12_GLOBAL__N_111calc_igammaIfEET_S1_S1_.private_seg_size, .L_ZN12_GLOBAL__N_112calc_igammacIfEET_S1_S1_.private_seg_size)
	.set _ZN2at6native32elementwise_kernel_manual_unrollILi128ELi4EZNS0_22gpu_kernel_impl_nocastIN12_GLOBAL__N_110CalcIgammaIfEEEEvRNS_18TensorIteratorBaseERKT_EUlibE_EEviT1_.uses_vcc, or(1, .L_ZN12_GLOBAL__N_111calc_igammaIfEET_S1_S1_.uses_vcc, .L_ZN12_GLOBAL__N_112calc_igammacIfEET_S1_S1_.uses_vcc)
	.set _ZN2at6native32elementwise_kernel_manual_unrollILi128ELi4EZNS0_22gpu_kernel_impl_nocastIN12_GLOBAL__N_110CalcIgammaIfEEEEvRNS_18TensorIteratorBaseERKT_EUlibE_EEviT1_.uses_flat_scratch, or(0, .L_ZN12_GLOBAL__N_111calc_igammaIfEET_S1_S1_.uses_flat_scratch, .L_ZN12_GLOBAL__N_112calc_igammacIfEET_S1_S1_.uses_flat_scratch)
	.set _ZN2at6native32elementwise_kernel_manual_unrollILi128ELi4EZNS0_22gpu_kernel_impl_nocastIN12_GLOBAL__N_110CalcIgammaIfEEEEvRNS_18TensorIteratorBaseERKT_EUlibE_EEviT1_.has_dyn_sized_stack, or(0, .L_ZN12_GLOBAL__N_111calc_igammaIfEET_S1_S1_.has_dyn_sized_stack, .L_ZN12_GLOBAL__N_112calc_igammacIfEET_S1_S1_.has_dyn_sized_stack)
	.set _ZN2at6native32elementwise_kernel_manual_unrollILi128ELi4EZNS0_22gpu_kernel_impl_nocastIN12_GLOBAL__N_110CalcIgammaIfEEEEvRNS_18TensorIteratorBaseERKT_EUlibE_EEviT1_.has_recursion, or(0, .L_ZN12_GLOBAL__N_111calc_igammaIfEET_S1_S1_.has_recursion, .L_ZN12_GLOBAL__N_112calc_igammacIfEET_S1_S1_.has_recursion)
	.set _ZN2at6native32elementwise_kernel_manual_unrollILi128ELi4EZNS0_22gpu_kernel_impl_nocastIN12_GLOBAL__N_110CalcIgammaIfEEEEvRNS_18TensorIteratorBaseERKT_EUlibE_EEviT1_.has_indirect_call, or(0, .L_ZN12_GLOBAL__N_111calc_igammaIfEET_S1_S1_.has_indirect_call, .L_ZN12_GLOBAL__N_112calc_igammacIfEET_S1_S1_.has_indirect_call)
	.section	.AMDGPU.csdata,"",@progbits
; Kernel info:
; codeLenInByte = 6060
; TotalNumSgprs: 75
; NumVgprs: 84
; ScratchSize: 144
; MemoryBound: 0
; FloatMode: 240
; IeeeMode: 1
; LDSByteSize: 0 bytes/workgroup (compile time only)
; SGPRBlocks: 0
; VGPRBlocks: 5
; NumSGPRsForWavesPerEU: 75
; NumVGPRsForWavesPerEU: 84
; NamedBarCnt: 0
; Occupancy: 10
; WaveLimiterHint : 1
; COMPUTE_PGM_RSRC2:SCRATCH_EN: 1
; COMPUTE_PGM_RSRC2:USER_SGPR: 2
; COMPUTE_PGM_RSRC2:TRAP_HANDLER: 0
; COMPUTE_PGM_RSRC2:TGID_X_EN: 1
; COMPUTE_PGM_RSRC2:TGID_Y_EN: 0
; COMPUTE_PGM_RSRC2:TGID_Z_EN: 0
; COMPUTE_PGM_RSRC2:TIDIG_COMP_CNT: 0
	.text
	.p2align	2                               ; -- Begin function _ZN3c104guts5applyIRN12_GLOBAL__N_110CalcIgammaIfEERSt5tupleIJffEEEEDaOT_OT0_
	.type	_ZN3c104guts5applyIRN12_GLOBAL__N_110CalcIgammaIfEERSt5tupleIJffEEEEDaOT_OT0_,@function
_ZN3c104guts5applyIRN12_GLOBAL__N_110CalcIgammaIfEERSt5tupleIJffEEEEDaOT_OT0_: ; @_ZN3c104guts5applyIRN12_GLOBAL__N_110CalcIgammaIfEERSt5tupleIJffEEEEDaOT_OT0_
; %bb.0:
	s_wait_loadcnt_dscnt 0x0
	s_wait_kmcnt 0x0
	s_mov_b32 s47, s33
	s_mov_b32 s33, s32
	s_or_saveexec_b32 s0, -1
	scratch_store_b32 off, v42, s33 offset:8 ; 4-byte Folded Spill
	s_wait_xcnt 0x0
	s_mov_b32 exec_lo, s0
	s_add_co_i32 s32, s32, 16
	s_clause 0x1
	scratch_store_b32 off, v40, s33 offset:4
	; meta instruction
	scratch_store_b32 off, v41, s33
	v_writelane_b32 v42, s30, 0
	v_writelane_b32 v42, s31, 1
	v_and_b32_e32 v0, 1, v0
	s_delay_alu instid0(VALU_DEP_1) | instskip(SKIP_3) | instid1(SALU_CYCLE_1)
	v_cmp_eq_u32_e32 vcc_lo, 1, v0
                                        ; implicit-def: $vgpr0
	s_xor_b32 s0, vcc_lo, -1
	s_wait_xcnt 0x0
	s_and_saveexec_b32 s1, s0
	s_xor_b32 s46, exec_lo, s1
	s_cbranch_execz .LBB24_2
; %bb.1:
	v_mov_b32_e32 v0, v2
	s_get_pc_i64 s[0:1]
	s_add_nc_u64 s[0:1], s[0:1], _ZN12_GLOBAL__N_111calc_igammaIfEET_S1_S1_@rel64+4
	s_delay_alu instid0(SALU_CYCLE_1)
	s_swap_pc_i64 s[30:31], s[0:1]
                                        ; implicit-def: $vgpr2
                                        ; implicit-def: $vgpr1
.LBB24_2:
	s_and_not1_saveexec_b32 s26, s46
	s_cbranch_execz .LBB24_4
; %bb.3:
	v_mov_b32_e32 v0, v2
	s_get_pc_i64 s[0:1]
	s_add_nc_u64 s[0:1], s[0:1], _ZN12_GLOBAL__N_112calc_igammacIfEET_S1_S1_@rel64+4
	s_delay_alu instid0(SALU_CYCLE_1)
	s_swap_pc_i64 s[30:31], s[0:1]
.LBB24_4:
	s_or_b32 exec_lo, exec_lo, s26
	s_clause 0x1
	scratch_load_b32 v41, off, s33
	scratch_load_b32 v40, off, s33 offset:4
	v_readlane_b32 s30, v42, 0
	v_readlane_b32 s31, v42, 1
	s_mov_b32 s32, s33
	s_wait_xcnt 0x0
	s_or_saveexec_b32 s0, -1
	scratch_load_b32 v42, off, s33 offset:8 ; 4-byte Folded Reload
	s_wait_xcnt 0x0
	s_mov_b32 exec_lo, s0
	s_mov_b32 s33, s47
	s_wait_loadcnt 0x0
	s_set_pc_i64 s[30:31]
.Lfunc_end24:
	.size	_ZN3c104guts5applyIRN12_GLOBAL__N_110CalcIgammaIfEERSt5tupleIJffEEEEDaOT_OT0_, .Lfunc_end24-_ZN3c104guts5applyIRN12_GLOBAL__N_110CalcIgammaIfEERSt5tupleIJffEEEEDaOT_OT0_
                                        ; -- End function
	.set .L_ZN3c104guts5applyIRN12_GLOBAL__N_110CalcIgammaIfEERSt5tupleIJffEEEEDaOT_OT0_.num_vgpr, max(43, .L_ZN12_GLOBAL__N_111calc_igammaIfEET_S1_S1_.num_vgpr, .L_ZN12_GLOBAL__N_112calc_igammacIfEET_S1_S1_.num_vgpr)
	.set .L_ZN3c104guts5applyIRN12_GLOBAL__N_110CalcIgammaIfEERSt5tupleIJffEEEEDaOT_OT0_.num_agpr, max(0, .L_ZN12_GLOBAL__N_111calc_igammaIfEET_S1_S1_.num_agpr, .L_ZN12_GLOBAL__N_112calc_igammacIfEET_S1_S1_.num_agpr)
	.set .L_ZN3c104guts5applyIRN12_GLOBAL__N_110CalcIgammaIfEERSt5tupleIJffEEEEDaOT_OT0_.numbered_sgpr, max(48, .L_ZN12_GLOBAL__N_111calc_igammaIfEET_S1_S1_.numbered_sgpr, .L_ZN12_GLOBAL__N_112calc_igammacIfEET_S1_S1_.numbered_sgpr)
	.set .L_ZN3c104guts5applyIRN12_GLOBAL__N_110CalcIgammaIfEERSt5tupleIJffEEEEDaOT_OT0_.num_named_barrier, max(0, .L_ZN12_GLOBAL__N_111calc_igammaIfEET_S1_S1_.num_named_barrier, .L_ZN12_GLOBAL__N_112calc_igammacIfEET_S1_S1_.num_named_barrier)
	.set .L_ZN3c104guts5applyIRN12_GLOBAL__N_110CalcIgammaIfEERSt5tupleIJffEEEEDaOT_OT0_.private_seg_size, 16+max(.L_ZN12_GLOBAL__N_111calc_igammaIfEET_S1_S1_.private_seg_size, .L_ZN12_GLOBAL__N_112calc_igammacIfEET_S1_S1_.private_seg_size)
	.set .L_ZN3c104guts5applyIRN12_GLOBAL__N_110CalcIgammaIfEERSt5tupleIJffEEEEDaOT_OT0_.uses_vcc, or(1, .L_ZN12_GLOBAL__N_111calc_igammaIfEET_S1_S1_.uses_vcc, .L_ZN12_GLOBAL__N_112calc_igammacIfEET_S1_S1_.uses_vcc)
	.set .L_ZN3c104guts5applyIRN12_GLOBAL__N_110CalcIgammaIfEERSt5tupleIJffEEEEDaOT_OT0_.uses_flat_scratch, or(1, .L_ZN12_GLOBAL__N_111calc_igammaIfEET_S1_S1_.uses_flat_scratch, .L_ZN12_GLOBAL__N_112calc_igammacIfEET_S1_S1_.uses_flat_scratch)
	.set .L_ZN3c104guts5applyIRN12_GLOBAL__N_110CalcIgammaIfEERSt5tupleIJffEEEEDaOT_OT0_.has_dyn_sized_stack, or(0, .L_ZN12_GLOBAL__N_111calc_igammaIfEET_S1_S1_.has_dyn_sized_stack, .L_ZN12_GLOBAL__N_112calc_igammacIfEET_S1_S1_.has_dyn_sized_stack)
	.set .L_ZN3c104guts5applyIRN12_GLOBAL__N_110CalcIgammaIfEERSt5tupleIJffEEEEDaOT_OT0_.has_recursion, or(0, .L_ZN12_GLOBAL__N_111calc_igammaIfEET_S1_S1_.has_recursion, .L_ZN12_GLOBAL__N_112calc_igammacIfEET_S1_S1_.has_recursion)
	.set .L_ZN3c104guts5applyIRN12_GLOBAL__N_110CalcIgammaIfEERSt5tupleIJffEEEEDaOT_OT0_.has_indirect_call, or(0, .L_ZN12_GLOBAL__N_111calc_igammaIfEET_S1_S1_.has_indirect_call, .L_ZN12_GLOBAL__N_112calc_igammacIfEET_S1_S1_.has_indirect_call)
	.section	.AMDGPU.csdata,"",@progbits
; Function info:
; codeLenInByte = 276
; TotalNumSgprs: 50
; NumVgprs: 84
; ScratchSize: 160
; MemoryBound: 0
	.text
	.p2align	2                               ; -- Begin function _ZN2at6native25elementwise_kernel_helperILb1EN12_GLOBAL__N_110CalcIgammaIfEENS0_6memory8policies11unroll_baseILi512ESt5arrayIPcLm3EE23TrivialOffsetCalculatorILi2EjESB_ILi1EjENS5_12LoadWithCastILi2EEENS5_13StoreWithCastILi1EEELi32ELi1EEEEEvT0_T1_
	.type	_ZN2at6native25elementwise_kernel_helperILb1EN12_GLOBAL__N_110CalcIgammaIfEENS0_6memory8policies11unroll_baseILi512ESt5arrayIPcLm3EE23TrivialOffsetCalculatorILi2EjESB_ILi1EjENS5_12LoadWithCastILi2EEENS5_13StoreWithCastILi1EEELi32ELi1EEEEEvT0_T1_,@function
_ZN2at6native25elementwise_kernel_helperILb1EN12_GLOBAL__N_110CalcIgammaIfEENS0_6memory8policies11unroll_baseILi512ESt5arrayIPcLm3EE23TrivialOffsetCalculatorILi2EjESB_ILi1EjENS5_12LoadWithCastILi2EEENS5_13StoreWithCastILi1EEELi32ELi1EEEEEvT0_T1_: ; @_ZN2at6native25elementwise_kernel_helperILb1EN12_GLOBAL__N_110CalcIgammaIfEENS0_6memory8policies11unroll_baseILi512ESt5arrayIPcLm3EE23TrivialOffsetCalculatorILi2EjESB_ILi1EjENS5_12LoadWithCastILi2EEENS5_13StoreWithCastILi1EEELi32ELi1EEEEEvT0_T1_
; %bb.0:
	s_wait_loadcnt_dscnt 0x0
	s_wait_kmcnt 0x0
	s_mov_b32 s0, s33
	s_mov_b32 s33, s32
	s_or_saveexec_b32 s1, -1
	scratch_store_b32 off, v40, s33 offset:272 ; 4-byte Folded Spill
	s_wait_xcnt 0x0
	s_mov_b32 exec_lo, s1
	v_writelane_b32 v40, s0, 14
	s_addk_co_i32 s32, 0x120
	scratch_store_b32 off, v42, s33         ; 4-byte Folded Spill
	v_writelane_b32 v40, s34, 0
	v_writelane_b32 v40, s35, 1
	;; [unrolled: 1-line block ×14, first 2 shown]
	s_load_u16 s3, s[8:9], 0x12
	s_mov_b32 s0, 0
	s_getreg_b32 s4, hwreg(HW_REG_IB_STS2, 6, 4)
	s_mov_b32 s2, s0
	s_mov_b32 s1, s0
	v_and_b32_e32 v209, 0x3ff, v31
	v_dual_mov_b32 v210, v13 :: v_dual_mov_b32 v85, v12
	v_dual_mov_b32 v211, v7 :: v_dual_mov_b32 v7, v6
	v_dual_mov_b32 v6, v5 :: v_dual_mov_b32 v5, v4
	v_dual_mov_b32 v4, v3 :: v_dual_mov_b32 v213, v2
	v_dual_mov_b32 v212, v1 :: v_dual_bitop2_b32 v0, 1, v0 bitop3:0x40
	v_dual_mov_b32 v1, 0 :: v_dual_mov_b32 v12, v209
	v_and_b32_e32 v8, 0xff, v8
	scratch_store_b8 off, v0, s33 offset:4
	s_wait_kmcnt 0x0
	s_cmp_lg_u32 s3, 0
	s_mov_b32 s3, s0
	s_cselect_b32 s5, -1, 0
	s_bfe_u32 s6, ttmp6, 0x4000c
	v_mov_b64_e32 v[16:17], s[2:3]
	s_add_co_i32 s6, s6, 1
	v_mov_b64_e32 v[14:15], s[0:1]
	s_and_b32 s1, ttmp6, 15
	s_mul_i32 s2, ttmp9, s6
                                        ; implicit-def: $sgpr3
	s_delay_alu instid0(SALU_CYCLE_1)
	s_add_co_i32 s1, s1, s2
	s_load_b32 s2, s[8:9], 0x0
	s_cmp_eq_u32 s4, 0
	s_clause 0xb
	scratch_store_b128 off, v[14:17], s33 offset:16
	scratch_store_b128 off, v[14:17], s33 offset:32
	;; [unrolled: 1-line block ×12, first 2 shown]
	s_cselect_b32 s1, ttmp9, s1
	s_clause 0x1
	scratch_store_b128 off, v[14:17], s33 offset:208
	scratch_store_b128 off, v[14:17], s33 offset:224
	s_not_b32 s1, s1
	s_cmp_lg_u32 s5, 0
	s_clause 0x1
	scratch_store_b128 off, v[14:17], s33 offset:240
	scratch_store_b128 off, v[14:17], s33 offset:256
                                        ; implicit-def: $sgpr4
                                        ; implicit-def: $sgpr5
	s_wait_kmcnt 0x0
	s_add_co_ci_u32 s1, s2, s1
                                        ; implicit-def: $sgpr2
	s_delay_alu instid0(SALU_CYCLE_1)
	s_lshl_b32 s60, s1, 14
	s_mov_b32 s1, s0
	s_branch .LBB25_17
.LBB25_1:                               ;   in Loop: Header=BB25_17 Depth=1
	s_or_b32 exec_lo, exec_lo, s77
	s_delay_alu instid0(SALU_CYCLE_1)
	s_and_not1_b32 s74, s74, exec_lo
	s_and_b32 s77, s89, exec_lo
	s_and_not1_b32 s73, s73, exec_lo
	s_and_b32 s78, s88, exec_lo
	s_or_b32 s74, s74, s77
	s_or_b32 s73, s73, s78
	s_or_not1_b32 s76, s76, exec_lo
.LBB25_2:                               ;   in Loop: Header=BB25_17 Depth=1
	s_or_b32 exec_lo, exec_lo, s75
	s_delay_alu instid0(SALU_CYCLE_1)
	s_and_not1_b32 s63, s63, exec_lo
	s_and_b32 s74, s74, exec_lo
	s_and_not1_b32 s62, s62, exec_lo
	s_and_b32 s73, s73, exec_lo
	s_or_b32 s63, s63, s74
	s_or_b32 s62, s62, s73
	s_or_not1_b32 s73, s76, exec_lo
.LBB25_3:                               ;   in Loop: Header=BB25_17 Depth=1
	s_or_b32 exec_lo, exec_lo, s72
	s_delay_alu instid0(SALU_CYCLE_1)
	s_and_not1_b32 s59, s59, exec_lo
	s_and_b32 s63, s63, exec_lo
	s_and_not1_b32 s58, s58, exec_lo
	s_and_b32 s62, s62, exec_lo
	s_or_b32 s59, s59, s63
	s_or_b32 s58, s58, s62
	s_or_not1_b32 s62, s73, exec_lo
.LBB25_4:                               ;   in Loop: Header=BB25_17 Depth=1
	s_or_b32 exec_lo, exec_lo, s61
	s_delay_alu instid0(SALU_CYCLE_1)
	s_and_not1_b32 s56, s56, exec_lo
	s_and_b32 s59, s59, exec_lo
	s_and_not1_b32 s47, s47, exec_lo
	s_and_b32 s58, s58, exec_lo
	s_or_b32 s56, s56, s59
	s_or_b32 s47, s47, s58
	s_or_not1_b32 s58, s62, exec_lo
.LBB25_5:                               ;   in Loop: Header=BB25_17 Depth=1
	s_or_b32 exec_lo, exec_lo, s57
	s_delay_alu instid0(SALU_CYCLE_1)
	s_and_not1_b32 s45, s45, exec_lo
	s_and_b32 s56, s56, exec_lo
	s_and_not1_b32 s44, s44, exec_lo
	s_and_b32 s47, s47, exec_lo
	s_or_b32 s45, s45, s56
	s_or_b32 s44, s44, s47
	s_or_not1_b32 s47, s58, exec_lo
.LBB25_6:                               ;   in Loop: Header=BB25_17 Depth=1
	s_or_b32 exec_lo, exec_lo, s46
	s_delay_alu instid0(SALU_CYCLE_1)
	s_and_not1_b32 s42, s42, exec_lo
	s_and_b32 s45, s45, exec_lo
	s_and_not1_b32 s41, s41, exec_lo
	s_and_b32 s44, s44, exec_lo
	s_or_b32 s42, s42, s45
	s_or_b32 s41, s41, s44
	s_or_not1_b32 s44, s47, exec_lo
.LBB25_7:                               ;   in Loop: Header=BB25_17 Depth=1
	s_or_b32 exec_lo, exec_lo, s43
	s_delay_alu instid0(SALU_CYCLE_1)
	s_and_not1_b32 s29, s29, exec_lo
	s_and_b32 s42, s42, exec_lo
	s_and_not1_b32 s28, s28, exec_lo
	s_and_b32 s41, s41, exec_lo
	s_or_b32 s29, s29, s42
	s_or_b32 s28, s28, s41
	s_or_not1_b32 s41, s44, exec_lo
.LBB25_8:                               ;   in Loop: Header=BB25_17 Depth=1
	s_or_b32 exec_lo, exec_lo, s40
	s_delay_alu instid0(SALU_CYCLE_1)
	s_and_not1_b32 s26, s26, exec_lo
	s_and_b32 s29, s29, exec_lo
	s_and_not1_b32 s25, s25, exec_lo
	s_and_b32 s28, s28, exec_lo
	s_or_b32 s26, s26, s29
	s_or_b32 s25, s25, s28
	s_or_not1_b32 s28, s41, exec_lo
.LBB25_9:                               ;   in Loop: Header=BB25_17 Depth=1
	s_or_b32 exec_lo, exec_lo, s27
	s_delay_alu instid0(SALU_CYCLE_1)
	s_and_not1_b32 s23, s23, exec_lo
	s_and_b32 s26, s26, exec_lo
	s_and_not1_b32 s22, s22, exec_lo
	s_and_b32 s25, s25, exec_lo
	s_or_b32 s23, s23, s26
	s_or_b32 s22, s22, s25
	s_or_not1_b32 s25, s28, exec_lo
.LBB25_10:                              ;   in Loop: Header=BB25_17 Depth=1
	s_or_b32 exec_lo, exec_lo, s24
	s_delay_alu instid0(SALU_CYCLE_1)
	s_and_not1_b32 s20, s20, exec_lo
	s_and_b32 s23, s23, exec_lo
	s_and_not1_b32 s19, s19, exec_lo
	s_and_b32 s22, s22, exec_lo
	s_or_b32 s20, s20, s23
	s_or_b32 s19, s19, s22
	s_or_not1_b32 s22, s25, exec_lo
.LBB25_11:                              ;   in Loop: Header=BB25_17 Depth=1
	s_or_b32 exec_lo, exec_lo, s21
	s_delay_alu instid0(SALU_CYCLE_1)
	s_and_not1_b32 s17, s17, exec_lo
	s_and_b32 s20, s20, exec_lo
	s_and_not1_b32 s16, s16, exec_lo
	s_and_b32 s19, s19, exec_lo
	s_or_b32 s17, s17, s20
	s_or_b32 s16, s16, s19
	s_or_not1_b32 s19, s22, exec_lo
.LBB25_12:                              ;   in Loop: Header=BB25_17 Depth=1
	s_or_b32 exec_lo, exec_lo, s18
	s_delay_alu instid0(SALU_CYCLE_1)
	s_and_not1_b32 s14, s14, exec_lo
	s_and_b32 s17, s17, exec_lo
	s_and_not1_b32 s13, s13, exec_lo
	s_and_b32 s16, s16, exec_lo
	s_or_b32 s14, s14, s17
	s_or_b32 s13, s13, s16
	s_or_not1_b32 s16, s19, exec_lo
.LBB25_13:                              ;   in Loop: Header=BB25_17 Depth=1
	s_or_b32 exec_lo, exec_lo, s15
	s_delay_alu instid0(SALU_CYCLE_1)
	s_and_not1_b32 s11, s11, exec_lo
	s_and_b32 s14, s14, exec_lo
	s_and_not1_b32 s10, s10, exec_lo
	s_and_b32 s13, s13, exec_lo
	s_or_b32 s11, s11, s14
	s_or_b32 s10, s10, s13
	s_or_not1_b32 s13, s16, exec_lo
.LBB25_14:                              ;   in Loop: Header=BB25_17 Depth=1
	s_or_b32 exec_lo, exec_lo, s12
	s_delay_alu instid0(SALU_CYCLE_1)
	s_and_not1_b32 s8, s8, exec_lo
	s_and_b32 s11, s11, exec_lo
	s_and_not1_b32 s7, s7, exec_lo
	s_and_b32 s10, s10, exec_lo
	s_or_b32 s8, s8, s11
	s_or_b32 s7, s7, s10
	s_or_not1_b32 s10, s13, exec_lo
.LBB25_15:                              ;   in Loop: Header=BB25_17 Depth=1
	s_or_b32 exec_lo, exec_lo, s9
	s_delay_alu instid0(SALU_CYCLE_1)
	s_and_not1_b32 s5, s5, exec_lo
	s_and_b32 s8, s8, exec_lo
	s_and_not1_b32 s4, s4, exec_lo
	s_and_b32 s7, s7, exec_lo
	s_or_b32 s5, s5, s8
	s_or_b32 s4, s4, s7
	s_or_not1_b32 s8, s10, exec_lo
.LBB25_16:                              ;   in Loop: Header=BB25_17 Depth=1
	s_or_b32 exec_lo, exec_lo, s6
	s_delay_alu instid0(SALU_CYCLE_1) | instskip(NEXT) | instid1(SALU_CYCLE_1)
	s_and_b32 s6, exec_lo, s8
	s_or_b32 s0, s6, s0
	s_and_not1_b32 s3, s3, exec_lo
	s_and_b32 s6, s5, exec_lo
	s_and_not1_b32 s2, s2, exec_lo
	s_and_b32 s7, s4, exec_lo
	s_or_b32 s3, s3, s6
	s_or_b32 s2, s2, s7
	s_and_not1_b32 exec_lo, exec_lo, s0
	s_cbranch_execz .LBB25_3650
.LBB25_17:                              ; =>This Inner Loop Header: Depth=1
	s_mov_b32 s7, -1
	s_mov_b32 s6, exec_lo
                                        ; implicit-def: $sgpr9
                                        ; implicit-def: $sgpr10
	s_wait_xcnt 0x0
	v_cmpx_lt_i32_e64 v12, v211
	s_cbranch_execz .LBB25_127
; %bb.18:                               ;   in Loop: Header=BB25_17 Depth=1
	v_add_nc_u32_e32 v13, s60, v12
	s_mov_b32 s8, 0
	s_mov_b32 s7, exec_lo
	s_wait_loadcnt_dscnt 0x0
	s_delay_alu instid0(VALU_DEP_1) | instskip(NEXT) | instid1(VALU_DEP_1)
	v_mul_lo_u32 v0, v13, v10
	v_add_nc_u64_e32 v[2:3], v[4:5], v[0:1]
                                        ; implicit-def: $vgpr0
	v_cmpx_lt_i16_e32 10, v8
	s_xor_b32 s7, exec_lo, s7
	s_cbranch_execz .LBB25_78
; %bb.19:                               ;   in Loop: Header=BB25_17 Depth=1
	s_mov_b32 s9, 0
	s_mov_b32 s8, exec_lo
                                        ; implicit-def: $vgpr0
	v_cmpx_lt_i16_e32 25, v8
	s_xor_b32 s8, exec_lo, s8
	s_cbranch_execz .LBB25_51
; %bb.20:                               ;   in Loop: Header=BB25_17 Depth=1
	s_mov_b32 s10, exec_lo
                                        ; implicit-def: $vgpr0
	v_cmpx_lt_i16_e32 28, v8
	s_xor_b32 s10, exec_lo, s10
	s_cbranch_execz .LBB25_36
; %bb.21:                               ;   in Loop: Header=BB25_17 Depth=1
	s_mov_b32 s11, 0
	s_mov_b32 s9, exec_lo
                                        ; implicit-def: $vgpr0
	v_cmpx_lt_i16_e32 43, v8
	s_xor_b32 s9, exec_lo, s9
	s_cbranch_execz .LBB25_31
; %bb.22:                               ;   in Loop: Header=BB25_17 Depth=1
	s_mov_b32 s12, exec_lo
                                        ; implicit-def: $vgpr0
	v_cmpx_lt_i16_e32 45, v8
	s_xor_b32 s12, exec_lo, s12
	s_cbranch_execz .LBB25_26
; %bb.23:                               ;   in Loop: Header=BB25_17 Depth=1
	s_mov_b32 s13, exec_lo
                                        ; implicit-def: $vgpr0
	v_cmpx_eq_u16_e32 46, v8
	s_cbranch_execz .LBB25_25
; %bb.24:                               ;   in Loop: Header=BB25_17 Depth=1
	flat_load_b32 v0, v[2:3]
	s_mov_b32 s11, exec_lo
	s_wait_loadcnt_dscnt 0x0
	v_lshlrev_b32_e32 v0, 16, v0
.LBB25_25:                              ;   in Loop: Header=BB25_17 Depth=1
	s_wait_xcnt 0x0
	s_or_b32 exec_lo, exec_lo, s13
	s_delay_alu instid0(SALU_CYCLE_1)
	s_and_b32 s11, s11, exec_lo
                                        ; implicit-def: $vgpr2_vgpr3
.LBB25_26:                              ;   in Loop: Header=BB25_17 Depth=1
	s_and_not1_saveexec_b32 s12, s12
	s_cbranch_execz .LBB25_30
; %bb.27:                               ;   in Loop: Header=BB25_17 Depth=1
	s_mov_b32 s14, s11
	s_mov_b32 s13, exec_lo
                                        ; implicit-def: $vgpr0
	v_cmpx_eq_u16_e32 44, v8
	s_cbranch_execz .LBB25_29
; %bb.28:                               ;   in Loop: Header=BB25_17 Depth=1
	flat_load_u8 v0, v[2:3]
	s_or_b32 s14, s11, exec_lo
	s_wait_loadcnt_dscnt 0x0
	v_lshlrev_b32_e32 v2, 23, v0
	v_cmp_ne_u32_e32 vcc_lo, 0xff, v0
	s_delay_alu instid0(VALU_DEP_2) | instskip(SKIP_1) | instid1(VALU_DEP_2)
	v_cndmask_b32_e32 v2, 0x7f800001, v2, vcc_lo
	v_cmp_ne_u32_e32 vcc_lo, 0, v0
	v_cndmask_b32_e32 v0, 0x400000, v2, vcc_lo
.LBB25_29:                              ;   in Loop: Header=BB25_17 Depth=1
	s_or_b32 exec_lo, exec_lo, s13
	s_delay_alu instid0(SALU_CYCLE_1) | instskip(SKIP_1) | instid1(SALU_CYCLE_1)
	s_and_not1_b32 s11, s11, exec_lo
	s_and_b32 s13, s14, exec_lo
	s_or_b32 s11, s11, s13
.LBB25_30:                              ;   in Loop: Header=BB25_17 Depth=1
	s_or_b32 exec_lo, exec_lo, s12
	s_delay_alu instid0(SALU_CYCLE_1)
	s_and_b32 s11, s11, exec_lo
                                        ; implicit-def: $vgpr2_vgpr3
.LBB25_31:                              ;   in Loop: Header=BB25_17 Depth=1
	s_and_not1_saveexec_b32 s9, s9
	s_cbranch_execz .LBB25_35
; %bb.32:                               ;   in Loop: Header=BB25_17 Depth=1
	s_mov_b32 s13, s11
	s_mov_b32 s12, exec_lo
                                        ; implicit-def: $vgpr0
	v_cmpx_eq_u16_e32 29, v8
	s_cbranch_execz .LBB25_34
; %bb.33:                               ;   in Loop: Header=BB25_17 Depth=1
	flat_load_b64 v[2:3], v[2:3]
	s_or_b32 s13, s11, exec_lo
	s_wait_loadcnt_dscnt 0x0
	v_clz_i32_u32_e32 v0, v3
	s_delay_alu instid0(VALU_DEP_1) | instskip(SKIP_1) | instid1(VALU_DEP_1)
	v_min_u32_e32 v0, 32, v0
	s_wait_xcnt 0x0
	v_lshlrev_b64_e32 v[2:3], v0, v[2:3]
	v_sub_nc_u32_e32 v0, 32, v0
	s_delay_alu instid0(VALU_DEP_2) | instskip(NEXT) | instid1(VALU_DEP_1)
	v_min_u32_e32 v2, 1, v2
	v_or_b32_e32 v2, v3, v2
	s_delay_alu instid0(VALU_DEP_1) | instskip(NEXT) | instid1(VALU_DEP_1)
	v_cvt_f32_u32_e32 v2, v2
	v_ldexp_f32 v0, v2, v0
.LBB25_34:                              ;   in Loop: Header=BB25_17 Depth=1
	s_or_b32 exec_lo, exec_lo, s12
	s_delay_alu instid0(SALU_CYCLE_1) | instskip(SKIP_1) | instid1(SALU_CYCLE_1)
	s_and_not1_b32 s11, s11, exec_lo
	s_and_b32 s12, s13, exec_lo
	s_or_b32 s11, s11, s12
.LBB25_35:                              ;   in Loop: Header=BB25_17 Depth=1
	s_or_b32 exec_lo, exec_lo, s9
	s_delay_alu instid0(SALU_CYCLE_1)
	s_and_b32 s9, s11, exec_lo
                                        ; implicit-def: $vgpr2_vgpr3
.LBB25_36:                              ;   in Loop: Header=BB25_17 Depth=1
	s_and_not1_saveexec_b32 s10, s10
	s_cbranch_execz .LBB25_50
; %bb.37:                               ;   in Loop: Header=BB25_17 Depth=1
	s_mov_b32 s11, exec_lo
                                        ; implicit-def: $vgpr0
	v_cmpx_lt_i16_e32 26, v8
	s_xor_b32 s11, exec_lo, s11
	s_cbranch_execz .LBB25_43
; %bb.38:                               ;   in Loop: Header=BB25_17 Depth=1
	s_mov_b32 s12, exec_lo
                                        ; implicit-def: $vgpr0
	v_cmpx_lt_i16_e32 27, v8
	s_xor_b32 s12, exec_lo, s12
	s_cbranch_execz .LBB25_40
; %bb.39:                               ;   in Loop: Header=BB25_17 Depth=1
	flat_load_b32 v0, v[2:3]
                                        ; implicit-def: $vgpr2_vgpr3
	s_wait_loadcnt_dscnt 0x0
	v_cvt_f32_u32_e32 v0, v0
.LBB25_40:                              ;   in Loop: Header=BB25_17 Depth=1
	s_wait_xcnt 0x0
	s_and_not1_saveexec_b32 s12, s12
	s_cbranch_execz .LBB25_42
; %bb.41:                               ;   in Loop: Header=BB25_17 Depth=1
	flat_load_u16 v0, v[2:3]
	s_wait_loadcnt_dscnt 0x0
	v_cvt_f32_u32_e32 v0, v0
.LBB25_42:                              ;   in Loop: Header=BB25_17 Depth=1
	s_wait_xcnt 0x0
	s_or_b32 exec_lo, exec_lo, s12
                                        ; implicit-def: $vgpr2_vgpr3
.LBB25_43:                              ;   in Loop: Header=BB25_17 Depth=1
	s_and_not1_saveexec_b32 s11, s11
	s_cbranch_execz .LBB25_49
; %bb.44:                               ;   in Loop: Header=BB25_17 Depth=1
	flat_load_u8 v2, v[2:3]
	s_mov_b32 s12, 0
	s_mov_b32 s13, exec_lo
	s_wait_loadcnt_dscnt 0x0
	v_cmpx_lt_i16_e32 0x7f, v2
	s_xor_b32 s13, exec_lo, s13
	s_cbranch_execnz .LBB25_2094
; %bb.45:                               ;   in Loop: Header=BB25_17 Depth=1
	s_or_saveexec_b32 s13, s13
	v_mov_b32_e32 v0, 0x7f800001
	s_xor_b32 exec_lo, exec_lo, s13
	s_cbranch_execnz .LBB25_2097
.LBB25_46:                              ;   in Loop: Header=BB25_17 Depth=1
	s_or_b32 exec_lo, exec_lo, s13
	s_and_saveexec_b32 s13, s12
	s_cbranch_execz .LBB25_48
.LBB25_47:                              ;   in Loop: Header=BB25_17 Depth=1
	v_and_b32_e32 v0, 0xffff, v2
	s_delay_alu instid0(VALU_DEP_1) | instskip(SKIP_1) | instid1(VALU_DEP_2)
	v_and_b32_e32 v3, 7, v0
	v_bfe_u32 v16, v0, 3, 4
	v_clz_i32_u32_e32 v14, v3
	s_delay_alu instid0(VALU_DEP_2) | instskip(NEXT) | instid1(VALU_DEP_2)
	v_cmp_eq_u32_e32 vcc_lo, 0, v16
	v_min_u32_e32 v14, 32, v14
	s_delay_alu instid0(VALU_DEP_1) | instskip(NEXT) | instid1(VALU_DEP_1)
	v_subrev_nc_u32_e32 v15, 28, v14
	v_dual_lshlrev_b32 v0, v15, v0 :: v_dual_sub_nc_u32 v14, 29, v14
	s_delay_alu instid0(VALU_DEP_1) | instskip(NEXT) | instid1(VALU_DEP_1)
	v_dual_lshlrev_b32 v2, 24, v2 :: v_dual_bitop2_b32 v0, 7, v0 bitop3:0x40
	v_dual_cndmask_b32 v0, v3, v0, vcc_lo :: v_dual_cndmask_b32 v14, v16, v14, vcc_lo
	s_delay_alu instid0(VALU_DEP_2) | instskip(NEXT) | instid1(VALU_DEP_2)
	v_and_b32_e32 v2, 0x80000000, v2
	v_lshlrev_b32_e32 v0, 20, v0
	s_delay_alu instid0(VALU_DEP_3) | instskip(NEXT) | instid1(VALU_DEP_1)
	v_lshl_add_u32 v3, v14, 23, 0x3b800000
	v_or3_b32 v0, v2, v3, v0
.LBB25_48:                              ;   in Loop: Header=BB25_17 Depth=1
	s_or_b32 exec_lo, exec_lo, s13
.LBB25_49:                              ;   in Loop: Header=BB25_17 Depth=1
	s_delay_alu instid0(SALU_CYCLE_1) | instskip(NEXT) | instid1(SALU_CYCLE_1)
	s_or_b32 exec_lo, exec_lo, s11
	s_or_b32 s9, s9, exec_lo
.LBB25_50:                              ;   in Loop: Header=BB25_17 Depth=1
	s_or_b32 exec_lo, exec_lo, s10
	s_delay_alu instid0(SALU_CYCLE_1)
	s_and_b32 s9, s9, exec_lo
                                        ; implicit-def: $vgpr2_vgpr3
.LBB25_51:                              ;   in Loop: Header=BB25_17 Depth=1
	s_and_not1_saveexec_b32 s8, s8
	s_cbranch_execz .LBB25_77
; %bb.52:                               ;   in Loop: Header=BB25_17 Depth=1
	s_mov_b32 s11, s9
	s_mov_b32 s10, exec_lo
                                        ; implicit-def: $vgpr0
	v_cmpx_lt_i16_e32 22, v8
	s_xor_b32 s10, exec_lo, s10
	s_cbranch_execz .LBB25_66
; %bb.53:                               ;   in Loop: Header=BB25_17 Depth=1
	s_mov_b32 s11, exec_lo
                                        ; implicit-def: $vgpr0
	v_cmpx_lt_i16_e32 23, v8
	s_xor_b32 s11, exec_lo, s11
	s_cbranch_execz .LBB25_63
; %bb.54:                               ;   in Loop: Header=BB25_17 Depth=1
	;; [unrolled: 6-line block ×3, first 2 shown]
	flat_load_u8 v2, v[2:3]
	s_mov_b32 s13, 0
	s_mov_b32 s14, exec_lo
	s_wait_loadcnt_dscnt 0x0
	v_cmpx_lt_i16_e32 0x7f, v2
	s_xor_b32 s14, exec_lo, s14
	s_cbranch_execnz .LBB25_2198
; %bb.56:                               ;   in Loop: Header=BB25_17 Depth=1
	s_or_saveexec_b32 s14, s14
	v_mov_b32_e32 v0, 0x7f800001
	s_xor_b32 exec_lo, exec_lo, s14
	s_cbranch_execnz .LBB25_2201
.LBB25_57:                              ;   in Loop: Header=BB25_17 Depth=1
	s_or_b32 exec_lo, exec_lo, s14
	s_and_saveexec_b32 s14, s13
	s_cbranch_execz .LBB25_59
.LBB25_58:                              ;   in Loop: Header=BB25_17 Depth=1
	v_and_b32_e32 v0, 0xffff, v2
	s_delay_alu instid0(VALU_DEP_1) | instskip(SKIP_1) | instid1(VALU_DEP_2)
	v_and_b32_e32 v3, 3, v0
	v_bfe_u32 v16, v0, 2, 5
	v_clz_i32_u32_e32 v14, v3
	s_delay_alu instid0(VALU_DEP_2) | instskip(NEXT) | instid1(VALU_DEP_2)
	v_cmp_eq_u32_e32 vcc_lo, 0, v16
	v_min_u32_e32 v14, 32, v14
	s_delay_alu instid0(VALU_DEP_1) | instskip(NEXT) | instid1(VALU_DEP_1)
	v_subrev_nc_u32_e32 v15, 29, v14
	v_dual_lshlrev_b32 v0, v15, v0 :: v_dual_sub_nc_u32 v14, 30, v14
	s_delay_alu instid0(VALU_DEP_1) | instskip(NEXT) | instid1(VALU_DEP_1)
	v_dual_lshlrev_b32 v2, 24, v2 :: v_dual_bitop2_b32 v0, 3, v0 bitop3:0x40
	v_dual_cndmask_b32 v0, v3, v0, vcc_lo :: v_dual_cndmask_b32 v14, v16, v14, vcc_lo
	s_delay_alu instid0(VALU_DEP_2) | instskip(NEXT) | instid1(VALU_DEP_2)
	v_and_b32_e32 v2, 0x80000000, v2
	v_lshlrev_b32_e32 v0, 21, v0
	s_delay_alu instid0(VALU_DEP_3) | instskip(NEXT) | instid1(VALU_DEP_1)
	v_lshl_add_u32 v3, v14, 23, 0x37800000
	v_or3_b32 v0, v2, v3, v0
.LBB25_59:                              ;   in Loop: Header=BB25_17 Depth=1
	s_or_b32 exec_lo, exec_lo, s14
                                        ; implicit-def: $vgpr2_vgpr3
.LBB25_60:                              ;   in Loop: Header=BB25_17 Depth=1
	s_and_not1_saveexec_b32 s12, s12
	s_cbranch_execz .LBB25_62
; %bb.61:                               ;   in Loop: Header=BB25_17 Depth=1
	flat_load_u8 v0, v[2:3]
	s_wait_loadcnt_dscnt 0x0
	v_lshlrev_b32_e32 v0, 24, v0
	s_wait_xcnt 0x0
	s_delay_alu instid0(VALU_DEP_1) | instskip(NEXT) | instid1(VALU_DEP_1)
	v_and_b32_e32 v2, 0x7f000000, v0
	v_clz_i32_u32_e32 v3, v2
	v_cmp_ne_u32_e32 vcc_lo, 0, v2
	v_add_nc_u32_e32 v15, 0x1000000, v2
	s_delay_alu instid0(VALU_DEP_3) | instskip(NEXT) | instid1(VALU_DEP_1)
	v_min_u32_e32 v3, 32, v3
	v_sub_nc_u32_e64 v3, v3, 4 clamp
	s_delay_alu instid0(VALU_DEP_1) | instskip(NEXT) | instid1(VALU_DEP_1)
	v_dual_lshlrev_b32 v14, v3, v2 :: v_dual_lshlrev_b32 v3, 23, v3
	v_lshrrev_b32_e32 v14, 4, v14
	s_delay_alu instid0(VALU_DEP_1) | instskip(SKIP_1) | instid1(VALU_DEP_2)
	v_sub_nc_u32_e32 v3, v14, v3
	v_ashrrev_i32_e32 v14, 8, v15
	v_add_nc_u32_e32 v3, 0x3c000000, v3
	s_delay_alu instid0(VALU_DEP_1) | instskip(NEXT) | instid1(VALU_DEP_1)
	v_and_or_b32 v3, 0x7f800000, v14, v3
	v_cndmask_b32_e32 v2, 0, v3, vcc_lo
	s_delay_alu instid0(VALU_DEP_1)
	v_and_or_b32 v0, 0x80000000, v0, v2
.LBB25_62:                              ;   in Loop: Header=BB25_17 Depth=1
	s_or_b32 exec_lo, exec_lo, s12
                                        ; implicit-def: $vgpr2_vgpr3
.LBB25_63:                              ;   in Loop: Header=BB25_17 Depth=1
	s_and_not1_saveexec_b32 s11, s11
	s_cbranch_execz .LBB25_65
; %bb.64:                               ;   in Loop: Header=BB25_17 Depth=1
	flat_load_u8 v0, v[2:3]
	s_wait_loadcnt_dscnt 0x0
	v_lshlrev_b32_e32 v2, 25, v0
	v_lshlrev_b16 v0, 8, v0
	s_delay_alu instid0(VALU_DEP_1) | instskip(SKIP_1) | instid1(VALU_DEP_2)
	v_and_or_b32 v14, 0x7f00, v0, 0.5
	v_bfe_i32 v0, v0, 0, 16
	v_add_f32_e32 v14, -0.5, v14
	v_lshrrev_b32_e32 v3, 4, v2
	v_cmp_gt_u32_e32 vcc_lo, 0x8000000, v2
	s_delay_alu instid0(VALU_DEP_2) | instskip(NEXT) | instid1(VALU_DEP_1)
	v_or_b32_e32 v3, 0x70000000, v3
	v_mul_f32_e32 v3, 0x7800000, v3
	s_delay_alu instid0(VALU_DEP_1) | instskip(NEXT) | instid1(VALU_DEP_1)
	v_cndmask_b32_e32 v2, v3, v14, vcc_lo
	v_and_or_b32 v0, 0x80000000, v0, v2
.LBB25_65:                              ;   in Loop: Header=BB25_17 Depth=1
	s_or_b32 exec_lo, exec_lo, s11
	s_delay_alu instid0(SALU_CYCLE_1)
	s_or_b32 s11, s9, exec_lo
                                        ; implicit-def: $vgpr2_vgpr3
.LBB25_66:                              ;   in Loop: Header=BB25_17 Depth=1
	s_and_not1_saveexec_b32 s10, s10
	s_cbranch_execz .LBB25_76
; %bb.67:                               ;   in Loop: Header=BB25_17 Depth=1
	s_mov_b32 s12, s11
	s_mov_b32 s13, exec_lo
                                        ; implicit-def: $vgpr0
	v_cmpx_lt_i16_e32 14, v8
	s_xor_b32 s13, exec_lo, s13
	s_cbranch_execz .LBB25_71
; %bb.68:                               ;   in Loop: Header=BB25_17 Depth=1
	s_mov_b32 s12, s11
	s_mov_b32 s14, exec_lo
                                        ; implicit-def: $vgpr0
	v_cmpx_eq_u16_e32 15, v8
	s_cbranch_execz .LBB25_70
; %bb.69:                               ;   in Loop: Header=BB25_17 Depth=1
	flat_load_u16 v0, v[2:3]
	s_or_b32 s12, s11, exec_lo
	s_wait_loadcnt_dscnt 0x0
	v_lshlrev_b32_e32 v0, 16, v0
.LBB25_70:                              ;   in Loop: Header=BB25_17 Depth=1
	s_wait_xcnt 0x0
	s_or_b32 exec_lo, exec_lo, s14
	s_delay_alu instid0(SALU_CYCLE_1) | instskip(SKIP_1) | instid1(SALU_CYCLE_1)
	s_and_not1_b32 s14, s11, exec_lo
	s_and_b32 s12, s12, exec_lo
                                        ; implicit-def: $vgpr2_vgpr3
	s_or_b32 s12, s14, s12
.LBB25_71:                              ;   in Loop: Header=BB25_17 Depth=1
	s_and_not1_saveexec_b32 s13, s13
	s_cbranch_execz .LBB25_75
; %bb.72:                               ;   in Loop: Header=BB25_17 Depth=1
	s_mov_b32 s14, s12
	s_mov_b32 s15, exec_lo
                                        ; implicit-def: $vgpr0
	v_cmpx_eq_u16_e32 11, v8
	s_cbranch_execz .LBB25_74
; %bb.73:                               ;   in Loop: Header=BB25_17 Depth=1
	flat_load_u8 v0, v[2:3]
	s_or_b32 s14, s12, exec_lo
	s_wait_loadcnt_dscnt 0x0
	v_cmp_ne_u16_e32 vcc_lo, 0, v0
	v_cndmask_b32_e64 v0, 0, 1.0, vcc_lo
.LBB25_74:                              ;   in Loop: Header=BB25_17 Depth=1
	s_wait_xcnt 0x0
	s_or_b32 exec_lo, exec_lo, s15
	s_delay_alu instid0(SALU_CYCLE_1) | instskip(SKIP_1) | instid1(SALU_CYCLE_1)
	s_and_not1_b32 s12, s12, exec_lo
	s_and_b32 s14, s14, exec_lo
	s_or_b32 s12, s12, s14
.LBB25_75:                              ;   in Loop: Header=BB25_17 Depth=1
	s_or_b32 exec_lo, exec_lo, s13
	s_delay_alu instid0(SALU_CYCLE_1) | instskip(SKIP_1) | instid1(SALU_CYCLE_1)
	s_and_not1_b32 s11, s11, exec_lo
	s_and_b32 s12, s12, exec_lo
	s_or_b32 s11, s11, s12
.LBB25_76:                              ;   in Loop: Header=BB25_17 Depth=1
	s_or_b32 exec_lo, exec_lo, s10
	s_delay_alu instid0(SALU_CYCLE_1) | instskip(SKIP_1) | instid1(SALU_CYCLE_1)
	s_and_not1_b32 s9, s9, exec_lo
	s_and_b32 s10, s11, exec_lo
	s_or_b32 s9, s9, s10
.LBB25_77:                              ;   in Loop: Header=BB25_17 Depth=1
	s_or_b32 exec_lo, exec_lo, s8
	s_delay_alu instid0(SALU_CYCLE_1)
	s_and_b32 s8, s9, exec_lo
                                        ; implicit-def: $vgpr2_vgpr3
.LBB25_78:                              ;   in Loop: Header=BB25_17 Depth=1
	s_and_not1_saveexec_b32 s7, s7
	s_cbranch_execz .LBB25_120
; %bb.79:                               ;   in Loop: Header=BB25_17 Depth=1
	s_mov_b32 s9, exec_lo
                                        ; implicit-def: $vgpr0
	v_cmpx_lt_i16_e32 4, v8
	s_xor_b32 s9, exec_lo, s9
	s_cbranch_execz .LBB25_101
; %bb.80:                               ;   in Loop: Header=BB25_17 Depth=1
	s_mov_b32 s10, exec_lo
                                        ; implicit-def: $vgpr0
	v_cmpx_lt_i16_e32 7, v8
	s_xor_b32 s10, exec_lo, s10
	;; [unrolled: 6-line block ×4, first 2 shown]
	s_cbranch_execz .LBB25_84
; %bb.83:                               ;   in Loop: Header=BB25_17 Depth=1
	flat_load_b64 v[2:3], v[2:3]
	s_wait_loadcnt_dscnt 0x0
	v_cvt_f32_f64_e32 v0, v[2:3]
                                        ; implicit-def: $vgpr2_vgpr3
.LBB25_84:                              ;   in Loop: Header=BB25_17 Depth=1
	s_wait_xcnt 0x0
	s_and_not1_saveexec_b32 s12, s12
	s_cbranch_execz .LBB25_86
; %bb.85:                               ;   in Loop: Header=BB25_17 Depth=1
	flat_load_b32 v0, v[2:3]
.LBB25_86:                              ;   in Loop: Header=BB25_17 Depth=1
	s_wait_xcnt 0x0
	s_or_b32 exec_lo, exec_lo, s12
                                        ; implicit-def: $vgpr2_vgpr3
.LBB25_87:                              ;   in Loop: Header=BB25_17 Depth=1
	s_and_not1_saveexec_b32 s11, s11
	s_cbranch_execz .LBB25_89
; %bb.88:                               ;   in Loop: Header=BB25_17 Depth=1
	s_wait_loadcnt_dscnt 0x0
	flat_load_b32 v0, v[2:3]
	s_wait_loadcnt_dscnt 0x0
	v_cvt_f32_f16_e32 v0, v0
.LBB25_89:                              ;   in Loop: Header=BB25_17 Depth=1
	s_wait_xcnt 0x0
	s_or_b32 exec_lo, exec_lo, s11
                                        ; implicit-def: $vgpr2_vgpr3
.LBB25_90:                              ;   in Loop: Header=BB25_17 Depth=1
	s_and_not1_saveexec_b32 s10, s10
	s_cbranch_execz .LBB25_100
; %bb.91:                               ;   in Loop: Header=BB25_17 Depth=1
	s_mov_b32 s11, exec_lo
                                        ; implicit-def: $vgpr0
	v_cmpx_lt_i16_e32 5, v8
	s_xor_b32 s11, exec_lo, s11
	s_cbranch_execz .LBB25_97
; %bb.92:                               ;   in Loop: Header=BB25_17 Depth=1
	s_mov_b32 s12, exec_lo
                                        ; implicit-def: $vgpr0
	v_cmpx_lt_i16_e32 6, v8
	s_xor_b32 s12, exec_lo, s12
	s_cbranch_execz .LBB25_94
; %bb.93:                               ;   in Loop: Header=BB25_17 Depth=1
	flat_load_b64 v[2:3], v[2:3]
	s_wait_loadcnt_dscnt 0x0
	v_cvt_f32_f64_e32 v0, v[2:3]
                                        ; implicit-def: $vgpr2_vgpr3
.LBB25_94:                              ;   in Loop: Header=BB25_17 Depth=1
	s_wait_xcnt 0x0
	s_and_not1_saveexec_b32 s12, s12
	s_cbranch_execz .LBB25_96
; %bb.95:                               ;   in Loop: Header=BB25_17 Depth=1
	s_wait_loadcnt_dscnt 0x0
	flat_load_b32 v0, v[2:3]
.LBB25_96:                              ;   in Loop: Header=BB25_17 Depth=1
	s_wait_xcnt 0x0
	s_or_b32 exec_lo, exec_lo, s12
                                        ; implicit-def: $vgpr2_vgpr3
.LBB25_97:                              ;   in Loop: Header=BB25_17 Depth=1
	s_and_not1_saveexec_b32 s11, s11
	s_cbranch_execz .LBB25_99
; %bb.98:                               ;   in Loop: Header=BB25_17 Depth=1
	s_wait_loadcnt_dscnt 0x0
	flat_load_u16 v0, v[2:3]
	s_wait_loadcnt_dscnt 0x0
	v_cvt_f32_f16_e32 v0, v0
.LBB25_99:                              ;   in Loop: Header=BB25_17 Depth=1
	s_wait_xcnt 0x0
	s_or_b32 exec_lo, exec_lo, s11
.LBB25_100:                             ;   in Loop: Header=BB25_17 Depth=1
	s_delay_alu instid0(SALU_CYCLE_1)
	s_or_b32 exec_lo, exec_lo, s10
                                        ; implicit-def: $vgpr2_vgpr3
.LBB25_101:                             ;   in Loop: Header=BB25_17 Depth=1
	s_and_not1_saveexec_b32 s9, s9
	s_cbranch_execz .LBB25_119
; %bb.102:                              ;   in Loop: Header=BB25_17 Depth=1
	s_mov_b32 s10, exec_lo
                                        ; implicit-def: $vgpr0
	v_cmpx_lt_i16_e32 1, v8
	s_xor_b32 s10, exec_lo, s10
	s_cbranch_execz .LBB25_112
; %bb.103:                              ;   in Loop: Header=BB25_17 Depth=1
	s_mov_b32 s11, exec_lo
                                        ; implicit-def: $vgpr0
	v_cmpx_lt_i16_e32 2, v8
	s_xor_b32 s11, exec_lo, s11
	;; [unrolled: 6-line block ×3, first 2 shown]
	s_cbranch_execz .LBB25_106
; %bb.105:                              ;   in Loop: Header=BB25_17 Depth=1
	flat_load_b64 v[2:3], v[2:3]
	s_wait_loadcnt_dscnt 0x0
	v_xor_b32_e32 v0, v2, v3
	v_cls_i32_e32 v14, v3
	s_delay_alu instid0(VALU_DEP_2) | instskip(NEXT) | instid1(VALU_DEP_1)
	v_ashrrev_i32_e32 v0, 31, v0
	v_add_nc_u32_e32 v0, 32, v0
	s_delay_alu instid0(VALU_DEP_1) | instskip(SKIP_1) | instid1(VALU_DEP_1)
	v_add_min_u32_e64 v0, v14, -1, v0
	s_wait_xcnt 0x0
	v_lshlrev_b64_e32 v[2:3], v0, v[2:3]
	v_sub_nc_u32_e32 v0, 32, v0
	s_delay_alu instid0(VALU_DEP_2) | instskip(NEXT) | instid1(VALU_DEP_1)
	v_min_u32_e32 v2, 1, v2
	v_or_b32_e32 v2, v3, v2
	s_delay_alu instid0(VALU_DEP_1) | instskip(NEXT) | instid1(VALU_DEP_1)
	v_cvt_f32_i32_e32 v2, v2
	v_ldexp_f32 v0, v2, v0
                                        ; implicit-def: $vgpr2_vgpr3
.LBB25_106:                             ;   in Loop: Header=BB25_17 Depth=1
	s_and_not1_saveexec_b32 s12, s12
	s_cbranch_execz .LBB25_108
; %bb.107:                              ;   in Loop: Header=BB25_17 Depth=1
	s_wait_loadcnt_dscnt 0x0
	flat_load_b32 v0, v[2:3]
	s_wait_loadcnt_dscnt 0x0
	v_cvt_f32_i32_e32 v0, v0
.LBB25_108:                             ;   in Loop: Header=BB25_17 Depth=1
	s_wait_xcnt 0x0
	s_or_b32 exec_lo, exec_lo, s12
                                        ; implicit-def: $vgpr2_vgpr3
.LBB25_109:                             ;   in Loop: Header=BB25_17 Depth=1
	s_and_not1_saveexec_b32 s11, s11
	s_cbranch_execz .LBB25_111
; %bb.110:                              ;   in Loop: Header=BB25_17 Depth=1
	s_wait_loadcnt_dscnt 0x0
	flat_load_i16 v0, v[2:3]
	s_wait_loadcnt_dscnt 0x0
	v_cvt_f32_i32_e32 v0, v0
.LBB25_111:                             ;   in Loop: Header=BB25_17 Depth=1
	s_wait_xcnt 0x0
	s_or_b32 exec_lo, exec_lo, s11
                                        ; implicit-def: $vgpr2_vgpr3
.LBB25_112:                             ;   in Loop: Header=BB25_17 Depth=1
	s_and_not1_saveexec_b32 s10, s10
	s_cbranch_execz .LBB25_118
; %bb.113:                              ;   in Loop: Header=BB25_17 Depth=1
	s_mov_b32 s11, exec_lo
                                        ; implicit-def: $vgpr0
	v_cmpx_lt_i16_e32 0, v8
	s_xor_b32 s11, exec_lo, s11
	s_cbranch_execz .LBB25_115
; %bb.114:                              ;   in Loop: Header=BB25_17 Depth=1
	s_wait_loadcnt_dscnt 0x0
	flat_load_i8 v0, v[2:3]
                                        ; implicit-def: $vgpr2_vgpr3
	s_wait_loadcnt_dscnt 0x0
	v_cvt_f32_i32_e32 v0, v0
.LBB25_115:                             ;   in Loop: Header=BB25_17 Depth=1
	s_wait_xcnt 0x0
	s_and_not1_saveexec_b32 s11, s11
	s_cbranch_execz .LBB25_117
; %bb.116:                              ;   in Loop: Header=BB25_17 Depth=1
	s_wait_loadcnt_dscnt 0x0
	flat_load_u8 v0, v[2:3]
	s_wait_loadcnt_dscnt 0x0
	v_cvt_f32_ubyte0_e32 v0, v0
.LBB25_117:                             ;   in Loop: Header=BB25_17 Depth=1
	s_wait_xcnt 0x0
	s_or_b32 exec_lo, exec_lo, s11
.LBB25_118:                             ;   in Loop: Header=BB25_17 Depth=1
	s_delay_alu instid0(SALU_CYCLE_1)
	s_or_b32 exec_lo, exec_lo, s10
.LBB25_119:                             ;   in Loop: Header=BB25_17 Depth=1
	s_delay_alu instid0(SALU_CYCLE_1) | instskip(NEXT) | instid1(SALU_CYCLE_1)
	s_or_b32 exec_lo, exec_lo, s9
	s_or_b32 s8, s8, exec_lo
.LBB25_120:                             ;   in Loop: Header=BB25_17 Depth=1
	s_or_b32 exec_lo, exec_lo, s7
	s_mov_b32 s9, -1
	s_mov_b32 s11, 0
	s_mov_b32 s10, 0
	s_and_saveexec_b32 s7, s8
	s_cbranch_execz .LBB25_126
; %bb.121:                              ;   in Loop: Header=BB25_17 Depth=1
	s_add_co_i32 s8, s33, s1
	s_mov_b32 s9, exec_lo
	s_add_co_i32 s8, s8, 16
	s_wait_loadcnt_dscnt 0x0
	scratch_store_b32 off, v0, s8 offset:4
	s_wait_xcnt 0x0
	v_mul_lo_u32 v0, v13, v11
	v_and_b32_e32 v13, 0xff, v9
	s_delay_alu instid0(VALU_DEP_2) | instskip(NEXT) | instid1(VALU_DEP_2)
	v_add_nc_u64_e32 v[2:3], v[6:7], v[0:1]
                                        ; implicit-def: $vgpr0
	v_cmpx_lt_i16_e32 10, v13
	s_xor_b32 s9, exec_lo, s9
	s_cbranch_execnz .LBB25_1794
; %bb.122:                              ;   in Loop: Header=BB25_17 Depth=1
	s_and_not1_saveexec_b32 s9, s9
	s_cbranch_execnz .LBB25_1853
.LBB25_123:                             ;   in Loop: Header=BB25_17 Depth=1
	s_or_b32 exec_lo, exec_lo, s9
	s_mov_b32 s11, 0
	s_and_saveexec_b32 s9, s10
	s_cbranch_execz .LBB25_125
.LBB25_124:                             ;   in Loop: Header=BB25_17 Depth=1
	v_add_nc_u32_e32 v12, 0x200, v12
	s_mov_b32 s11, exec_lo
	s_wait_loadcnt_dscnt 0x0
	scratch_store_b32 off, v0, s8
.LBB25_125:                             ;   in Loop: Header=BB25_17 Depth=1
	s_wait_xcnt 0x0
	s_or_b32 exec_lo, exec_lo, s9
	s_delay_alu instid0(SALU_CYCLE_1)
	s_mov_b32 s10, exec_lo
	s_xor_b32 s9, exec_lo, -1
	s_and_b32 s11, s11, exec_lo
.LBB25_126:                             ;   in Loop: Header=BB25_17 Depth=1
	s_or_b32 exec_lo, exec_lo, s7
	s_delay_alu instid0(SALU_CYCLE_1)
	s_or_not1_b32 s7, s11, exec_lo
.LBB25_127:                             ;   in Loop: Header=BB25_17 Depth=1
	s_or_b32 exec_lo, exec_lo, s6
	s_delay_alu instid0(SALU_CYCLE_1)
	s_and_not1_b32 s5, s5, exec_lo
	s_and_b32 s6, s10, exec_lo
	s_and_not1_b32 s4, s4, exec_lo
	s_and_b32 s9, s9, exec_lo
	s_mov_b32 s8, -1
	s_or_b32 s5, s5, s6
	s_or_b32 s4, s4, s9
	s_and_saveexec_b32 s6, s7
	s_cbranch_execz .LBB25_16
; %bb.128:                              ;   in Loop: Header=BB25_17 Depth=1
	s_mov_b32 s10, -1
	s_mov_b32 s11, -1
	s_mov_b32 s9, exec_lo
                                        ; implicit-def: $sgpr7
                                        ; implicit-def: $sgpr8
	v_cmpx_lt_i32_e64 v12, v211
	s_cbranch_execz .LBB25_238
; %bb.129:                              ;   in Loop: Header=BB25_17 Depth=1
	v_add_nc_u32_e32 v13, s60, v12
	s_mov_b32 s12, 0
	s_mov_b32 s7, exec_lo
	s_wait_loadcnt_dscnt 0x0
	s_delay_alu instid0(VALU_DEP_1) | instskip(NEXT) | instid1(VALU_DEP_1)
	v_mul_lo_u32 v0, v13, v10
	v_add_nc_u64_e32 v[2:3], v[4:5], v[0:1]
                                        ; implicit-def: $vgpr0
	v_cmpx_lt_i16_e32 10, v8
	s_xor_b32 s7, exec_lo, s7
	s_cbranch_execz .LBB25_189
; %bb.130:                              ;   in Loop: Header=BB25_17 Depth=1
	s_mov_b32 s11, 0
	s_mov_b32 s8, exec_lo
                                        ; implicit-def: $vgpr0
	v_cmpx_lt_i16_e32 25, v8
	s_xor_b32 s8, exec_lo, s8
	s_cbranch_execz .LBB25_162
; %bb.131:                              ;   in Loop: Header=BB25_17 Depth=1
	s_mov_b32 s12, exec_lo
                                        ; implicit-def: $vgpr0
	v_cmpx_lt_i16_e32 28, v8
	s_xor_b32 s12, exec_lo, s12
	s_cbranch_execz .LBB25_147
; %bb.132:                              ;   in Loop: Header=BB25_17 Depth=1
	s_mov_b32 s13, 0
	s_mov_b32 s11, exec_lo
                                        ; implicit-def: $vgpr0
	v_cmpx_lt_i16_e32 43, v8
	s_xor_b32 s11, exec_lo, s11
	s_cbranch_execz .LBB25_142
; %bb.133:                              ;   in Loop: Header=BB25_17 Depth=1
	s_mov_b32 s14, exec_lo
                                        ; implicit-def: $vgpr0
	v_cmpx_lt_i16_e32 45, v8
	s_xor_b32 s14, exec_lo, s14
	s_cbranch_execz .LBB25_137
; %bb.134:                              ;   in Loop: Header=BB25_17 Depth=1
	s_mov_b32 s15, exec_lo
                                        ; implicit-def: $vgpr0
	v_cmpx_eq_u16_e32 46, v8
	s_cbranch_execz .LBB25_136
; %bb.135:                              ;   in Loop: Header=BB25_17 Depth=1
	flat_load_b32 v0, v[2:3]
	s_mov_b32 s13, exec_lo
	s_wait_loadcnt_dscnt 0x0
	v_lshlrev_b32_e32 v0, 16, v0
.LBB25_136:                             ;   in Loop: Header=BB25_17 Depth=1
	s_wait_xcnt 0x0
	s_or_b32 exec_lo, exec_lo, s15
	s_delay_alu instid0(SALU_CYCLE_1)
	s_and_b32 s13, s13, exec_lo
                                        ; implicit-def: $vgpr2_vgpr3
.LBB25_137:                             ;   in Loop: Header=BB25_17 Depth=1
	s_and_not1_saveexec_b32 s14, s14
	s_cbranch_execz .LBB25_141
; %bb.138:                              ;   in Loop: Header=BB25_17 Depth=1
	s_mov_b32 s16, s13
	s_mov_b32 s15, exec_lo
                                        ; implicit-def: $vgpr0
	v_cmpx_eq_u16_e32 44, v8
	s_cbranch_execz .LBB25_140
; %bb.139:                              ;   in Loop: Header=BB25_17 Depth=1
	flat_load_u8 v0, v[2:3]
	s_or_b32 s16, s13, exec_lo
	s_wait_loadcnt_dscnt 0x0
	v_lshlrev_b32_e32 v2, 23, v0
	v_cmp_ne_u32_e32 vcc_lo, 0xff, v0
	s_delay_alu instid0(VALU_DEP_2) | instskip(SKIP_1) | instid1(VALU_DEP_2)
	v_cndmask_b32_e32 v2, 0x7f800001, v2, vcc_lo
	v_cmp_ne_u32_e32 vcc_lo, 0, v0
	v_cndmask_b32_e32 v0, 0x400000, v2, vcc_lo
.LBB25_140:                             ;   in Loop: Header=BB25_17 Depth=1
	s_or_b32 exec_lo, exec_lo, s15
	s_delay_alu instid0(SALU_CYCLE_1) | instskip(SKIP_1) | instid1(SALU_CYCLE_1)
	s_and_not1_b32 s13, s13, exec_lo
	s_and_b32 s15, s16, exec_lo
	s_or_b32 s13, s13, s15
.LBB25_141:                             ;   in Loop: Header=BB25_17 Depth=1
	s_or_b32 exec_lo, exec_lo, s14
	s_delay_alu instid0(SALU_CYCLE_1)
	s_and_b32 s13, s13, exec_lo
                                        ; implicit-def: $vgpr2_vgpr3
.LBB25_142:                             ;   in Loop: Header=BB25_17 Depth=1
	s_and_not1_saveexec_b32 s11, s11
	s_cbranch_execz .LBB25_146
; %bb.143:                              ;   in Loop: Header=BB25_17 Depth=1
	s_mov_b32 s15, s13
	s_mov_b32 s14, exec_lo
                                        ; implicit-def: $vgpr0
	v_cmpx_eq_u16_e32 29, v8
	s_cbranch_execz .LBB25_145
; %bb.144:                              ;   in Loop: Header=BB25_17 Depth=1
	flat_load_b64 v[2:3], v[2:3]
	s_or_b32 s15, s13, exec_lo
	s_wait_loadcnt_dscnt 0x0
	v_clz_i32_u32_e32 v0, v3
	s_delay_alu instid0(VALU_DEP_1) | instskip(SKIP_1) | instid1(VALU_DEP_1)
	v_min_u32_e32 v0, 32, v0
	s_wait_xcnt 0x0
	v_lshlrev_b64_e32 v[2:3], v0, v[2:3]
	v_sub_nc_u32_e32 v0, 32, v0
	s_delay_alu instid0(VALU_DEP_2) | instskip(NEXT) | instid1(VALU_DEP_1)
	v_min_u32_e32 v2, 1, v2
	v_or_b32_e32 v2, v3, v2
	s_delay_alu instid0(VALU_DEP_1) | instskip(NEXT) | instid1(VALU_DEP_1)
	v_cvt_f32_u32_e32 v2, v2
	v_ldexp_f32 v0, v2, v0
.LBB25_145:                             ;   in Loop: Header=BB25_17 Depth=1
	s_or_b32 exec_lo, exec_lo, s14
	s_delay_alu instid0(SALU_CYCLE_1) | instskip(SKIP_1) | instid1(SALU_CYCLE_1)
	s_and_not1_b32 s13, s13, exec_lo
	s_and_b32 s14, s15, exec_lo
	s_or_b32 s13, s13, s14
.LBB25_146:                             ;   in Loop: Header=BB25_17 Depth=1
	s_or_b32 exec_lo, exec_lo, s11
	s_delay_alu instid0(SALU_CYCLE_1)
	s_and_b32 s11, s13, exec_lo
                                        ; implicit-def: $vgpr2_vgpr3
.LBB25_147:                             ;   in Loop: Header=BB25_17 Depth=1
	s_and_not1_saveexec_b32 s12, s12
	s_cbranch_execz .LBB25_161
; %bb.148:                              ;   in Loop: Header=BB25_17 Depth=1
	s_mov_b32 s13, exec_lo
                                        ; implicit-def: $vgpr0
	v_cmpx_lt_i16_e32 26, v8
	s_xor_b32 s13, exec_lo, s13
	s_cbranch_execz .LBB25_154
; %bb.149:                              ;   in Loop: Header=BB25_17 Depth=1
	s_mov_b32 s14, exec_lo
                                        ; implicit-def: $vgpr0
	v_cmpx_lt_i16_e32 27, v8
	s_xor_b32 s14, exec_lo, s14
	s_cbranch_execz .LBB25_151
; %bb.150:                              ;   in Loop: Header=BB25_17 Depth=1
	flat_load_b32 v0, v[2:3]
                                        ; implicit-def: $vgpr2_vgpr3
	s_wait_loadcnt_dscnt 0x0
	v_cvt_f32_u32_e32 v0, v0
.LBB25_151:                             ;   in Loop: Header=BB25_17 Depth=1
	s_wait_xcnt 0x0
	s_and_not1_saveexec_b32 s14, s14
	s_cbranch_execz .LBB25_153
; %bb.152:                              ;   in Loop: Header=BB25_17 Depth=1
	flat_load_u16 v0, v[2:3]
	s_wait_loadcnt_dscnt 0x0
	v_cvt_f32_u32_e32 v0, v0
.LBB25_153:                             ;   in Loop: Header=BB25_17 Depth=1
	s_wait_xcnt 0x0
	s_or_b32 exec_lo, exec_lo, s14
                                        ; implicit-def: $vgpr2_vgpr3
.LBB25_154:                             ;   in Loop: Header=BB25_17 Depth=1
	s_and_not1_saveexec_b32 s13, s13
	s_cbranch_execz .LBB25_160
; %bb.155:                              ;   in Loop: Header=BB25_17 Depth=1
	flat_load_u8 v2, v[2:3]
	s_mov_b32 s14, 0
	s_mov_b32 s15, exec_lo
	s_wait_loadcnt_dscnt 0x0
	v_cmpx_lt_i16_e32 0x7f, v2
	s_xor_b32 s15, exec_lo, s15
	s_cbranch_execnz .LBB25_2202
; %bb.156:                              ;   in Loop: Header=BB25_17 Depth=1
	s_or_saveexec_b32 s15, s15
	v_mov_b32_e32 v0, 0x7f800001
	s_xor_b32 exec_lo, exec_lo, s15
	s_cbranch_execnz .LBB25_2205
.LBB25_157:                             ;   in Loop: Header=BB25_17 Depth=1
	s_or_b32 exec_lo, exec_lo, s15
	s_and_saveexec_b32 s15, s14
	s_cbranch_execz .LBB25_159
.LBB25_158:                             ;   in Loop: Header=BB25_17 Depth=1
	v_and_b32_e32 v0, 0xffff, v2
	s_delay_alu instid0(VALU_DEP_1) | instskip(SKIP_1) | instid1(VALU_DEP_2)
	v_and_b32_e32 v3, 7, v0
	v_bfe_u32 v16, v0, 3, 4
	v_clz_i32_u32_e32 v14, v3
	s_delay_alu instid0(VALU_DEP_2) | instskip(NEXT) | instid1(VALU_DEP_2)
	v_cmp_eq_u32_e32 vcc_lo, 0, v16
	v_min_u32_e32 v14, 32, v14
	s_delay_alu instid0(VALU_DEP_1) | instskip(NEXT) | instid1(VALU_DEP_1)
	v_subrev_nc_u32_e32 v15, 28, v14
	v_dual_lshlrev_b32 v0, v15, v0 :: v_dual_sub_nc_u32 v14, 29, v14
	s_delay_alu instid0(VALU_DEP_1) | instskip(NEXT) | instid1(VALU_DEP_1)
	v_dual_lshlrev_b32 v2, 24, v2 :: v_dual_bitop2_b32 v0, 7, v0 bitop3:0x40
	v_dual_cndmask_b32 v0, v3, v0, vcc_lo :: v_dual_cndmask_b32 v14, v16, v14, vcc_lo
	s_delay_alu instid0(VALU_DEP_2) | instskip(NEXT) | instid1(VALU_DEP_2)
	v_and_b32_e32 v2, 0x80000000, v2
	v_lshlrev_b32_e32 v0, 20, v0
	s_delay_alu instid0(VALU_DEP_3) | instskip(NEXT) | instid1(VALU_DEP_1)
	v_lshl_add_u32 v3, v14, 23, 0x3b800000
	v_or3_b32 v0, v2, v3, v0
.LBB25_159:                             ;   in Loop: Header=BB25_17 Depth=1
	s_or_b32 exec_lo, exec_lo, s15
.LBB25_160:                             ;   in Loop: Header=BB25_17 Depth=1
	s_delay_alu instid0(SALU_CYCLE_1) | instskip(NEXT) | instid1(SALU_CYCLE_1)
	s_or_b32 exec_lo, exec_lo, s13
	s_or_b32 s11, s11, exec_lo
.LBB25_161:                             ;   in Loop: Header=BB25_17 Depth=1
	s_or_b32 exec_lo, exec_lo, s12
	s_delay_alu instid0(SALU_CYCLE_1)
	s_and_b32 s11, s11, exec_lo
                                        ; implicit-def: $vgpr2_vgpr3
.LBB25_162:                             ;   in Loop: Header=BB25_17 Depth=1
	s_and_not1_saveexec_b32 s8, s8
	s_cbranch_execz .LBB25_188
; %bb.163:                              ;   in Loop: Header=BB25_17 Depth=1
	s_mov_b32 s13, s11
	s_mov_b32 s12, exec_lo
                                        ; implicit-def: $vgpr0
	v_cmpx_lt_i16_e32 22, v8
	s_xor_b32 s12, exec_lo, s12
	s_cbranch_execz .LBB25_177
; %bb.164:                              ;   in Loop: Header=BB25_17 Depth=1
	s_mov_b32 s13, exec_lo
                                        ; implicit-def: $vgpr0
	v_cmpx_lt_i16_e32 23, v8
	s_xor_b32 s13, exec_lo, s13
	s_cbranch_execz .LBB25_174
; %bb.165:                              ;   in Loop: Header=BB25_17 Depth=1
	;; [unrolled: 6-line block ×3, first 2 shown]
	flat_load_u8 v2, v[2:3]
	s_mov_b32 s15, 0
	s_mov_b32 s16, exec_lo
	s_wait_loadcnt_dscnt 0x0
	v_cmpx_lt_i16_e32 0x7f, v2
	s_xor_b32 s16, exec_lo, s16
	s_cbranch_execnz .LBB25_2310
; %bb.167:                              ;   in Loop: Header=BB25_17 Depth=1
	s_or_saveexec_b32 s16, s16
	v_mov_b32_e32 v0, 0x7f800001
	s_xor_b32 exec_lo, exec_lo, s16
	s_cbranch_execnz .LBB25_2313
.LBB25_168:                             ;   in Loop: Header=BB25_17 Depth=1
	s_or_b32 exec_lo, exec_lo, s16
	s_and_saveexec_b32 s16, s15
	s_cbranch_execz .LBB25_170
.LBB25_169:                             ;   in Loop: Header=BB25_17 Depth=1
	v_and_b32_e32 v0, 0xffff, v2
	s_delay_alu instid0(VALU_DEP_1) | instskip(SKIP_1) | instid1(VALU_DEP_2)
	v_and_b32_e32 v3, 3, v0
	v_bfe_u32 v16, v0, 2, 5
	v_clz_i32_u32_e32 v14, v3
	s_delay_alu instid0(VALU_DEP_2) | instskip(NEXT) | instid1(VALU_DEP_2)
	v_cmp_eq_u32_e32 vcc_lo, 0, v16
	v_min_u32_e32 v14, 32, v14
	s_delay_alu instid0(VALU_DEP_1) | instskip(NEXT) | instid1(VALU_DEP_1)
	v_subrev_nc_u32_e32 v15, 29, v14
	v_dual_lshlrev_b32 v0, v15, v0 :: v_dual_sub_nc_u32 v14, 30, v14
	s_delay_alu instid0(VALU_DEP_1) | instskip(NEXT) | instid1(VALU_DEP_1)
	v_dual_lshlrev_b32 v2, 24, v2 :: v_dual_bitop2_b32 v0, 3, v0 bitop3:0x40
	v_dual_cndmask_b32 v0, v3, v0, vcc_lo :: v_dual_cndmask_b32 v14, v16, v14, vcc_lo
	s_delay_alu instid0(VALU_DEP_2) | instskip(NEXT) | instid1(VALU_DEP_2)
	v_and_b32_e32 v2, 0x80000000, v2
	v_lshlrev_b32_e32 v0, 21, v0
	s_delay_alu instid0(VALU_DEP_3) | instskip(NEXT) | instid1(VALU_DEP_1)
	v_lshl_add_u32 v3, v14, 23, 0x37800000
	v_or3_b32 v0, v2, v3, v0
.LBB25_170:                             ;   in Loop: Header=BB25_17 Depth=1
	s_or_b32 exec_lo, exec_lo, s16
                                        ; implicit-def: $vgpr2_vgpr3
.LBB25_171:                             ;   in Loop: Header=BB25_17 Depth=1
	s_and_not1_saveexec_b32 s14, s14
	s_cbranch_execz .LBB25_173
; %bb.172:                              ;   in Loop: Header=BB25_17 Depth=1
	flat_load_u8 v0, v[2:3]
	s_wait_loadcnt_dscnt 0x0
	v_lshlrev_b32_e32 v0, 24, v0
	s_wait_xcnt 0x0
	s_delay_alu instid0(VALU_DEP_1) | instskip(NEXT) | instid1(VALU_DEP_1)
	v_and_b32_e32 v2, 0x7f000000, v0
	v_clz_i32_u32_e32 v3, v2
	v_cmp_ne_u32_e32 vcc_lo, 0, v2
	v_add_nc_u32_e32 v15, 0x1000000, v2
	s_delay_alu instid0(VALU_DEP_3) | instskip(NEXT) | instid1(VALU_DEP_1)
	v_min_u32_e32 v3, 32, v3
	v_sub_nc_u32_e64 v3, v3, 4 clamp
	s_delay_alu instid0(VALU_DEP_1) | instskip(NEXT) | instid1(VALU_DEP_1)
	v_dual_lshlrev_b32 v14, v3, v2 :: v_dual_lshlrev_b32 v3, 23, v3
	v_lshrrev_b32_e32 v14, 4, v14
	s_delay_alu instid0(VALU_DEP_1) | instskip(SKIP_1) | instid1(VALU_DEP_2)
	v_sub_nc_u32_e32 v3, v14, v3
	v_ashrrev_i32_e32 v14, 8, v15
	v_add_nc_u32_e32 v3, 0x3c000000, v3
	s_delay_alu instid0(VALU_DEP_1) | instskip(NEXT) | instid1(VALU_DEP_1)
	v_and_or_b32 v3, 0x7f800000, v14, v3
	v_cndmask_b32_e32 v2, 0, v3, vcc_lo
	s_delay_alu instid0(VALU_DEP_1)
	v_and_or_b32 v0, 0x80000000, v0, v2
.LBB25_173:                             ;   in Loop: Header=BB25_17 Depth=1
	s_or_b32 exec_lo, exec_lo, s14
                                        ; implicit-def: $vgpr2_vgpr3
.LBB25_174:                             ;   in Loop: Header=BB25_17 Depth=1
	s_and_not1_saveexec_b32 s13, s13
	s_cbranch_execz .LBB25_176
; %bb.175:                              ;   in Loop: Header=BB25_17 Depth=1
	flat_load_u8 v0, v[2:3]
	s_wait_loadcnt_dscnt 0x0
	v_lshlrev_b32_e32 v2, 25, v0
	v_lshlrev_b16 v0, 8, v0
	s_delay_alu instid0(VALU_DEP_1) | instskip(SKIP_1) | instid1(VALU_DEP_2)
	v_and_or_b32 v14, 0x7f00, v0, 0.5
	v_bfe_i32 v0, v0, 0, 16
	v_add_f32_e32 v14, -0.5, v14
	v_lshrrev_b32_e32 v3, 4, v2
	v_cmp_gt_u32_e32 vcc_lo, 0x8000000, v2
	s_delay_alu instid0(VALU_DEP_2) | instskip(NEXT) | instid1(VALU_DEP_1)
	v_or_b32_e32 v3, 0x70000000, v3
	v_mul_f32_e32 v3, 0x7800000, v3
	s_delay_alu instid0(VALU_DEP_1) | instskip(NEXT) | instid1(VALU_DEP_1)
	v_cndmask_b32_e32 v2, v3, v14, vcc_lo
	v_and_or_b32 v0, 0x80000000, v0, v2
.LBB25_176:                             ;   in Loop: Header=BB25_17 Depth=1
	s_or_b32 exec_lo, exec_lo, s13
	s_delay_alu instid0(SALU_CYCLE_1)
	s_or_b32 s13, s11, exec_lo
                                        ; implicit-def: $vgpr2_vgpr3
.LBB25_177:                             ;   in Loop: Header=BB25_17 Depth=1
	s_and_not1_saveexec_b32 s12, s12
	s_cbranch_execz .LBB25_187
; %bb.178:                              ;   in Loop: Header=BB25_17 Depth=1
	s_mov_b32 s14, s13
	s_mov_b32 s15, exec_lo
                                        ; implicit-def: $vgpr0
	v_cmpx_lt_i16_e32 14, v8
	s_xor_b32 s15, exec_lo, s15
	s_cbranch_execz .LBB25_182
; %bb.179:                              ;   in Loop: Header=BB25_17 Depth=1
	s_mov_b32 s14, s13
	s_mov_b32 s16, exec_lo
                                        ; implicit-def: $vgpr0
	v_cmpx_eq_u16_e32 15, v8
	s_cbranch_execz .LBB25_181
; %bb.180:                              ;   in Loop: Header=BB25_17 Depth=1
	flat_load_u16 v0, v[2:3]
	s_or_b32 s14, s13, exec_lo
	s_wait_loadcnt_dscnt 0x0
	v_lshlrev_b32_e32 v0, 16, v0
.LBB25_181:                             ;   in Loop: Header=BB25_17 Depth=1
	s_wait_xcnt 0x0
	s_or_b32 exec_lo, exec_lo, s16
	s_delay_alu instid0(SALU_CYCLE_1) | instskip(SKIP_1) | instid1(SALU_CYCLE_1)
	s_and_not1_b32 s16, s13, exec_lo
	s_and_b32 s14, s14, exec_lo
                                        ; implicit-def: $vgpr2_vgpr3
	s_or_b32 s14, s16, s14
.LBB25_182:                             ;   in Loop: Header=BB25_17 Depth=1
	s_and_not1_saveexec_b32 s15, s15
	s_cbranch_execz .LBB25_186
; %bb.183:                              ;   in Loop: Header=BB25_17 Depth=1
	s_mov_b32 s16, s14
	s_mov_b32 s17, exec_lo
                                        ; implicit-def: $vgpr0
	v_cmpx_eq_u16_e32 11, v8
	s_cbranch_execz .LBB25_185
; %bb.184:                              ;   in Loop: Header=BB25_17 Depth=1
	flat_load_u8 v0, v[2:3]
	s_or_b32 s16, s14, exec_lo
	s_wait_loadcnt_dscnt 0x0
	v_cmp_ne_u16_e32 vcc_lo, 0, v0
	v_cndmask_b32_e64 v0, 0, 1.0, vcc_lo
.LBB25_185:                             ;   in Loop: Header=BB25_17 Depth=1
	s_wait_xcnt 0x0
	s_or_b32 exec_lo, exec_lo, s17
	s_delay_alu instid0(SALU_CYCLE_1) | instskip(SKIP_1) | instid1(SALU_CYCLE_1)
	s_and_not1_b32 s14, s14, exec_lo
	s_and_b32 s16, s16, exec_lo
	s_or_b32 s14, s14, s16
.LBB25_186:                             ;   in Loop: Header=BB25_17 Depth=1
	s_or_b32 exec_lo, exec_lo, s15
	s_delay_alu instid0(SALU_CYCLE_1) | instskip(SKIP_1) | instid1(SALU_CYCLE_1)
	s_and_not1_b32 s13, s13, exec_lo
	s_and_b32 s14, s14, exec_lo
	s_or_b32 s13, s13, s14
.LBB25_187:                             ;   in Loop: Header=BB25_17 Depth=1
	s_or_b32 exec_lo, exec_lo, s12
	s_delay_alu instid0(SALU_CYCLE_1) | instskip(SKIP_1) | instid1(SALU_CYCLE_1)
	s_and_not1_b32 s11, s11, exec_lo
	s_and_b32 s12, s13, exec_lo
	s_or_b32 s11, s11, s12
.LBB25_188:                             ;   in Loop: Header=BB25_17 Depth=1
	s_or_b32 exec_lo, exec_lo, s8
	s_delay_alu instid0(SALU_CYCLE_1)
	s_and_b32 s12, s11, exec_lo
                                        ; implicit-def: $vgpr2_vgpr3
.LBB25_189:                             ;   in Loop: Header=BB25_17 Depth=1
	s_and_not1_saveexec_b32 s7, s7
	s_cbranch_execz .LBB25_231
; %bb.190:                              ;   in Loop: Header=BB25_17 Depth=1
	s_mov_b32 s8, exec_lo
                                        ; implicit-def: $vgpr0
	v_cmpx_lt_i16_e32 4, v8
	s_xor_b32 s8, exec_lo, s8
	s_cbranch_execz .LBB25_212
; %bb.191:                              ;   in Loop: Header=BB25_17 Depth=1
	s_mov_b32 s11, exec_lo
                                        ; implicit-def: $vgpr0
	v_cmpx_lt_i16_e32 7, v8
	s_xor_b32 s11, exec_lo, s11
	;; [unrolled: 6-line block ×4, first 2 shown]
	s_cbranch_execz .LBB25_195
; %bb.194:                              ;   in Loop: Header=BB25_17 Depth=1
	flat_load_b64 v[2:3], v[2:3]
	s_wait_loadcnt_dscnt 0x0
	v_cvt_f32_f64_e32 v0, v[2:3]
                                        ; implicit-def: $vgpr2_vgpr3
.LBB25_195:                             ;   in Loop: Header=BB25_17 Depth=1
	s_wait_xcnt 0x0
	s_and_not1_saveexec_b32 s14, s14
	s_cbranch_execz .LBB25_197
; %bb.196:                              ;   in Loop: Header=BB25_17 Depth=1
	flat_load_b32 v0, v[2:3]
.LBB25_197:                             ;   in Loop: Header=BB25_17 Depth=1
	s_wait_xcnt 0x0
	s_or_b32 exec_lo, exec_lo, s14
                                        ; implicit-def: $vgpr2_vgpr3
.LBB25_198:                             ;   in Loop: Header=BB25_17 Depth=1
	s_and_not1_saveexec_b32 s13, s13
	s_cbranch_execz .LBB25_200
; %bb.199:                              ;   in Loop: Header=BB25_17 Depth=1
	s_wait_loadcnt_dscnt 0x0
	flat_load_b32 v0, v[2:3]
	s_wait_loadcnt_dscnt 0x0
	v_cvt_f32_f16_e32 v0, v0
.LBB25_200:                             ;   in Loop: Header=BB25_17 Depth=1
	s_wait_xcnt 0x0
	s_or_b32 exec_lo, exec_lo, s13
                                        ; implicit-def: $vgpr2_vgpr3
.LBB25_201:                             ;   in Loop: Header=BB25_17 Depth=1
	s_and_not1_saveexec_b32 s11, s11
	s_cbranch_execz .LBB25_211
; %bb.202:                              ;   in Loop: Header=BB25_17 Depth=1
	s_mov_b32 s13, exec_lo
                                        ; implicit-def: $vgpr0
	v_cmpx_lt_i16_e32 5, v8
	s_xor_b32 s13, exec_lo, s13
	s_cbranch_execz .LBB25_208
; %bb.203:                              ;   in Loop: Header=BB25_17 Depth=1
	s_mov_b32 s14, exec_lo
                                        ; implicit-def: $vgpr0
	v_cmpx_lt_i16_e32 6, v8
	s_xor_b32 s14, exec_lo, s14
	s_cbranch_execz .LBB25_205
; %bb.204:                              ;   in Loop: Header=BB25_17 Depth=1
	flat_load_b64 v[2:3], v[2:3]
	s_wait_loadcnt_dscnt 0x0
	v_cvt_f32_f64_e32 v0, v[2:3]
                                        ; implicit-def: $vgpr2_vgpr3
.LBB25_205:                             ;   in Loop: Header=BB25_17 Depth=1
	s_wait_xcnt 0x0
	s_and_not1_saveexec_b32 s14, s14
	s_cbranch_execz .LBB25_207
; %bb.206:                              ;   in Loop: Header=BB25_17 Depth=1
	s_wait_loadcnt_dscnt 0x0
	flat_load_b32 v0, v[2:3]
.LBB25_207:                             ;   in Loop: Header=BB25_17 Depth=1
	s_wait_xcnt 0x0
	s_or_b32 exec_lo, exec_lo, s14
                                        ; implicit-def: $vgpr2_vgpr3
.LBB25_208:                             ;   in Loop: Header=BB25_17 Depth=1
	s_and_not1_saveexec_b32 s13, s13
	s_cbranch_execz .LBB25_210
; %bb.209:                              ;   in Loop: Header=BB25_17 Depth=1
	s_wait_loadcnt_dscnt 0x0
	flat_load_u16 v0, v[2:3]
	s_wait_loadcnt_dscnt 0x0
	v_cvt_f32_f16_e32 v0, v0
.LBB25_210:                             ;   in Loop: Header=BB25_17 Depth=1
	s_wait_xcnt 0x0
	s_or_b32 exec_lo, exec_lo, s13
.LBB25_211:                             ;   in Loop: Header=BB25_17 Depth=1
	s_delay_alu instid0(SALU_CYCLE_1)
	s_or_b32 exec_lo, exec_lo, s11
                                        ; implicit-def: $vgpr2_vgpr3
.LBB25_212:                             ;   in Loop: Header=BB25_17 Depth=1
	s_and_not1_saveexec_b32 s8, s8
	s_cbranch_execz .LBB25_230
; %bb.213:                              ;   in Loop: Header=BB25_17 Depth=1
	s_mov_b32 s11, exec_lo
                                        ; implicit-def: $vgpr0
	v_cmpx_lt_i16_e32 1, v8
	s_xor_b32 s11, exec_lo, s11
	s_cbranch_execz .LBB25_223
; %bb.214:                              ;   in Loop: Header=BB25_17 Depth=1
	s_mov_b32 s13, exec_lo
                                        ; implicit-def: $vgpr0
	v_cmpx_lt_i16_e32 2, v8
	s_xor_b32 s13, exec_lo, s13
	;; [unrolled: 6-line block ×3, first 2 shown]
	s_cbranch_execz .LBB25_217
; %bb.216:                              ;   in Loop: Header=BB25_17 Depth=1
	flat_load_b64 v[2:3], v[2:3]
	s_wait_loadcnt_dscnt 0x0
	v_xor_b32_e32 v0, v2, v3
	v_cls_i32_e32 v14, v3
	s_delay_alu instid0(VALU_DEP_2) | instskip(NEXT) | instid1(VALU_DEP_1)
	v_ashrrev_i32_e32 v0, 31, v0
	v_add_nc_u32_e32 v0, 32, v0
	s_delay_alu instid0(VALU_DEP_1) | instskip(SKIP_1) | instid1(VALU_DEP_1)
	v_add_min_u32_e64 v0, v14, -1, v0
	s_wait_xcnt 0x0
	v_lshlrev_b64_e32 v[2:3], v0, v[2:3]
	v_sub_nc_u32_e32 v0, 32, v0
	s_delay_alu instid0(VALU_DEP_2) | instskip(NEXT) | instid1(VALU_DEP_1)
	v_min_u32_e32 v2, 1, v2
	v_or_b32_e32 v2, v3, v2
	s_delay_alu instid0(VALU_DEP_1) | instskip(NEXT) | instid1(VALU_DEP_1)
	v_cvt_f32_i32_e32 v2, v2
	v_ldexp_f32 v0, v2, v0
                                        ; implicit-def: $vgpr2_vgpr3
.LBB25_217:                             ;   in Loop: Header=BB25_17 Depth=1
	s_and_not1_saveexec_b32 s14, s14
	s_cbranch_execz .LBB25_219
; %bb.218:                              ;   in Loop: Header=BB25_17 Depth=1
	s_wait_loadcnt_dscnt 0x0
	flat_load_b32 v0, v[2:3]
	s_wait_loadcnt_dscnt 0x0
	v_cvt_f32_i32_e32 v0, v0
.LBB25_219:                             ;   in Loop: Header=BB25_17 Depth=1
	s_wait_xcnt 0x0
	s_or_b32 exec_lo, exec_lo, s14
                                        ; implicit-def: $vgpr2_vgpr3
.LBB25_220:                             ;   in Loop: Header=BB25_17 Depth=1
	s_and_not1_saveexec_b32 s13, s13
	s_cbranch_execz .LBB25_222
; %bb.221:                              ;   in Loop: Header=BB25_17 Depth=1
	s_wait_loadcnt_dscnt 0x0
	flat_load_i16 v0, v[2:3]
	s_wait_loadcnt_dscnt 0x0
	v_cvt_f32_i32_e32 v0, v0
.LBB25_222:                             ;   in Loop: Header=BB25_17 Depth=1
	s_wait_xcnt 0x0
	s_or_b32 exec_lo, exec_lo, s13
                                        ; implicit-def: $vgpr2_vgpr3
.LBB25_223:                             ;   in Loop: Header=BB25_17 Depth=1
	s_and_not1_saveexec_b32 s11, s11
	s_cbranch_execz .LBB25_229
; %bb.224:                              ;   in Loop: Header=BB25_17 Depth=1
	s_mov_b32 s13, exec_lo
                                        ; implicit-def: $vgpr0
	v_cmpx_lt_i16_e32 0, v8
	s_xor_b32 s13, exec_lo, s13
	s_cbranch_execz .LBB25_226
; %bb.225:                              ;   in Loop: Header=BB25_17 Depth=1
	s_wait_loadcnt_dscnt 0x0
	flat_load_i8 v0, v[2:3]
                                        ; implicit-def: $vgpr2_vgpr3
	s_wait_loadcnt_dscnt 0x0
	v_cvt_f32_i32_e32 v0, v0
.LBB25_226:                             ;   in Loop: Header=BB25_17 Depth=1
	s_wait_xcnt 0x0
	s_and_not1_saveexec_b32 s13, s13
	s_cbranch_execz .LBB25_228
; %bb.227:                              ;   in Loop: Header=BB25_17 Depth=1
	s_wait_loadcnt_dscnt 0x0
	flat_load_u8 v0, v[2:3]
	s_wait_loadcnt_dscnt 0x0
	v_cvt_f32_ubyte0_e32 v0, v0
.LBB25_228:                             ;   in Loop: Header=BB25_17 Depth=1
	s_wait_xcnt 0x0
	s_or_b32 exec_lo, exec_lo, s13
.LBB25_229:                             ;   in Loop: Header=BB25_17 Depth=1
	s_delay_alu instid0(SALU_CYCLE_1)
	s_or_b32 exec_lo, exec_lo, s11
.LBB25_230:                             ;   in Loop: Header=BB25_17 Depth=1
	s_delay_alu instid0(SALU_CYCLE_1) | instskip(NEXT) | instid1(SALU_CYCLE_1)
	s_or_b32 exec_lo, exec_lo, s8
	s_or_b32 s12, s12, exec_lo
.LBB25_231:                             ;   in Loop: Header=BB25_17 Depth=1
	s_or_b32 exec_lo, exec_lo, s7
	s_mov_b32 s7, -1
	s_mov_b32 s13, 0
	s_mov_b32 s8, 0
	s_and_saveexec_b32 s11, s12
	s_cbranch_execz .LBB25_237
; %bb.232:                              ;   in Loop: Header=BB25_17 Depth=1
	s_add_co_i32 s7, s33, s1
	s_mov_b32 s12, 0
	s_add_co_i32 s7, s7, 16
	s_mov_b32 s8, exec_lo
	s_wait_loadcnt_dscnt 0x0
	scratch_store_b32 off, v0, s7 offset:12
	s_wait_xcnt 0x0
	v_mul_lo_u32 v0, v13, v11
	v_and_b32_e32 v13, 0xff, v9
	s_delay_alu instid0(VALU_DEP_2) | instskip(NEXT) | instid1(VALU_DEP_2)
	v_add_nc_u64_e32 v[2:3], v[6:7], v[0:1]
                                        ; implicit-def: $vgpr0
	v_cmpx_lt_i16_e32 10, v13
	s_xor_b32 s8, exec_lo, s8
	s_cbranch_execnz .LBB25_1894
; %bb.233:                              ;   in Loop: Header=BB25_17 Depth=1
	s_and_not1_saveexec_b32 s8, s8
	s_cbranch_execnz .LBB25_1953
.LBB25_234:                             ;   in Loop: Header=BB25_17 Depth=1
	s_or_b32 exec_lo, exec_lo, s8
	s_mov_b32 s13, 0
	s_and_saveexec_b32 s8, s12
	s_cbranch_execz .LBB25_236
.LBB25_235:                             ;   in Loop: Header=BB25_17 Depth=1
	v_add_nc_u32_e32 v12, 0x200, v12
	s_mov_b32 s13, exec_lo
	s_wait_loadcnt_dscnt 0x0
	scratch_store_b32 off, v0, s7 offset:8
.LBB25_236:                             ;   in Loop: Header=BB25_17 Depth=1
	s_wait_xcnt 0x0
	s_or_b32 exec_lo, exec_lo, s8
	s_delay_alu instid0(SALU_CYCLE_1)
	s_mov_b32 s8, exec_lo
	s_xor_b32 s7, exec_lo, -1
	s_and_b32 s13, s13, exec_lo
.LBB25_237:                             ;   in Loop: Header=BB25_17 Depth=1
	s_or_b32 exec_lo, exec_lo, s11
	s_delay_alu instid0(SALU_CYCLE_1)
	s_or_not1_b32 s11, s13, exec_lo
.LBB25_238:                             ;   in Loop: Header=BB25_17 Depth=1
	s_or_b32 exec_lo, exec_lo, s9
	s_and_saveexec_b32 s9, s11
	s_cbranch_execz .LBB25_15
; %bb.239:                              ;   in Loop: Header=BB25_17 Depth=1
	s_mov_b32 s13, -1
	s_mov_b32 s14, -1
	s_mov_b32 s12, exec_lo
                                        ; implicit-def: $sgpr10
                                        ; implicit-def: $sgpr11
	v_cmpx_lt_i32_e64 v12, v211
	s_cbranch_execz .LBB25_349
; %bb.240:                              ;   in Loop: Header=BB25_17 Depth=1
	v_add_nc_u32_e32 v13, s60, v12
	s_mov_b32 s15, 0
	s_mov_b32 s10, exec_lo
	s_wait_loadcnt_dscnt 0x0
	s_delay_alu instid0(VALU_DEP_1) | instskip(NEXT) | instid1(VALU_DEP_1)
	v_mul_lo_u32 v0, v13, v10
	v_add_nc_u64_e32 v[2:3], v[4:5], v[0:1]
                                        ; implicit-def: $vgpr0
	v_cmpx_lt_i16_e32 10, v8
	s_xor_b32 s10, exec_lo, s10
	s_cbranch_execz .LBB25_300
; %bb.241:                              ;   in Loop: Header=BB25_17 Depth=1
	s_mov_b32 s14, 0
	s_mov_b32 s11, exec_lo
                                        ; implicit-def: $vgpr0
	v_cmpx_lt_i16_e32 25, v8
	s_xor_b32 s11, exec_lo, s11
	s_cbranch_execz .LBB25_273
; %bb.242:                              ;   in Loop: Header=BB25_17 Depth=1
	s_mov_b32 s15, exec_lo
                                        ; implicit-def: $vgpr0
	v_cmpx_lt_i16_e32 28, v8
	s_xor_b32 s15, exec_lo, s15
	s_cbranch_execz .LBB25_258
; %bb.243:                              ;   in Loop: Header=BB25_17 Depth=1
	s_mov_b32 s16, 0
	s_mov_b32 s14, exec_lo
                                        ; implicit-def: $vgpr0
	v_cmpx_lt_i16_e32 43, v8
	s_xor_b32 s14, exec_lo, s14
	s_cbranch_execz .LBB25_253
; %bb.244:                              ;   in Loop: Header=BB25_17 Depth=1
	s_mov_b32 s17, exec_lo
                                        ; implicit-def: $vgpr0
	v_cmpx_lt_i16_e32 45, v8
	s_xor_b32 s17, exec_lo, s17
	s_cbranch_execz .LBB25_248
; %bb.245:                              ;   in Loop: Header=BB25_17 Depth=1
	s_mov_b32 s18, exec_lo
                                        ; implicit-def: $vgpr0
	v_cmpx_eq_u16_e32 46, v8
	s_cbranch_execz .LBB25_247
; %bb.246:                              ;   in Loop: Header=BB25_17 Depth=1
	flat_load_b32 v0, v[2:3]
	s_mov_b32 s16, exec_lo
	s_wait_loadcnt_dscnt 0x0
	v_lshlrev_b32_e32 v0, 16, v0
.LBB25_247:                             ;   in Loop: Header=BB25_17 Depth=1
	s_wait_xcnt 0x0
	s_or_b32 exec_lo, exec_lo, s18
	s_delay_alu instid0(SALU_CYCLE_1)
	s_and_b32 s16, s16, exec_lo
                                        ; implicit-def: $vgpr2_vgpr3
.LBB25_248:                             ;   in Loop: Header=BB25_17 Depth=1
	s_and_not1_saveexec_b32 s17, s17
	s_cbranch_execz .LBB25_252
; %bb.249:                              ;   in Loop: Header=BB25_17 Depth=1
	s_mov_b32 s19, s16
	s_mov_b32 s18, exec_lo
                                        ; implicit-def: $vgpr0
	v_cmpx_eq_u16_e32 44, v8
	s_cbranch_execz .LBB25_251
; %bb.250:                              ;   in Loop: Header=BB25_17 Depth=1
	flat_load_u8 v0, v[2:3]
	s_or_b32 s19, s16, exec_lo
	s_wait_loadcnt_dscnt 0x0
	v_lshlrev_b32_e32 v2, 23, v0
	v_cmp_ne_u32_e32 vcc_lo, 0xff, v0
	s_delay_alu instid0(VALU_DEP_2) | instskip(SKIP_1) | instid1(VALU_DEP_2)
	v_cndmask_b32_e32 v2, 0x7f800001, v2, vcc_lo
	v_cmp_ne_u32_e32 vcc_lo, 0, v0
	v_cndmask_b32_e32 v0, 0x400000, v2, vcc_lo
.LBB25_251:                             ;   in Loop: Header=BB25_17 Depth=1
	s_or_b32 exec_lo, exec_lo, s18
	s_delay_alu instid0(SALU_CYCLE_1) | instskip(SKIP_1) | instid1(SALU_CYCLE_1)
	s_and_not1_b32 s16, s16, exec_lo
	s_and_b32 s18, s19, exec_lo
	s_or_b32 s16, s16, s18
.LBB25_252:                             ;   in Loop: Header=BB25_17 Depth=1
	s_or_b32 exec_lo, exec_lo, s17
	s_delay_alu instid0(SALU_CYCLE_1)
	s_and_b32 s16, s16, exec_lo
                                        ; implicit-def: $vgpr2_vgpr3
.LBB25_253:                             ;   in Loop: Header=BB25_17 Depth=1
	s_and_not1_saveexec_b32 s14, s14
	s_cbranch_execz .LBB25_257
; %bb.254:                              ;   in Loop: Header=BB25_17 Depth=1
	s_mov_b32 s18, s16
	s_mov_b32 s17, exec_lo
                                        ; implicit-def: $vgpr0
	v_cmpx_eq_u16_e32 29, v8
	s_cbranch_execz .LBB25_256
; %bb.255:                              ;   in Loop: Header=BB25_17 Depth=1
	flat_load_b64 v[2:3], v[2:3]
	s_or_b32 s18, s16, exec_lo
	s_wait_loadcnt_dscnt 0x0
	v_clz_i32_u32_e32 v0, v3
	s_delay_alu instid0(VALU_DEP_1) | instskip(SKIP_1) | instid1(VALU_DEP_1)
	v_min_u32_e32 v0, 32, v0
	s_wait_xcnt 0x0
	v_lshlrev_b64_e32 v[2:3], v0, v[2:3]
	v_sub_nc_u32_e32 v0, 32, v0
	s_delay_alu instid0(VALU_DEP_2) | instskip(NEXT) | instid1(VALU_DEP_1)
	v_min_u32_e32 v2, 1, v2
	v_or_b32_e32 v2, v3, v2
	s_delay_alu instid0(VALU_DEP_1) | instskip(NEXT) | instid1(VALU_DEP_1)
	v_cvt_f32_u32_e32 v2, v2
	v_ldexp_f32 v0, v2, v0
.LBB25_256:                             ;   in Loop: Header=BB25_17 Depth=1
	s_or_b32 exec_lo, exec_lo, s17
	s_delay_alu instid0(SALU_CYCLE_1) | instskip(SKIP_1) | instid1(SALU_CYCLE_1)
	s_and_not1_b32 s16, s16, exec_lo
	s_and_b32 s17, s18, exec_lo
	s_or_b32 s16, s16, s17
.LBB25_257:                             ;   in Loop: Header=BB25_17 Depth=1
	s_or_b32 exec_lo, exec_lo, s14
	s_delay_alu instid0(SALU_CYCLE_1)
	s_and_b32 s14, s16, exec_lo
                                        ; implicit-def: $vgpr2_vgpr3
.LBB25_258:                             ;   in Loop: Header=BB25_17 Depth=1
	s_and_not1_saveexec_b32 s15, s15
	s_cbranch_execz .LBB25_272
; %bb.259:                              ;   in Loop: Header=BB25_17 Depth=1
	s_mov_b32 s16, exec_lo
                                        ; implicit-def: $vgpr0
	v_cmpx_lt_i16_e32 26, v8
	s_xor_b32 s16, exec_lo, s16
	s_cbranch_execz .LBB25_265
; %bb.260:                              ;   in Loop: Header=BB25_17 Depth=1
	s_mov_b32 s17, exec_lo
                                        ; implicit-def: $vgpr0
	v_cmpx_lt_i16_e32 27, v8
	s_xor_b32 s17, exec_lo, s17
	s_cbranch_execz .LBB25_262
; %bb.261:                              ;   in Loop: Header=BB25_17 Depth=1
	flat_load_b32 v0, v[2:3]
                                        ; implicit-def: $vgpr2_vgpr3
	s_wait_loadcnt_dscnt 0x0
	v_cvt_f32_u32_e32 v0, v0
.LBB25_262:                             ;   in Loop: Header=BB25_17 Depth=1
	s_wait_xcnt 0x0
	s_and_not1_saveexec_b32 s17, s17
	s_cbranch_execz .LBB25_264
; %bb.263:                              ;   in Loop: Header=BB25_17 Depth=1
	flat_load_u16 v0, v[2:3]
	s_wait_loadcnt_dscnt 0x0
	v_cvt_f32_u32_e32 v0, v0
.LBB25_264:                             ;   in Loop: Header=BB25_17 Depth=1
	s_wait_xcnt 0x0
	s_or_b32 exec_lo, exec_lo, s17
                                        ; implicit-def: $vgpr2_vgpr3
.LBB25_265:                             ;   in Loop: Header=BB25_17 Depth=1
	s_and_not1_saveexec_b32 s16, s16
	s_cbranch_execz .LBB25_271
; %bb.266:                              ;   in Loop: Header=BB25_17 Depth=1
	flat_load_u8 v2, v[2:3]
	s_mov_b32 s17, 0
	s_mov_b32 s18, exec_lo
	s_wait_loadcnt_dscnt 0x0
	v_cmpx_lt_i16_e32 0x7f, v2
	s_xor_b32 s18, exec_lo, s18
	s_cbranch_execnz .LBB25_2314
; %bb.267:                              ;   in Loop: Header=BB25_17 Depth=1
	s_or_saveexec_b32 s18, s18
	v_mov_b32_e32 v0, 0x7f800001
	s_xor_b32 exec_lo, exec_lo, s18
	s_cbranch_execnz .LBB25_2317
.LBB25_268:                             ;   in Loop: Header=BB25_17 Depth=1
	s_or_b32 exec_lo, exec_lo, s18
	s_and_saveexec_b32 s18, s17
	s_cbranch_execz .LBB25_270
.LBB25_269:                             ;   in Loop: Header=BB25_17 Depth=1
	v_and_b32_e32 v0, 0xffff, v2
	s_delay_alu instid0(VALU_DEP_1) | instskip(SKIP_1) | instid1(VALU_DEP_2)
	v_and_b32_e32 v3, 7, v0
	v_bfe_u32 v16, v0, 3, 4
	v_clz_i32_u32_e32 v14, v3
	s_delay_alu instid0(VALU_DEP_2) | instskip(NEXT) | instid1(VALU_DEP_2)
	v_cmp_eq_u32_e32 vcc_lo, 0, v16
	v_min_u32_e32 v14, 32, v14
	s_delay_alu instid0(VALU_DEP_1) | instskip(NEXT) | instid1(VALU_DEP_1)
	v_subrev_nc_u32_e32 v15, 28, v14
	v_dual_lshlrev_b32 v0, v15, v0 :: v_dual_sub_nc_u32 v14, 29, v14
	s_delay_alu instid0(VALU_DEP_1) | instskip(NEXT) | instid1(VALU_DEP_1)
	v_dual_lshlrev_b32 v2, 24, v2 :: v_dual_bitop2_b32 v0, 7, v0 bitop3:0x40
	v_dual_cndmask_b32 v0, v3, v0, vcc_lo :: v_dual_cndmask_b32 v14, v16, v14, vcc_lo
	s_delay_alu instid0(VALU_DEP_2) | instskip(NEXT) | instid1(VALU_DEP_2)
	v_and_b32_e32 v2, 0x80000000, v2
	v_lshlrev_b32_e32 v0, 20, v0
	s_delay_alu instid0(VALU_DEP_3) | instskip(NEXT) | instid1(VALU_DEP_1)
	v_lshl_add_u32 v3, v14, 23, 0x3b800000
	v_or3_b32 v0, v2, v3, v0
.LBB25_270:                             ;   in Loop: Header=BB25_17 Depth=1
	s_or_b32 exec_lo, exec_lo, s18
.LBB25_271:                             ;   in Loop: Header=BB25_17 Depth=1
	s_delay_alu instid0(SALU_CYCLE_1) | instskip(NEXT) | instid1(SALU_CYCLE_1)
	s_or_b32 exec_lo, exec_lo, s16
	s_or_b32 s14, s14, exec_lo
.LBB25_272:                             ;   in Loop: Header=BB25_17 Depth=1
	s_or_b32 exec_lo, exec_lo, s15
	s_delay_alu instid0(SALU_CYCLE_1)
	s_and_b32 s14, s14, exec_lo
                                        ; implicit-def: $vgpr2_vgpr3
.LBB25_273:                             ;   in Loop: Header=BB25_17 Depth=1
	s_and_not1_saveexec_b32 s11, s11
	s_cbranch_execz .LBB25_299
; %bb.274:                              ;   in Loop: Header=BB25_17 Depth=1
	s_mov_b32 s16, s14
	s_mov_b32 s15, exec_lo
                                        ; implicit-def: $vgpr0
	v_cmpx_lt_i16_e32 22, v8
	s_xor_b32 s15, exec_lo, s15
	s_cbranch_execz .LBB25_288
; %bb.275:                              ;   in Loop: Header=BB25_17 Depth=1
	s_mov_b32 s16, exec_lo
                                        ; implicit-def: $vgpr0
	v_cmpx_lt_i16_e32 23, v8
	s_xor_b32 s16, exec_lo, s16
	s_cbranch_execz .LBB25_285
; %bb.276:                              ;   in Loop: Header=BB25_17 Depth=1
	;; [unrolled: 6-line block ×3, first 2 shown]
	flat_load_u8 v2, v[2:3]
	s_mov_b32 s18, 0
	s_mov_b32 s19, exec_lo
	s_wait_loadcnt_dscnt 0x0
	v_cmpx_lt_i16_e32 0x7f, v2
	s_xor_b32 s19, exec_lo, s19
	s_cbranch_execnz .LBB25_2426
; %bb.278:                              ;   in Loop: Header=BB25_17 Depth=1
	s_or_saveexec_b32 s19, s19
	v_mov_b32_e32 v0, 0x7f800001
	s_xor_b32 exec_lo, exec_lo, s19
	s_cbranch_execnz .LBB25_2429
.LBB25_279:                             ;   in Loop: Header=BB25_17 Depth=1
	s_or_b32 exec_lo, exec_lo, s19
	s_and_saveexec_b32 s19, s18
	s_cbranch_execz .LBB25_281
.LBB25_280:                             ;   in Loop: Header=BB25_17 Depth=1
	v_and_b32_e32 v0, 0xffff, v2
	s_delay_alu instid0(VALU_DEP_1) | instskip(SKIP_1) | instid1(VALU_DEP_2)
	v_and_b32_e32 v3, 3, v0
	v_bfe_u32 v16, v0, 2, 5
	v_clz_i32_u32_e32 v14, v3
	s_delay_alu instid0(VALU_DEP_2) | instskip(NEXT) | instid1(VALU_DEP_2)
	v_cmp_eq_u32_e32 vcc_lo, 0, v16
	v_min_u32_e32 v14, 32, v14
	s_delay_alu instid0(VALU_DEP_1) | instskip(NEXT) | instid1(VALU_DEP_1)
	v_subrev_nc_u32_e32 v15, 29, v14
	v_dual_lshlrev_b32 v0, v15, v0 :: v_dual_sub_nc_u32 v14, 30, v14
	s_delay_alu instid0(VALU_DEP_1) | instskip(NEXT) | instid1(VALU_DEP_1)
	v_dual_lshlrev_b32 v2, 24, v2 :: v_dual_bitop2_b32 v0, 3, v0 bitop3:0x40
	v_dual_cndmask_b32 v0, v3, v0, vcc_lo :: v_dual_cndmask_b32 v14, v16, v14, vcc_lo
	s_delay_alu instid0(VALU_DEP_2) | instskip(NEXT) | instid1(VALU_DEP_2)
	v_and_b32_e32 v2, 0x80000000, v2
	v_lshlrev_b32_e32 v0, 21, v0
	s_delay_alu instid0(VALU_DEP_3) | instskip(NEXT) | instid1(VALU_DEP_1)
	v_lshl_add_u32 v3, v14, 23, 0x37800000
	v_or3_b32 v0, v2, v3, v0
.LBB25_281:                             ;   in Loop: Header=BB25_17 Depth=1
	s_or_b32 exec_lo, exec_lo, s19
                                        ; implicit-def: $vgpr2_vgpr3
.LBB25_282:                             ;   in Loop: Header=BB25_17 Depth=1
	s_and_not1_saveexec_b32 s17, s17
	s_cbranch_execz .LBB25_284
; %bb.283:                              ;   in Loop: Header=BB25_17 Depth=1
	flat_load_u8 v0, v[2:3]
	s_wait_loadcnt_dscnt 0x0
	v_lshlrev_b32_e32 v0, 24, v0
	s_wait_xcnt 0x0
	s_delay_alu instid0(VALU_DEP_1) | instskip(NEXT) | instid1(VALU_DEP_1)
	v_and_b32_e32 v2, 0x7f000000, v0
	v_clz_i32_u32_e32 v3, v2
	v_cmp_ne_u32_e32 vcc_lo, 0, v2
	v_add_nc_u32_e32 v15, 0x1000000, v2
	s_delay_alu instid0(VALU_DEP_3) | instskip(NEXT) | instid1(VALU_DEP_1)
	v_min_u32_e32 v3, 32, v3
	v_sub_nc_u32_e64 v3, v3, 4 clamp
	s_delay_alu instid0(VALU_DEP_1) | instskip(NEXT) | instid1(VALU_DEP_1)
	v_dual_lshlrev_b32 v14, v3, v2 :: v_dual_lshlrev_b32 v3, 23, v3
	v_lshrrev_b32_e32 v14, 4, v14
	s_delay_alu instid0(VALU_DEP_1) | instskip(SKIP_1) | instid1(VALU_DEP_2)
	v_sub_nc_u32_e32 v3, v14, v3
	v_ashrrev_i32_e32 v14, 8, v15
	v_add_nc_u32_e32 v3, 0x3c000000, v3
	s_delay_alu instid0(VALU_DEP_1) | instskip(NEXT) | instid1(VALU_DEP_1)
	v_and_or_b32 v3, 0x7f800000, v14, v3
	v_cndmask_b32_e32 v2, 0, v3, vcc_lo
	s_delay_alu instid0(VALU_DEP_1)
	v_and_or_b32 v0, 0x80000000, v0, v2
.LBB25_284:                             ;   in Loop: Header=BB25_17 Depth=1
	s_or_b32 exec_lo, exec_lo, s17
                                        ; implicit-def: $vgpr2_vgpr3
.LBB25_285:                             ;   in Loop: Header=BB25_17 Depth=1
	s_and_not1_saveexec_b32 s16, s16
	s_cbranch_execz .LBB25_287
; %bb.286:                              ;   in Loop: Header=BB25_17 Depth=1
	flat_load_u8 v0, v[2:3]
	s_wait_loadcnt_dscnt 0x0
	v_lshlrev_b32_e32 v2, 25, v0
	v_lshlrev_b16 v0, 8, v0
	s_delay_alu instid0(VALU_DEP_1) | instskip(SKIP_1) | instid1(VALU_DEP_2)
	v_and_or_b32 v14, 0x7f00, v0, 0.5
	v_bfe_i32 v0, v0, 0, 16
	v_add_f32_e32 v14, -0.5, v14
	v_lshrrev_b32_e32 v3, 4, v2
	v_cmp_gt_u32_e32 vcc_lo, 0x8000000, v2
	s_delay_alu instid0(VALU_DEP_2) | instskip(NEXT) | instid1(VALU_DEP_1)
	v_or_b32_e32 v3, 0x70000000, v3
	v_mul_f32_e32 v3, 0x7800000, v3
	s_delay_alu instid0(VALU_DEP_1) | instskip(NEXT) | instid1(VALU_DEP_1)
	v_cndmask_b32_e32 v2, v3, v14, vcc_lo
	v_and_or_b32 v0, 0x80000000, v0, v2
.LBB25_287:                             ;   in Loop: Header=BB25_17 Depth=1
	s_or_b32 exec_lo, exec_lo, s16
	s_delay_alu instid0(SALU_CYCLE_1)
	s_or_b32 s16, s14, exec_lo
                                        ; implicit-def: $vgpr2_vgpr3
.LBB25_288:                             ;   in Loop: Header=BB25_17 Depth=1
	s_and_not1_saveexec_b32 s15, s15
	s_cbranch_execz .LBB25_298
; %bb.289:                              ;   in Loop: Header=BB25_17 Depth=1
	s_mov_b32 s17, s16
	s_mov_b32 s18, exec_lo
                                        ; implicit-def: $vgpr0
	v_cmpx_lt_i16_e32 14, v8
	s_xor_b32 s18, exec_lo, s18
	s_cbranch_execz .LBB25_293
; %bb.290:                              ;   in Loop: Header=BB25_17 Depth=1
	s_mov_b32 s17, s16
	s_mov_b32 s19, exec_lo
                                        ; implicit-def: $vgpr0
	v_cmpx_eq_u16_e32 15, v8
	s_cbranch_execz .LBB25_292
; %bb.291:                              ;   in Loop: Header=BB25_17 Depth=1
	flat_load_u16 v0, v[2:3]
	s_or_b32 s17, s16, exec_lo
	s_wait_loadcnt_dscnt 0x0
	v_lshlrev_b32_e32 v0, 16, v0
.LBB25_292:                             ;   in Loop: Header=BB25_17 Depth=1
	s_wait_xcnt 0x0
	s_or_b32 exec_lo, exec_lo, s19
	s_delay_alu instid0(SALU_CYCLE_1) | instskip(SKIP_1) | instid1(SALU_CYCLE_1)
	s_and_not1_b32 s19, s16, exec_lo
	s_and_b32 s17, s17, exec_lo
                                        ; implicit-def: $vgpr2_vgpr3
	s_or_b32 s17, s19, s17
.LBB25_293:                             ;   in Loop: Header=BB25_17 Depth=1
	s_and_not1_saveexec_b32 s18, s18
	s_cbranch_execz .LBB25_297
; %bb.294:                              ;   in Loop: Header=BB25_17 Depth=1
	s_mov_b32 s19, s17
	s_mov_b32 s20, exec_lo
                                        ; implicit-def: $vgpr0
	v_cmpx_eq_u16_e32 11, v8
	s_cbranch_execz .LBB25_296
; %bb.295:                              ;   in Loop: Header=BB25_17 Depth=1
	flat_load_u8 v0, v[2:3]
	s_or_b32 s19, s17, exec_lo
	s_wait_loadcnt_dscnt 0x0
	v_cmp_ne_u16_e32 vcc_lo, 0, v0
	v_cndmask_b32_e64 v0, 0, 1.0, vcc_lo
.LBB25_296:                             ;   in Loop: Header=BB25_17 Depth=1
	s_wait_xcnt 0x0
	s_or_b32 exec_lo, exec_lo, s20
	s_delay_alu instid0(SALU_CYCLE_1) | instskip(SKIP_1) | instid1(SALU_CYCLE_1)
	s_and_not1_b32 s17, s17, exec_lo
	s_and_b32 s19, s19, exec_lo
	s_or_b32 s17, s17, s19
.LBB25_297:                             ;   in Loop: Header=BB25_17 Depth=1
	s_or_b32 exec_lo, exec_lo, s18
	s_delay_alu instid0(SALU_CYCLE_1) | instskip(SKIP_1) | instid1(SALU_CYCLE_1)
	s_and_not1_b32 s16, s16, exec_lo
	s_and_b32 s17, s17, exec_lo
	s_or_b32 s16, s16, s17
.LBB25_298:                             ;   in Loop: Header=BB25_17 Depth=1
	s_or_b32 exec_lo, exec_lo, s15
	s_delay_alu instid0(SALU_CYCLE_1) | instskip(SKIP_1) | instid1(SALU_CYCLE_1)
	s_and_not1_b32 s14, s14, exec_lo
	s_and_b32 s15, s16, exec_lo
	s_or_b32 s14, s14, s15
.LBB25_299:                             ;   in Loop: Header=BB25_17 Depth=1
	s_or_b32 exec_lo, exec_lo, s11
	s_delay_alu instid0(SALU_CYCLE_1)
	s_and_b32 s15, s14, exec_lo
                                        ; implicit-def: $vgpr2_vgpr3
.LBB25_300:                             ;   in Loop: Header=BB25_17 Depth=1
	s_and_not1_saveexec_b32 s10, s10
	s_cbranch_execz .LBB25_342
; %bb.301:                              ;   in Loop: Header=BB25_17 Depth=1
	s_mov_b32 s11, exec_lo
                                        ; implicit-def: $vgpr0
	v_cmpx_lt_i16_e32 4, v8
	s_xor_b32 s11, exec_lo, s11
	s_cbranch_execz .LBB25_323
; %bb.302:                              ;   in Loop: Header=BB25_17 Depth=1
	s_mov_b32 s14, exec_lo
                                        ; implicit-def: $vgpr0
	v_cmpx_lt_i16_e32 7, v8
	s_xor_b32 s14, exec_lo, s14
	;; [unrolled: 6-line block ×4, first 2 shown]
	s_cbranch_execz .LBB25_306
; %bb.305:                              ;   in Loop: Header=BB25_17 Depth=1
	flat_load_b64 v[2:3], v[2:3]
	s_wait_loadcnt_dscnt 0x0
	v_cvt_f32_f64_e32 v0, v[2:3]
                                        ; implicit-def: $vgpr2_vgpr3
.LBB25_306:                             ;   in Loop: Header=BB25_17 Depth=1
	s_wait_xcnt 0x0
	s_and_not1_saveexec_b32 s17, s17
	s_cbranch_execz .LBB25_308
; %bb.307:                              ;   in Loop: Header=BB25_17 Depth=1
	flat_load_b32 v0, v[2:3]
.LBB25_308:                             ;   in Loop: Header=BB25_17 Depth=1
	s_wait_xcnt 0x0
	s_or_b32 exec_lo, exec_lo, s17
                                        ; implicit-def: $vgpr2_vgpr3
.LBB25_309:                             ;   in Loop: Header=BB25_17 Depth=1
	s_and_not1_saveexec_b32 s16, s16
	s_cbranch_execz .LBB25_311
; %bb.310:                              ;   in Loop: Header=BB25_17 Depth=1
	s_wait_loadcnt_dscnt 0x0
	flat_load_b32 v0, v[2:3]
	s_wait_loadcnt_dscnt 0x0
	v_cvt_f32_f16_e32 v0, v0
.LBB25_311:                             ;   in Loop: Header=BB25_17 Depth=1
	s_wait_xcnt 0x0
	s_or_b32 exec_lo, exec_lo, s16
                                        ; implicit-def: $vgpr2_vgpr3
.LBB25_312:                             ;   in Loop: Header=BB25_17 Depth=1
	s_and_not1_saveexec_b32 s14, s14
	s_cbranch_execz .LBB25_322
; %bb.313:                              ;   in Loop: Header=BB25_17 Depth=1
	s_mov_b32 s16, exec_lo
                                        ; implicit-def: $vgpr0
	v_cmpx_lt_i16_e32 5, v8
	s_xor_b32 s16, exec_lo, s16
	s_cbranch_execz .LBB25_319
; %bb.314:                              ;   in Loop: Header=BB25_17 Depth=1
	s_mov_b32 s17, exec_lo
                                        ; implicit-def: $vgpr0
	v_cmpx_lt_i16_e32 6, v8
	s_xor_b32 s17, exec_lo, s17
	s_cbranch_execz .LBB25_316
; %bb.315:                              ;   in Loop: Header=BB25_17 Depth=1
	flat_load_b64 v[2:3], v[2:3]
	s_wait_loadcnt_dscnt 0x0
	v_cvt_f32_f64_e32 v0, v[2:3]
                                        ; implicit-def: $vgpr2_vgpr3
.LBB25_316:                             ;   in Loop: Header=BB25_17 Depth=1
	s_wait_xcnt 0x0
	s_and_not1_saveexec_b32 s17, s17
	s_cbranch_execz .LBB25_318
; %bb.317:                              ;   in Loop: Header=BB25_17 Depth=1
	s_wait_loadcnt_dscnt 0x0
	flat_load_b32 v0, v[2:3]
.LBB25_318:                             ;   in Loop: Header=BB25_17 Depth=1
	s_wait_xcnt 0x0
	s_or_b32 exec_lo, exec_lo, s17
                                        ; implicit-def: $vgpr2_vgpr3
.LBB25_319:                             ;   in Loop: Header=BB25_17 Depth=1
	s_and_not1_saveexec_b32 s16, s16
	s_cbranch_execz .LBB25_321
; %bb.320:                              ;   in Loop: Header=BB25_17 Depth=1
	s_wait_loadcnt_dscnt 0x0
	flat_load_u16 v0, v[2:3]
	s_wait_loadcnt_dscnt 0x0
	v_cvt_f32_f16_e32 v0, v0
.LBB25_321:                             ;   in Loop: Header=BB25_17 Depth=1
	s_wait_xcnt 0x0
	s_or_b32 exec_lo, exec_lo, s16
.LBB25_322:                             ;   in Loop: Header=BB25_17 Depth=1
	s_delay_alu instid0(SALU_CYCLE_1)
	s_or_b32 exec_lo, exec_lo, s14
                                        ; implicit-def: $vgpr2_vgpr3
.LBB25_323:                             ;   in Loop: Header=BB25_17 Depth=1
	s_and_not1_saveexec_b32 s11, s11
	s_cbranch_execz .LBB25_341
; %bb.324:                              ;   in Loop: Header=BB25_17 Depth=1
	s_mov_b32 s14, exec_lo
                                        ; implicit-def: $vgpr0
	v_cmpx_lt_i16_e32 1, v8
	s_xor_b32 s14, exec_lo, s14
	s_cbranch_execz .LBB25_334
; %bb.325:                              ;   in Loop: Header=BB25_17 Depth=1
	s_mov_b32 s16, exec_lo
                                        ; implicit-def: $vgpr0
	v_cmpx_lt_i16_e32 2, v8
	s_xor_b32 s16, exec_lo, s16
	;; [unrolled: 6-line block ×3, first 2 shown]
	s_cbranch_execz .LBB25_328
; %bb.327:                              ;   in Loop: Header=BB25_17 Depth=1
	flat_load_b64 v[2:3], v[2:3]
	s_wait_loadcnt_dscnt 0x0
	v_xor_b32_e32 v0, v2, v3
	v_cls_i32_e32 v14, v3
	s_delay_alu instid0(VALU_DEP_2) | instskip(NEXT) | instid1(VALU_DEP_1)
	v_ashrrev_i32_e32 v0, 31, v0
	v_add_nc_u32_e32 v0, 32, v0
	s_delay_alu instid0(VALU_DEP_1) | instskip(SKIP_1) | instid1(VALU_DEP_1)
	v_add_min_u32_e64 v0, v14, -1, v0
	s_wait_xcnt 0x0
	v_lshlrev_b64_e32 v[2:3], v0, v[2:3]
	v_sub_nc_u32_e32 v0, 32, v0
	s_delay_alu instid0(VALU_DEP_2) | instskip(NEXT) | instid1(VALU_DEP_1)
	v_min_u32_e32 v2, 1, v2
	v_or_b32_e32 v2, v3, v2
	s_delay_alu instid0(VALU_DEP_1) | instskip(NEXT) | instid1(VALU_DEP_1)
	v_cvt_f32_i32_e32 v2, v2
	v_ldexp_f32 v0, v2, v0
                                        ; implicit-def: $vgpr2_vgpr3
.LBB25_328:                             ;   in Loop: Header=BB25_17 Depth=1
	s_and_not1_saveexec_b32 s17, s17
	s_cbranch_execz .LBB25_330
; %bb.329:                              ;   in Loop: Header=BB25_17 Depth=1
	s_wait_loadcnt_dscnt 0x0
	flat_load_b32 v0, v[2:3]
	s_wait_loadcnt_dscnt 0x0
	v_cvt_f32_i32_e32 v0, v0
.LBB25_330:                             ;   in Loop: Header=BB25_17 Depth=1
	s_wait_xcnt 0x0
	s_or_b32 exec_lo, exec_lo, s17
                                        ; implicit-def: $vgpr2_vgpr3
.LBB25_331:                             ;   in Loop: Header=BB25_17 Depth=1
	s_and_not1_saveexec_b32 s16, s16
	s_cbranch_execz .LBB25_333
; %bb.332:                              ;   in Loop: Header=BB25_17 Depth=1
	s_wait_loadcnt_dscnt 0x0
	flat_load_i16 v0, v[2:3]
	s_wait_loadcnt_dscnt 0x0
	v_cvt_f32_i32_e32 v0, v0
.LBB25_333:                             ;   in Loop: Header=BB25_17 Depth=1
	s_wait_xcnt 0x0
	s_or_b32 exec_lo, exec_lo, s16
                                        ; implicit-def: $vgpr2_vgpr3
.LBB25_334:                             ;   in Loop: Header=BB25_17 Depth=1
	s_and_not1_saveexec_b32 s14, s14
	s_cbranch_execz .LBB25_340
; %bb.335:                              ;   in Loop: Header=BB25_17 Depth=1
	s_mov_b32 s16, exec_lo
                                        ; implicit-def: $vgpr0
	v_cmpx_lt_i16_e32 0, v8
	s_xor_b32 s16, exec_lo, s16
	s_cbranch_execz .LBB25_337
; %bb.336:                              ;   in Loop: Header=BB25_17 Depth=1
	s_wait_loadcnt_dscnt 0x0
	flat_load_i8 v0, v[2:3]
                                        ; implicit-def: $vgpr2_vgpr3
	s_wait_loadcnt_dscnt 0x0
	v_cvt_f32_i32_e32 v0, v0
.LBB25_337:                             ;   in Loop: Header=BB25_17 Depth=1
	s_wait_xcnt 0x0
	s_and_not1_saveexec_b32 s16, s16
	s_cbranch_execz .LBB25_339
; %bb.338:                              ;   in Loop: Header=BB25_17 Depth=1
	s_wait_loadcnt_dscnt 0x0
	flat_load_u8 v0, v[2:3]
	s_wait_loadcnt_dscnt 0x0
	v_cvt_f32_ubyte0_e32 v0, v0
.LBB25_339:                             ;   in Loop: Header=BB25_17 Depth=1
	s_wait_xcnt 0x0
	s_or_b32 exec_lo, exec_lo, s16
.LBB25_340:                             ;   in Loop: Header=BB25_17 Depth=1
	s_delay_alu instid0(SALU_CYCLE_1)
	s_or_b32 exec_lo, exec_lo, s14
.LBB25_341:                             ;   in Loop: Header=BB25_17 Depth=1
	s_delay_alu instid0(SALU_CYCLE_1) | instskip(NEXT) | instid1(SALU_CYCLE_1)
	s_or_b32 exec_lo, exec_lo, s11
	s_or_b32 s15, s15, exec_lo
.LBB25_342:                             ;   in Loop: Header=BB25_17 Depth=1
	s_or_b32 exec_lo, exec_lo, s10
	s_mov_b32 s10, -1
	s_mov_b32 s16, 0
	s_mov_b32 s11, 0
	s_and_saveexec_b32 s14, s15
	s_cbranch_execz .LBB25_348
; %bb.343:                              ;   in Loop: Header=BB25_17 Depth=1
	s_add_co_i32 s10, s33, s1
	s_mov_b32 s15, 0
	s_add_co_i32 s10, s10, 16
	s_mov_b32 s11, exec_lo
	s_wait_loadcnt_dscnt 0x0
	scratch_store_b32 off, v0, s10 offset:20
	s_wait_xcnt 0x0
	v_mul_lo_u32 v0, v13, v11
	v_and_b32_e32 v13, 0xff, v9
	s_delay_alu instid0(VALU_DEP_2) | instskip(NEXT) | instid1(VALU_DEP_2)
	v_add_nc_u64_e32 v[2:3], v[6:7], v[0:1]
                                        ; implicit-def: $vgpr0
	v_cmpx_lt_i16_e32 10, v13
	s_xor_b32 s11, exec_lo, s11
	s_cbranch_execnz .LBB25_1994
; %bb.344:                              ;   in Loop: Header=BB25_17 Depth=1
	s_and_not1_saveexec_b32 s11, s11
	s_cbranch_execnz .LBB25_2053
.LBB25_345:                             ;   in Loop: Header=BB25_17 Depth=1
	s_or_b32 exec_lo, exec_lo, s11
	s_mov_b32 s16, 0
	s_and_saveexec_b32 s11, s15
	s_cbranch_execz .LBB25_347
.LBB25_346:                             ;   in Loop: Header=BB25_17 Depth=1
	v_add_nc_u32_e32 v12, 0x200, v12
	s_mov_b32 s16, exec_lo
	s_wait_loadcnt_dscnt 0x0
	scratch_store_b32 off, v0, s10 offset:16
.LBB25_347:                             ;   in Loop: Header=BB25_17 Depth=1
	s_wait_xcnt 0x0
	s_or_b32 exec_lo, exec_lo, s11
	s_delay_alu instid0(SALU_CYCLE_1)
	s_mov_b32 s11, exec_lo
	s_xor_b32 s10, exec_lo, -1
	s_and_b32 s16, s16, exec_lo
.LBB25_348:                             ;   in Loop: Header=BB25_17 Depth=1
	s_or_b32 exec_lo, exec_lo, s14
	s_delay_alu instid0(SALU_CYCLE_1)
	s_or_not1_b32 s14, s16, exec_lo
.LBB25_349:                             ;   in Loop: Header=BB25_17 Depth=1
	s_or_b32 exec_lo, exec_lo, s12
	s_and_saveexec_b32 s12, s14
	s_cbranch_execz .LBB25_14
; %bb.350:                              ;   in Loop: Header=BB25_17 Depth=1
	s_mov_b32 s16, -1
	s_mov_b32 s17, -1
	s_mov_b32 s15, exec_lo
                                        ; implicit-def: $sgpr13
                                        ; implicit-def: $sgpr14
	v_cmpx_lt_i32_e64 v12, v211
	s_cbranch_execz .LBB25_460
; %bb.351:                              ;   in Loop: Header=BB25_17 Depth=1
	v_add_nc_u32_e32 v13, s60, v12
	s_mov_b32 s18, 0
	s_mov_b32 s13, exec_lo
	s_wait_loadcnt_dscnt 0x0
	s_delay_alu instid0(VALU_DEP_1) | instskip(NEXT) | instid1(VALU_DEP_1)
	v_mul_lo_u32 v0, v13, v10
	v_add_nc_u64_e32 v[2:3], v[4:5], v[0:1]
                                        ; implicit-def: $vgpr0
	v_cmpx_lt_i16_e32 10, v8
	s_xor_b32 s13, exec_lo, s13
	s_cbranch_execz .LBB25_411
; %bb.352:                              ;   in Loop: Header=BB25_17 Depth=1
	s_mov_b32 s17, 0
	s_mov_b32 s14, exec_lo
                                        ; implicit-def: $vgpr0
	v_cmpx_lt_i16_e32 25, v8
	s_xor_b32 s14, exec_lo, s14
	s_cbranch_execz .LBB25_384
; %bb.353:                              ;   in Loop: Header=BB25_17 Depth=1
	s_mov_b32 s18, exec_lo
                                        ; implicit-def: $vgpr0
	v_cmpx_lt_i16_e32 28, v8
	s_xor_b32 s18, exec_lo, s18
	s_cbranch_execz .LBB25_369
; %bb.354:                              ;   in Loop: Header=BB25_17 Depth=1
	s_mov_b32 s19, 0
	s_mov_b32 s17, exec_lo
                                        ; implicit-def: $vgpr0
	v_cmpx_lt_i16_e32 43, v8
	s_xor_b32 s17, exec_lo, s17
	s_cbranch_execz .LBB25_364
; %bb.355:                              ;   in Loop: Header=BB25_17 Depth=1
	s_mov_b32 s20, exec_lo
                                        ; implicit-def: $vgpr0
	v_cmpx_lt_i16_e32 45, v8
	s_xor_b32 s20, exec_lo, s20
	s_cbranch_execz .LBB25_359
; %bb.356:                              ;   in Loop: Header=BB25_17 Depth=1
	s_mov_b32 s21, exec_lo
                                        ; implicit-def: $vgpr0
	v_cmpx_eq_u16_e32 46, v8
	s_cbranch_execz .LBB25_358
; %bb.357:                              ;   in Loop: Header=BB25_17 Depth=1
	flat_load_b32 v0, v[2:3]
	s_mov_b32 s19, exec_lo
	s_wait_loadcnt_dscnt 0x0
	v_lshlrev_b32_e32 v0, 16, v0
.LBB25_358:                             ;   in Loop: Header=BB25_17 Depth=1
	s_wait_xcnt 0x0
	s_or_b32 exec_lo, exec_lo, s21
	s_delay_alu instid0(SALU_CYCLE_1)
	s_and_b32 s19, s19, exec_lo
                                        ; implicit-def: $vgpr2_vgpr3
.LBB25_359:                             ;   in Loop: Header=BB25_17 Depth=1
	s_and_not1_saveexec_b32 s20, s20
	s_cbranch_execz .LBB25_363
; %bb.360:                              ;   in Loop: Header=BB25_17 Depth=1
	s_mov_b32 s22, s19
	s_mov_b32 s21, exec_lo
                                        ; implicit-def: $vgpr0
	v_cmpx_eq_u16_e32 44, v8
	s_cbranch_execz .LBB25_362
; %bb.361:                              ;   in Loop: Header=BB25_17 Depth=1
	flat_load_u8 v0, v[2:3]
	s_or_b32 s22, s19, exec_lo
	s_wait_loadcnt_dscnt 0x0
	v_lshlrev_b32_e32 v2, 23, v0
	v_cmp_ne_u32_e32 vcc_lo, 0xff, v0
	s_delay_alu instid0(VALU_DEP_2) | instskip(SKIP_1) | instid1(VALU_DEP_2)
	v_cndmask_b32_e32 v2, 0x7f800001, v2, vcc_lo
	v_cmp_ne_u32_e32 vcc_lo, 0, v0
	v_cndmask_b32_e32 v0, 0x400000, v2, vcc_lo
.LBB25_362:                             ;   in Loop: Header=BB25_17 Depth=1
	s_or_b32 exec_lo, exec_lo, s21
	s_delay_alu instid0(SALU_CYCLE_1) | instskip(SKIP_1) | instid1(SALU_CYCLE_1)
	s_and_not1_b32 s19, s19, exec_lo
	s_and_b32 s21, s22, exec_lo
	s_or_b32 s19, s19, s21
.LBB25_363:                             ;   in Loop: Header=BB25_17 Depth=1
	s_or_b32 exec_lo, exec_lo, s20
	s_delay_alu instid0(SALU_CYCLE_1)
	s_and_b32 s19, s19, exec_lo
                                        ; implicit-def: $vgpr2_vgpr3
.LBB25_364:                             ;   in Loop: Header=BB25_17 Depth=1
	s_and_not1_saveexec_b32 s17, s17
	s_cbranch_execz .LBB25_368
; %bb.365:                              ;   in Loop: Header=BB25_17 Depth=1
	s_mov_b32 s21, s19
	s_mov_b32 s20, exec_lo
                                        ; implicit-def: $vgpr0
	v_cmpx_eq_u16_e32 29, v8
	s_cbranch_execz .LBB25_367
; %bb.366:                              ;   in Loop: Header=BB25_17 Depth=1
	flat_load_b64 v[2:3], v[2:3]
	s_or_b32 s21, s19, exec_lo
	s_wait_loadcnt_dscnt 0x0
	v_clz_i32_u32_e32 v0, v3
	s_delay_alu instid0(VALU_DEP_1) | instskip(SKIP_1) | instid1(VALU_DEP_1)
	v_min_u32_e32 v0, 32, v0
	s_wait_xcnt 0x0
	v_lshlrev_b64_e32 v[2:3], v0, v[2:3]
	v_sub_nc_u32_e32 v0, 32, v0
	s_delay_alu instid0(VALU_DEP_2) | instskip(NEXT) | instid1(VALU_DEP_1)
	v_min_u32_e32 v2, 1, v2
	v_or_b32_e32 v2, v3, v2
	s_delay_alu instid0(VALU_DEP_1) | instskip(NEXT) | instid1(VALU_DEP_1)
	v_cvt_f32_u32_e32 v2, v2
	v_ldexp_f32 v0, v2, v0
.LBB25_367:                             ;   in Loop: Header=BB25_17 Depth=1
	s_or_b32 exec_lo, exec_lo, s20
	s_delay_alu instid0(SALU_CYCLE_1) | instskip(SKIP_1) | instid1(SALU_CYCLE_1)
	s_and_not1_b32 s19, s19, exec_lo
	s_and_b32 s20, s21, exec_lo
	s_or_b32 s19, s19, s20
.LBB25_368:                             ;   in Loop: Header=BB25_17 Depth=1
	s_or_b32 exec_lo, exec_lo, s17
	s_delay_alu instid0(SALU_CYCLE_1)
	s_and_b32 s17, s19, exec_lo
                                        ; implicit-def: $vgpr2_vgpr3
.LBB25_369:                             ;   in Loop: Header=BB25_17 Depth=1
	s_and_not1_saveexec_b32 s18, s18
	s_cbranch_execz .LBB25_383
; %bb.370:                              ;   in Loop: Header=BB25_17 Depth=1
	s_mov_b32 s19, exec_lo
                                        ; implicit-def: $vgpr0
	v_cmpx_lt_i16_e32 26, v8
	s_xor_b32 s19, exec_lo, s19
	s_cbranch_execz .LBB25_376
; %bb.371:                              ;   in Loop: Header=BB25_17 Depth=1
	s_mov_b32 s20, exec_lo
                                        ; implicit-def: $vgpr0
	v_cmpx_lt_i16_e32 27, v8
	s_xor_b32 s20, exec_lo, s20
	s_cbranch_execz .LBB25_373
; %bb.372:                              ;   in Loop: Header=BB25_17 Depth=1
	flat_load_b32 v0, v[2:3]
                                        ; implicit-def: $vgpr2_vgpr3
	s_wait_loadcnt_dscnt 0x0
	v_cvt_f32_u32_e32 v0, v0
.LBB25_373:                             ;   in Loop: Header=BB25_17 Depth=1
	s_wait_xcnt 0x0
	s_and_not1_saveexec_b32 s20, s20
	s_cbranch_execz .LBB25_375
; %bb.374:                              ;   in Loop: Header=BB25_17 Depth=1
	flat_load_u16 v0, v[2:3]
	s_wait_loadcnt_dscnt 0x0
	v_cvt_f32_u32_e32 v0, v0
.LBB25_375:                             ;   in Loop: Header=BB25_17 Depth=1
	s_wait_xcnt 0x0
	s_or_b32 exec_lo, exec_lo, s20
                                        ; implicit-def: $vgpr2_vgpr3
.LBB25_376:                             ;   in Loop: Header=BB25_17 Depth=1
	s_and_not1_saveexec_b32 s19, s19
	s_cbranch_execz .LBB25_382
; %bb.377:                              ;   in Loop: Header=BB25_17 Depth=1
	flat_load_u8 v2, v[2:3]
	s_mov_b32 s20, 0
	s_mov_b32 s21, exec_lo
	s_wait_loadcnt_dscnt 0x0
	v_cmpx_lt_i16_e32 0x7f, v2
	s_xor_b32 s21, exec_lo, s21
	s_cbranch_execnz .LBB25_2430
; %bb.378:                              ;   in Loop: Header=BB25_17 Depth=1
	s_or_saveexec_b32 s21, s21
	v_mov_b32_e32 v0, 0x7f800001
	s_xor_b32 exec_lo, exec_lo, s21
	s_cbranch_execnz .LBB25_2433
.LBB25_379:                             ;   in Loop: Header=BB25_17 Depth=1
	s_or_b32 exec_lo, exec_lo, s21
	s_and_saveexec_b32 s21, s20
	s_cbranch_execz .LBB25_381
.LBB25_380:                             ;   in Loop: Header=BB25_17 Depth=1
	v_and_b32_e32 v0, 0xffff, v2
	s_delay_alu instid0(VALU_DEP_1) | instskip(SKIP_1) | instid1(VALU_DEP_2)
	v_and_b32_e32 v3, 7, v0
	v_bfe_u32 v16, v0, 3, 4
	v_clz_i32_u32_e32 v14, v3
	s_delay_alu instid0(VALU_DEP_2) | instskip(NEXT) | instid1(VALU_DEP_2)
	v_cmp_eq_u32_e32 vcc_lo, 0, v16
	v_min_u32_e32 v14, 32, v14
	s_delay_alu instid0(VALU_DEP_1) | instskip(NEXT) | instid1(VALU_DEP_1)
	v_subrev_nc_u32_e32 v15, 28, v14
	v_dual_lshlrev_b32 v0, v15, v0 :: v_dual_sub_nc_u32 v14, 29, v14
	s_delay_alu instid0(VALU_DEP_1) | instskip(NEXT) | instid1(VALU_DEP_1)
	v_dual_lshlrev_b32 v2, 24, v2 :: v_dual_bitop2_b32 v0, 7, v0 bitop3:0x40
	v_dual_cndmask_b32 v0, v3, v0, vcc_lo :: v_dual_cndmask_b32 v14, v16, v14, vcc_lo
	s_delay_alu instid0(VALU_DEP_2) | instskip(NEXT) | instid1(VALU_DEP_2)
	v_and_b32_e32 v2, 0x80000000, v2
	v_lshlrev_b32_e32 v0, 20, v0
	s_delay_alu instid0(VALU_DEP_3) | instskip(NEXT) | instid1(VALU_DEP_1)
	v_lshl_add_u32 v3, v14, 23, 0x3b800000
	v_or3_b32 v0, v2, v3, v0
.LBB25_381:                             ;   in Loop: Header=BB25_17 Depth=1
	s_or_b32 exec_lo, exec_lo, s21
.LBB25_382:                             ;   in Loop: Header=BB25_17 Depth=1
	s_delay_alu instid0(SALU_CYCLE_1) | instskip(NEXT) | instid1(SALU_CYCLE_1)
	s_or_b32 exec_lo, exec_lo, s19
	s_or_b32 s17, s17, exec_lo
.LBB25_383:                             ;   in Loop: Header=BB25_17 Depth=1
	s_or_b32 exec_lo, exec_lo, s18
	s_delay_alu instid0(SALU_CYCLE_1)
	s_and_b32 s17, s17, exec_lo
                                        ; implicit-def: $vgpr2_vgpr3
.LBB25_384:                             ;   in Loop: Header=BB25_17 Depth=1
	s_and_not1_saveexec_b32 s14, s14
	s_cbranch_execz .LBB25_410
; %bb.385:                              ;   in Loop: Header=BB25_17 Depth=1
	s_mov_b32 s19, s17
	s_mov_b32 s18, exec_lo
                                        ; implicit-def: $vgpr0
	v_cmpx_lt_i16_e32 22, v8
	s_xor_b32 s18, exec_lo, s18
	s_cbranch_execz .LBB25_399
; %bb.386:                              ;   in Loop: Header=BB25_17 Depth=1
	s_mov_b32 s19, exec_lo
                                        ; implicit-def: $vgpr0
	v_cmpx_lt_i16_e32 23, v8
	s_xor_b32 s19, exec_lo, s19
	s_cbranch_execz .LBB25_396
; %bb.387:                              ;   in Loop: Header=BB25_17 Depth=1
	;; [unrolled: 6-line block ×3, first 2 shown]
	flat_load_u8 v2, v[2:3]
	s_mov_b32 s21, 0
	s_mov_b32 s22, exec_lo
	s_wait_loadcnt_dscnt 0x0
	v_cmpx_lt_i16_e32 0x7f, v2
	s_xor_b32 s22, exec_lo, s22
	s_cbranch_execnz .LBB25_2542
; %bb.389:                              ;   in Loop: Header=BB25_17 Depth=1
	s_or_saveexec_b32 s22, s22
	v_mov_b32_e32 v0, 0x7f800001
	s_xor_b32 exec_lo, exec_lo, s22
	s_cbranch_execnz .LBB25_2545
.LBB25_390:                             ;   in Loop: Header=BB25_17 Depth=1
	s_or_b32 exec_lo, exec_lo, s22
	s_and_saveexec_b32 s22, s21
	s_cbranch_execz .LBB25_392
.LBB25_391:                             ;   in Loop: Header=BB25_17 Depth=1
	v_and_b32_e32 v0, 0xffff, v2
	s_delay_alu instid0(VALU_DEP_1) | instskip(SKIP_1) | instid1(VALU_DEP_2)
	v_and_b32_e32 v3, 3, v0
	v_bfe_u32 v16, v0, 2, 5
	v_clz_i32_u32_e32 v14, v3
	s_delay_alu instid0(VALU_DEP_2) | instskip(NEXT) | instid1(VALU_DEP_2)
	v_cmp_eq_u32_e32 vcc_lo, 0, v16
	v_min_u32_e32 v14, 32, v14
	s_delay_alu instid0(VALU_DEP_1) | instskip(NEXT) | instid1(VALU_DEP_1)
	v_subrev_nc_u32_e32 v15, 29, v14
	v_dual_lshlrev_b32 v0, v15, v0 :: v_dual_sub_nc_u32 v14, 30, v14
	s_delay_alu instid0(VALU_DEP_1) | instskip(NEXT) | instid1(VALU_DEP_1)
	v_dual_lshlrev_b32 v2, 24, v2 :: v_dual_bitop2_b32 v0, 3, v0 bitop3:0x40
	v_dual_cndmask_b32 v0, v3, v0, vcc_lo :: v_dual_cndmask_b32 v14, v16, v14, vcc_lo
	s_delay_alu instid0(VALU_DEP_2) | instskip(NEXT) | instid1(VALU_DEP_2)
	v_and_b32_e32 v2, 0x80000000, v2
	v_lshlrev_b32_e32 v0, 21, v0
	s_delay_alu instid0(VALU_DEP_3) | instskip(NEXT) | instid1(VALU_DEP_1)
	v_lshl_add_u32 v3, v14, 23, 0x37800000
	v_or3_b32 v0, v2, v3, v0
.LBB25_392:                             ;   in Loop: Header=BB25_17 Depth=1
	s_or_b32 exec_lo, exec_lo, s22
                                        ; implicit-def: $vgpr2_vgpr3
.LBB25_393:                             ;   in Loop: Header=BB25_17 Depth=1
	s_and_not1_saveexec_b32 s20, s20
	s_cbranch_execz .LBB25_395
; %bb.394:                              ;   in Loop: Header=BB25_17 Depth=1
	flat_load_u8 v0, v[2:3]
	s_wait_loadcnt_dscnt 0x0
	v_lshlrev_b32_e32 v0, 24, v0
	s_wait_xcnt 0x0
	s_delay_alu instid0(VALU_DEP_1) | instskip(NEXT) | instid1(VALU_DEP_1)
	v_and_b32_e32 v2, 0x7f000000, v0
	v_clz_i32_u32_e32 v3, v2
	v_cmp_ne_u32_e32 vcc_lo, 0, v2
	v_add_nc_u32_e32 v15, 0x1000000, v2
	s_delay_alu instid0(VALU_DEP_3) | instskip(NEXT) | instid1(VALU_DEP_1)
	v_min_u32_e32 v3, 32, v3
	v_sub_nc_u32_e64 v3, v3, 4 clamp
	s_delay_alu instid0(VALU_DEP_1) | instskip(NEXT) | instid1(VALU_DEP_1)
	v_dual_lshlrev_b32 v14, v3, v2 :: v_dual_lshlrev_b32 v3, 23, v3
	v_lshrrev_b32_e32 v14, 4, v14
	s_delay_alu instid0(VALU_DEP_1) | instskip(SKIP_1) | instid1(VALU_DEP_2)
	v_sub_nc_u32_e32 v3, v14, v3
	v_ashrrev_i32_e32 v14, 8, v15
	v_add_nc_u32_e32 v3, 0x3c000000, v3
	s_delay_alu instid0(VALU_DEP_1) | instskip(NEXT) | instid1(VALU_DEP_1)
	v_and_or_b32 v3, 0x7f800000, v14, v3
	v_cndmask_b32_e32 v2, 0, v3, vcc_lo
	s_delay_alu instid0(VALU_DEP_1)
	v_and_or_b32 v0, 0x80000000, v0, v2
.LBB25_395:                             ;   in Loop: Header=BB25_17 Depth=1
	s_or_b32 exec_lo, exec_lo, s20
                                        ; implicit-def: $vgpr2_vgpr3
.LBB25_396:                             ;   in Loop: Header=BB25_17 Depth=1
	s_and_not1_saveexec_b32 s19, s19
	s_cbranch_execz .LBB25_398
; %bb.397:                              ;   in Loop: Header=BB25_17 Depth=1
	flat_load_u8 v0, v[2:3]
	s_wait_loadcnt_dscnt 0x0
	v_lshlrev_b32_e32 v2, 25, v0
	v_lshlrev_b16 v0, 8, v0
	s_delay_alu instid0(VALU_DEP_1) | instskip(SKIP_1) | instid1(VALU_DEP_2)
	v_and_or_b32 v14, 0x7f00, v0, 0.5
	v_bfe_i32 v0, v0, 0, 16
	v_add_f32_e32 v14, -0.5, v14
	v_lshrrev_b32_e32 v3, 4, v2
	v_cmp_gt_u32_e32 vcc_lo, 0x8000000, v2
	s_delay_alu instid0(VALU_DEP_2) | instskip(NEXT) | instid1(VALU_DEP_1)
	v_or_b32_e32 v3, 0x70000000, v3
	v_mul_f32_e32 v3, 0x7800000, v3
	s_delay_alu instid0(VALU_DEP_1) | instskip(NEXT) | instid1(VALU_DEP_1)
	v_cndmask_b32_e32 v2, v3, v14, vcc_lo
	v_and_or_b32 v0, 0x80000000, v0, v2
.LBB25_398:                             ;   in Loop: Header=BB25_17 Depth=1
	s_or_b32 exec_lo, exec_lo, s19
	s_delay_alu instid0(SALU_CYCLE_1)
	s_or_b32 s19, s17, exec_lo
                                        ; implicit-def: $vgpr2_vgpr3
.LBB25_399:                             ;   in Loop: Header=BB25_17 Depth=1
	s_and_not1_saveexec_b32 s18, s18
	s_cbranch_execz .LBB25_409
; %bb.400:                              ;   in Loop: Header=BB25_17 Depth=1
	s_mov_b32 s20, s19
	s_mov_b32 s21, exec_lo
                                        ; implicit-def: $vgpr0
	v_cmpx_lt_i16_e32 14, v8
	s_xor_b32 s21, exec_lo, s21
	s_cbranch_execz .LBB25_404
; %bb.401:                              ;   in Loop: Header=BB25_17 Depth=1
	s_mov_b32 s20, s19
	s_mov_b32 s22, exec_lo
                                        ; implicit-def: $vgpr0
	v_cmpx_eq_u16_e32 15, v8
	s_cbranch_execz .LBB25_403
; %bb.402:                              ;   in Loop: Header=BB25_17 Depth=1
	flat_load_u16 v0, v[2:3]
	s_or_b32 s20, s19, exec_lo
	s_wait_loadcnt_dscnt 0x0
	v_lshlrev_b32_e32 v0, 16, v0
.LBB25_403:                             ;   in Loop: Header=BB25_17 Depth=1
	s_wait_xcnt 0x0
	s_or_b32 exec_lo, exec_lo, s22
	s_delay_alu instid0(SALU_CYCLE_1) | instskip(SKIP_1) | instid1(SALU_CYCLE_1)
	s_and_not1_b32 s22, s19, exec_lo
	s_and_b32 s20, s20, exec_lo
                                        ; implicit-def: $vgpr2_vgpr3
	s_or_b32 s20, s22, s20
.LBB25_404:                             ;   in Loop: Header=BB25_17 Depth=1
	s_and_not1_saveexec_b32 s21, s21
	s_cbranch_execz .LBB25_408
; %bb.405:                              ;   in Loop: Header=BB25_17 Depth=1
	s_mov_b32 s22, s20
	s_mov_b32 s23, exec_lo
                                        ; implicit-def: $vgpr0
	v_cmpx_eq_u16_e32 11, v8
	s_cbranch_execz .LBB25_407
; %bb.406:                              ;   in Loop: Header=BB25_17 Depth=1
	flat_load_u8 v0, v[2:3]
	s_or_b32 s22, s20, exec_lo
	s_wait_loadcnt_dscnt 0x0
	v_cmp_ne_u16_e32 vcc_lo, 0, v0
	v_cndmask_b32_e64 v0, 0, 1.0, vcc_lo
.LBB25_407:                             ;   in Loop: Header=BB25_17 Depth=1
	s_wait_xcnt 0x0
	s_or_b32 exec_lo, exec_lo, s23
	s_delay_alu instid0(SALU_CYCLE_1) | instskip(SKIP_1) | instid1(SALU_CYCLE_1)
	s_and_not1_b32 s20, s20, exec_lo
	s_and_b32 s22, s22, exec_lo
	s_or_b32 s20, s20, s22
.LBB25_408:                             ;   in Loop: Header=BB25_17 Depth=1
	s_or_b32 exec_lo, exec_lo, s21
	s_delay_alu instid0(SALU_CYCLE_1) | instskip(SKIP_1) | instid1(SALU_CYCLE_1)
	s_and_not1_b32 s19, s19, exec_lo
	s_and_b32 s20, s20, exec_lo
	s_or_b32 s19, s19, s20
.LBB25_409:                             ;   in Loop: Header=BB25_17 Depth=1
	s_or_b32 exec_lo, exec_lo, s18
	s_delay_alu instid0(SALU_CYCLE_1) | instskip(SKIP_1) | instid1(SALU_CYCLE_1)
	s_and_not1_b32 s17, s17, exec_lo
	s_and_b32 s18, s19, exec_lo
	s_or_b32 s17, s17, s18
.LBB25_410:                             ;   in Loop: Header=BB25_17 Depth=1
	s_or_b32 exec_lo, exec_lo, s14
	s_delay_alu instid0(SALU_CYCLE_1)
	s_and_b32 s18, s17, exec_lo
                                        ; implicit-def: $vgpr2_vgpr3
.LBB25_411:                             ;   in Loop: Header=BB25_17 Depth=1
	s_and_not1_saveexec_b32 s13, s13
	s_cbranch_execz .LBB25_453
; %bb.412:                              ;   in Loop: Header=BB25_17 Depth=1
	s_mov_b32 s14, exec_lo
                                        ; implicit-def: $vgpr0
	v_cmpx_lt_i16_e32 4, v8
	s_xor_b32 s14, exec_lo, s14
	s_cbranch_execz .LBB25_434
; %bb.413:                              ;   in Loop: Header=BB25_17 Depth=1
	s_mov_b32 s17, exec_lo
                                        ; implicit-def: $vgpr0
	v_cmpx_lt_i16_e32 7, v8
	s_xor_b32 s17, exec_lo, s17
	;; [unrolled: 6-line block ×4, first 2 shown]
	s_cbranch_execz .LBB25_417
; %bb.416:                              ;   in Loop: Header=BB25_17 Depth=1
	flat_load_b64 v[2:3], v[2:3]
	s_wait_loadcnt_dscnt 0x0
	v_cvt_f32_f64_e32 v0, v[2:3]
                                        ; implicit-def: $vgpr2_vgpr3
.LBB25_417:                             ;   in Loop: Header=BB25_17 Depth=1
	s_wait_xcnt 0x0
	s_and_not1_saveexec_b32 s20, s20
	s_cbranch_execz .LBB25_419
; %bb.418:                              ;   in Loop: Header=BB25_17 Depth=1
	flat_load_b32 v0, v[2:3]
.LBB25_419:                             ;   in Loop: Header=BB25_17 Depth=1
	s_wait_xcnt 0x0
	s_or_b32 exec_lo, exec_lo, s20
                                        ; implicit-def: $vgpr2_vgpr3
.LBB25_420:                             ;   in Loop: Header=BB25_17 Depth=1
	s_and_not1_saveexec_b32 s19, s19
	s_cbranch_execz .LBB25_422
; %bb.421:                              ;   in Loop: Header=BB25_17 Depth=1
	s_wait_loadcnt_dscnt 0x0
	flat_load_b32 v0, v[2:3]
	s_wait_loadcnt_dscnt 0x0
	v_cvt_f32_f16_e32 v0, v0
.LBB25_422:                             ;   in Loop: Header=BB25_17 Depth=1
	s_wait_xcnt 0x0
	s_or_b32 exec_lo, exec_lo, s19
                                        ; implicit-def: $vgpr2_vgpr3
.LBB25_423:                             ;   in Loop: Header=BB25_17 Depth=1
	s_and_not1_saveexec_b32 s17, s17
	s_cbranch_execz .LBB25_433
; %bb.424:                              ;   in Loop: Header=BB25_17 Depth=1
	s_mov_b32 s19, exec_lo
                                        ; implicit-def: $vgpr0
	v_cmpx_lt_i16_e32 5, v8
	s_xor_b32 s19, exec_lo, s19
	s_cbranch_execz .LBB25_430
; %bb.425:                              ;   in Loop: Header=BB25_17 Depth=1
	s_mov_b32 s20, exec_lo
                                        ; implicit-def: $vgpr0
	v_cmpx_lt_i16_e32 6, v8
	s_xor_b32 s20, exec_lo, s20
	s_cbranch_execz .LBB25_427
; %bb.426:                              ;   in Loop: Header=BB25_17 Depth=1
	flat_load_b64 v[2:3], v[2:3]
	s_wait_loadcnt_dscnt 0x0
	v_cvt_f32_f64_e32 v0, v[2:3]
                                        ; implicit-def: $vgpr2_vgpr3
.LBB25_427:                             ;   in Loop: Header=BB25_17 Depth=1
	s_wait_xcnt 0x0
	s_and_not1_saveexec_b32 s20, s20
	s_cbranch_execz .LBB25_429
; %bb.428:                              ;   in Loop: Header=BB25_17 Depth=1
	s_wait_loadcnt_dscnt 0x0
	flat_load_b32 v0, v[2:3]
.LBB25_429:                             ;   in Loop: Header=BB25_17 Depth=1
	s_wait_xcnt 0x0
	s_or_b32 exec_lo, exec_lo, s20
                                        ; implicit-def: $vgpr2_vgpr3
.LBB25_430:                             ;   in Loop: Header=BB25_17 Depth=1
	s_and_not1_saveexec_b32 s19, s19
	s_cbranch_execz .LBB25_432
; %bb.431:                              ;   in Loop: Header=BB25_17 Depth=1
	s_wait_loadcnt_dscnt 0x0
	flat_load_u16 v0, v[2:3]
	s_wait_loadcnt_dscnt 0x0
	v_cvt_f32_f16_e32 v0, v0
.LBB25_432:                             ;   in Loop: Header=BB25_17 Depth=1
	s_wait_xcnt 0x0
	s_or_b32 exec_lo, exec_lo, s19
.LBB25_433:                             ;   in Loop: Header=BB25_17 Depth=1
	s_delay_alu instid0(SALU_CYCLE_1)
	s_or_b32 exec_lo, exec_lo, s17
                                        ; implicit-def: $vgpr2_vgpr3
.LBB25_434:                             ;   in Loop: Header=BB25_17 Depth=1
	s_and_not1_saveexec_b32 s14, s14
	s_cbranch_execz .LBB25_452
; %bb.435:                              ;   in Loop: Header=BB25_17 Depth=1
	s_mov_b32 s17, exec_lo
                                        ; implicit-def: $vgpr0
	v_cmpx_lt_i16_e32 1, v8
	s_xor_b32 s17, exec_lo, s17
	s_cbranch_execz .LBB25_445
; %bb.436:                              ;   in Loop: Header=BB25_17 Depth=1
	s_mov_b32 s19, exec_lo
                                        ; implicit-def: $vgpr0
	v_cmpx_lt_i16_e32 2, v8
	s_xor_b32 s19, exec_lo, s19
	;; [unrolled: 6-line block ×3, first 2 shown]
	s_cbranch_execz .LBB25_439
; %bb.438:                              ;   in Loop: Header=BB25_17 Depth=1
	flat_load_b64 v[2:3], v[2:3]
	s_wait_loadcnt_dscnt 0x0
	v_xor_b32_e32 v0, v2, v3
	v_cls_i32_e32 v14, v3
	s_delay_alu instid0(VALU_DEP_2) | instskip(NEXT) | instid1(VALU_DEP_1)
	v_ashrrev_i32_e32 v0, 31, v0
	v_add_nc_u32_e32 v0, 32, v0
	s_delay_alu instid0(VALU_DEP_1) | instskip(SKIP_1) | instid1(VALU_DEP_1)
	v_add_min_u32_e64 v0, v14, -1, v0
	s_wait_xcnt 0x0
	v_lshlrev_b64_e32 v[2:3], v0, v[2:3]
	v_sub_nc_u32_e32 v0, 32, v0
	s_delay_alu instid0(VALU_DEP_2) | instskip(NEXT) | instid1(VALU_DEP_1)
	v_min_u32_e32 v2, 1, v2
	v_or_b32_e32 v2, v3, v2
	s_delay_alu instid0(VALU_DEP_1) | instskip(NEXT) | instid1(VALU_DEP_1)
	v_cvt_f32_i32_e32 v2, v2
	v_ldexp_f32 v0, v2, v0
                                        ; implicit-def: $vgpr2_vgpr3
.LBB25_439:                             ;   in Loop: Header=BB25_17 Depth=1
	s_and_not1_saveexec_b32 s20, s20
	s_cbranch_execz .LBB25_441
; %bb.440:                              ;   in Loop: Header=BB25_17 Depth=1
	s_wait_loadcnt_dscnt 0x0
	flat_load_b32 v0, v[2:3]
	s_wait_loadcnt_dscnt 0x0
	v_cvt_f32_i32_e32 v0, v0
.LBB25_441:                             ;   in Loop: Header=BB25_17 Depth=1
	s_wait_xcnt 0x0
	s_or_b32 exec_lo, exec_lo, s20
                                        ; implicit-def: $vgpr2_vgpr3
.LBB25_442:                             ;   in Loop: Header=BB25_17 Depth=1
	s_and_not1_saveexec_b32 s19, s19
	s_cbranch_execz .LBB25_444
; %bb.443:                              ;   in Loop: Header=BB25_17 Depth=1
	s_wait_loadcnt_dscnt 0x0
	flat_load_i16 v0, v[2:3]
	s_wait_loadcnt_dscnt 0x0
	v_cvt_f32_i32_e32 v0, v0
.LBB25_444:                             ;   in Loop: Header=BB25_17 Depth=1
	s_wait_xcnt 0x0
	s_or_b32 exec_lo, exec_lo, s19
                                        ; implicit-def: $vgpr2_vgpr3
.LBB25_445:                             ;   in Loop: Header=BB25_17 Depth=1
	s_and_not1_saveexec_b32 s17, s17
	s_cbranch_execz .LBB25_451
; %bb.446:                              ;   in Loop: Header=BB25_17 Depth=1
	s_mov_b32 s19, exec_lo
                                        ; implicit-def: $vgpr0
	v_cmpx_lt_i16_e32 0, v8
	s_xor_b32 s19, exec_lo, s19
	s_cbranch_execz .LBB25_448
; %bb.447:                              ;   in Loop: Header=BB25_17 Depth=1
	s_wait_loadcnt_dscnt 0x0
	flat_load_i8 v0, v[2:3]
                                        ; implicit-def: $vgpr2_vgpr3
	s_wait_loadcnt_dscnt 0x0
	v_cvt_f32_i32_e32 v0, v0
.LBB25_448:                             ;   in Loop: Header=BB25_17 Depth=1
	s_wait_xcnt 0x0
	s_and_not1_saveexec_b32 s19, s19
	s_cbranch_execz .LBB25_450
; %bb.449:                              ;   in Loop: Header=BB25_17 Depth=1
	s_wait_loadcnt_dscnt 0x0
	flat_load_u8 v0, v[2:3]
	s_wait_loadcnt_dscnt 0x0
	v_cvt_f32_ubyte0_e32 v0, v0
.LBB25_450:                             ;   in Loop: Header=BB25_17 Depth=1
	s_wait_xcnt 0x0
	s_or_b32 exec_lo, exec_lo, s19
.LBB25_451:                             ;   in Loop: Header=BB25_17 Depth=1
	s_delay_alu instid0(SALU_CYCLE_1)
	s_or_b32 exec_lo, exec_lo, s17
.LBB25_452:                             ;   in Loop: Header=BB25_17 Depth=1
	s_delay_alu instid0(SALU_CYCLE_1) | instskip(NEXT) | instid1(SALU_CYCLE_1)
	s_or_b32 exec_lo, exec_lo, s14
	s_or_b32 s18, s18, exec_lo
.LBB25_453:                             ;   in Loop: Header=BB25_17 Depth=1
	s_or_b32 exec_lo, exec_lo, s13
	s_mov_b32 s13, -1
	s_mov_b32 s19, 0
	s_mov_b32 s14, 0
	s_and_saveexec_b32 s17, s18
	s_cbranch_execz .LBB25_459
; %bb.454:                              ;   in Loop: Header=BB25_17 Depth=1
	s_add_co_i32 s13, s33, s1
	s_mov_b32 s18, 0
	s_add_co_i32 s13, s13, 16
	s_mov_b32 s14, exec_lo
	s_wait_loadcnt_dscnt 0x0
	scratch_store_b32 off, v0, s13 offset:28
	s_wait_xcnt 0x0
	v_mul_lo_u32 v0, v13, v11
	v_and_b32_e32 v13, 0xff, v9
	s_delay_alu instid0(VALU_DEP_2) | instskip(NEXT) | instid1(VALU_DEP_2)
	v_add_nc_u64_e32 v[2:3], v[6:7], v[0:1]
                                        ; implicit-def: $vgpr0
	v_cmpx_lt_i16_e32 10, v13
	s_xor_b32 s14, exec_lo, s14
	s_cbranch_execnz .LBB25_2098
; %bb.455:                              ;   in Loop: Header=BB25_17 Depth=1
	s_and_not1_saveexec_b32 s14, s14
	s_cbranch_execnz .LBB25_2157
.LBB25_456:                             ;   in Loop: Header=BB25_17 Depth=1
	s_or_b32 exec_lo, exec_lo, s14
	s_mov_b32 s19, 0
	s_and_saveexec_b32 s14, s18
	s_cbranch_execz .LBB25_458
.LBB25_457:                             ;   in Loop: Header=BB25_17 Depth=1
	v_add_nc_u32_e32 v12, 0x200, v12
	s_mov_b32 s19, exec_lo
	s_wait_loadcnt_dscnt 0x0
	scratch_store_b32 off, v0, s13 offset:24
.LBB25_458:                             ;   in Loop: Header=BB25_17 Depth=1
	s_wait_xcnt 0x0
	s_or_b32 exec_lo, exec_lo, s14
	s_delay_alu instid0(SALU_CYCLE_1)
	s_mov_b32 s14, exec_lo
	s_xor_b32 s13, exec_lo, -1
	s_and_b32 s19, s19, exec_lo
.LBB25_459:                             ;   in Loop: Header=BB25_17 Depth=1
	s_or_b32 exec_lo, exec_lo, s17
	s_delay_alu instid0(SALU_CYCLE_1)
	s_or_not1_b32 s17, s19, exec_lo
.LBB25_460:                             ;   in Loop: Header=BB25_17 Depth=1
	s_or_b32 exec_lo, exec_lo, s15
	s_and_saveexec_b32 s15, s17
	s_cbranch_execz .LBB25_13
; %bb.461:                              ;   in Loop: Header=BB25_17 Depth=1
	s_mov_b32 s19, -1
	s_mov_b32 s20, -1
	s_mov_b32 s18, exec_lo
                                        ; implicit-def: $sgpr16
                                        ; implicit-def: $sgpr17
	v_cmpx_lt_i32_e64 v12, v211
	s_cbranch_execz .LBB25_571
; %bb.462:                              ;   in Loop: Header=BB25_17 Depth=1
	v_add_nc_u32_e32 v13, s60, v12
	s_mov_b32 s21, 0
	s_mov_b32 s16, exec_lo
	s_wait_loadcnt_dscnt 0x0
	s_delay_alu instid0(VALU_DEP_1) | instskip(NEXT) | instid1(VALU_DEP_1)
	v_mul_lo_u32 v0, v13, v10
	v_add_nc_u64_e32 v[2:3], v[4:5], v[0:1]
                                        ; implicit-def: $vgpr0
	v_cmpx_lt_i16_e32 10, v8
	s_xor_b32 s16, exec_lo, s16
	s_cbranch_execz .LBB25_522
; %bb.463:                              ;   in Loop: Header=BB25_17 Depth=1
	s_mov_b32 s20, 0
	s_mov_b32 s17, exec_lo
                                        ; implicit-def: $vgpr0
	v_cmpx_lt_i16_e32 25, v8
	s_xor_b32 s17, exec_lo, s17
	s_cbranch_execz .LBB25_495
; %bb.464:                              ;   in Loop: Header=BB25_17 Depth=1
	s_mov_b32 s21, exec_lo
                                        ; implicit-def: $vgpr0
	v_cmpx_lt_i16_e32 28, v8
	s_xor_b32 s21, exec_lo, s21
	s_cbranch_execz .LBB25_480
; %bb.465:                              ;   in Loop: Header=BB25_17 Depth=1
	s_mov_b32 s22, 0
	s_mov_b32 s20, exec_lo
                                        ; implicit-def: $vgpr0
	v_cmpx_lt_i16_e32 43, v8
	s_xor_b32 s20, exec_lo, s20
	s_cbranch_execz .LBB25_475
; %bb.466:                              ;   in Loop: Header=BB25_17 Depth=1
	s_mov_b32 s23, exec_lo
                                        ; implicit-def: $vgpr0
	v_cmpx_lt_i16_e32 45, v8
	s_xor_b32 s23, exec_lo, s23
	s_cbranch_execz .LBB25_470
; %bb.467:                              ;   in Loop: Header=BB25_17 Depth=1
	s_mov_b32 s24, exec_lo
                                        ; implicit-def: $vgpr0
	v_cmpx_eq_u16_e32 46, v8
	s_cbranch_execz .LBB25_469
; %bb.468:                              ;   in Loop: Header=BB25_17 Depth=1
	flat_load_b32 v0, v[2:3]
	s_mov_b32 s22, exec_lo
	s_wait_loadcnt_dscnt 0x0
	v_lshlrev_b32_e32 v0, 16, v0
.LBB25_469:                             ;   in Loop: Header=BB25_17 Depth=1
	s_wait_xcnt 0x0
	s_or_b32 exec_lo, exec_lo, s24
	s_delay_alu instid0(SALU_CYCLE_1)
	s_and_b32 s22, s22, exec_lo
                                        ; implicit-def: $vgpr2_vgpr3
.LBB25_470:                             ;   in Loop: Header=BB25_17 Depth=1
	s_and_not1_saveexec_b32 s23, s23
	s_cbranch_execz .LBB25_474
; %bb.471:                              ;   in Loop: Header=BB25_17 Depth=1
	s_mov_b32 s25, s22
	s_mov_b32 s24, exec_lo
                                        ; implicit-def: $vgpr0
	v_cmpx_eq_u16_e32 44, v8
	s_cbranch_execz .LBB25_473
; %bb.472:                              ;   in Loop: Header=BB25_17 Depth=1
	flat_load_u8 v0, v[2:3]
	s_or_b32 s25, s22, exec_lo
	s_wait_loadcnt_dscnt 0x0
	v_lshlrev_b32_e32 v2, 23, v0
	v_cmp_ne_u32_e32 vcc_lo, 0xff, v0
	s_delay_alu instid0(VALU_DEP_2) | instskip(SKIP_1) | instid1(VALU_DEP_2)
	v_cndmask_b32_e32 v2, 0x7f800001, v2, vcc_lo
	v_cmp_ne_u32_e32 vcc_lo, 0, v0
	v_cndmask_b32_e32 v0, 0x400000, v2, vcc_lo
.LBB25_473:                             ;   in Loop: Header=BB25_17 Depth=1
	s_or_b32 exec_lo, exec_lo, s24
	s_delay_alu instid0(SALU_CYCLE_1) | instskip(SKIP_1) | instid1(SALU_CYCLE_1)
	s_and_not1_b32 s22, s22, exec_lo
	s_and_b32 s24, s25, exec_lo
	s_or_b32 s22, s22, s24
.LBB25_474:                             ;   in Loop: Header=BB25_17 Depth=1
	s_or_b32 exec_lo, exec_lo, s23
	s_delay_alu instid0(SALU_CYCLE_1)
	s_and_b32 s22, s22, exec_lo
                                        ; implicit-def: $vgpr2_vgpr3
.LBB25_475:                             ;   in Loop: Header=BB25_17 Depth=1
	s_and_not1_saveexec_b32 s20, s20
	s_cbranch_execz .LBB25_479
; %bb.476:                              ;   in Loop: Header=BB25_17 Depth=1
	s_mov_b32 s24, s22
	s_mov_b32 s23, exec_lo
                                        ; implicit-def: $vgpr0
	v_cmpx_eq_u16_e32 29, v8
	s_cbranch_execz .LBB25_478
; %bb.477:                              ;   in Loop: Header=BB25_17 Depth=1
	flat_load_b64 v[2:3], v[2:3]
	s_or_b32 s24, s22, exec_lo
	s_wait_loadcnt_dscnt 0x0
	v_clz_i32_u32_e32 v0, v3
	s_delay_alu instid0(VALU_DEP_1) | instskip(SKIP_1) | instid1(VALU_DEP_1)
	v_min_u32_e32 v0, 32, v0
	s_wait_xcnt 0x0
	v_lshlrev_b64_e32 v[2:3], v0, v[2:3]
	v_sub_nc_u32_e32 v0, 32, v0
	s_delay_alu instid0(VALU_DEP_2) | instskip(NEXT) | instid1(VALU_DEP_1)
	v_min_u32_e32 v2, 1, v2
	v_or_b32_e32 v2, v3, v2
	s_delay_alu instid0(VALU_DEP_1) | instskip(NEXT) | instid1(VALU_DEP_1)
	v_cvt_f32_u32_e32 v2, v2
	v_ldexp_f32 v0, v2, v0
.LBB25_478:                             ;   in Loop: Header=BB25_17 Depth=1
	s_or_b32 exec_lo, exec_lo, s23
	s_delay_alu instid0(SALU_CYCLE_1) | instskip(SKIP_1) | instid1(SALU_CYCLE_1)
	s_and_not1_b32 s22, s22, exec_lo
	s_and_b32 s23, s24, exec_lo
	s_or_b32 s22, s22, s23
.LBB25_479:                             ;   in Loop: Header=BB25_17 Depth=1
	s_or_b32 exec_lo, exec_lo, s20
	s_delay_alu instid0(SALU_CYCLE_1)
	s_and_b32 s20, s22, exec_lo
                                        ; implicit-def: $vgpr2_vgpr3
.LBB25_480:                             ;   in Loop: Header=BB25_17 Depth=1
	s_and_not1_saveexec_b32 s21, s21
	s_cbranch_execz .LBB25_494
; %bb.481:                              ;   in Loop: Header=BB25_17 Depth=1
	s_mov_b32 s22, exec_lo
                                        ; implicit-def: $vgpr0
	v_cmpx_lt_i16_e32 26, v8
	s_xor_b32 s22, exec_lo, s22
	s_cbranch_execz .LBB25_487
; %bb.482:                              ;   in Loop: Header=BB25_17 Depth=1
	s_mov_b32 s23, exec_lo
                                        ; implicit-def: $vgpr0
	v_cmpx_lt_i16_e32 27, v8
	s_xor_b32 s23, exec_lo, s23
	s_cbranch_execz .LBB25_484
; %bb.483:                              ;   in Loop: Header=BB25_17 Depth=1
	flat_load_b32 v0, v[2:3]
                                        ; implicit-def: $vgpr2_vgpr3
	s_wait_loadcnt_dscnt 0x0
	v_cvt_f32_u32_e32 v0, v0
.LBB25_484:                             ;   in Loop: Header=BB25_17 Depth=1
	s_wait_xcnt 0x0
	s_and_not1_saveexec_b32 s23, s23
	s_cbranch_execz .LBB25_486
; %bb.485:                              ;   in Loop: Header=BB25_17 Depth=1
	flat_load_u16 v0, v[2:3]
	s_wait_loadcnt_dscnt 0x0
	v_cvt_f32_u32_e32 v0, v0
.LBB25_486:                             ;   in Loop: Header=BB25_17 Depth=1
	s_wait_xcnt 0x0
	s_or_b32 exec_lo, exec_lo, s23
                                        ; implicit-def: $vgpr2_vgpr3
.LBB25_487:                             ;   in Loop: Header=BB25_17 Depth=1
	s_and_not1_saveexec_b32 s22, s22
	s_cbranch_execz .LBB25_493
; %bb.488:                              ;   in Loop: Header=BB25_17 Depth=1
	flat_load_u8 v2, v[2:3]
	s_mov_b32 s23, 0
	s_mov_b32 s24, exec_lo
	s_wait_loadcnt_dscnt 0x0
	v_cmpx_lt_i16_e32 0x7f, v2
	s_xor_b32 s24, exec_lo, s24
	s_cbranch_execnz .LBB25_2546
; %bb.489:                              ;   in Loop: Header=BB25_17 Depth=1
	s_or_saveexec_b32 s24, s24
	v_mov_b32_e32 v0, 0x7f800001
	s_xor_b32 exec_lo, exec_lo, s24
	s_cbranch_execnz .LBB25_2549
.LBB25_490:                             ;   in Loop: Header=BB25_17 Depth=1
	s_or_b32 exec_lo, exec_lo, s24
	s_and_saveexec_b32 s24, s23
	s_cbranch_execz .LBB25_492
.LBB25_491:                             ;   in Loop: Header=BB25_17 Depth=1
	v_and_b32_e32 v0, 0xffff, v2
	s_delay_alu instid0(VALU_DEP_1) | instskip(SKIP_1) | instid1(VALU_DEP_2)
	v_and_b32_e32 v3, 7, v0
	v_bfe_u32 v16, v0, 3, 4
	v_clz_i32_u32_e32 v14, v3
	s_delay_alu instid0(VALU_DEP_2) | instskip(NEXT) | instid1(VALU_DEP_2)
	v_cmp_eq_u32_e32 vcc_lo, 0, v16
	v_min_u32_e32 v14, 32, v14
	s_delay_alu instid0(VALU_DEP_1) | instskip(NEXT) | instid1(VALU_DEP_1)
	v_subrev_nc_u32_e32 v15, 28, v14
	v_dual_lshlrev_b32 v0, v15, v0 :: v_dual_sub_nc_u32 v14, 29, v14
	s_delay_alu instid0(VALU_DEP_1) | instskip(NEXT) | instid1(VALU_DEP_1)
	v_dual_lshlrev_b32 v2, 24, v2 :: v_dual_bitop2_b32 v0, 7, v0 bitop3:0x40
	v_dual_cndmask_b32 v0, v3, v0, vcc_lo :: v_dual_cndmask_b32 v14, v16, v14, vcc_lo
	s_delay_alu instid0(VALU_DEP_2) | instskip(NEXT) | instid1(VALU_DEP_2)
	v_and_b32_e32 v2, 0x80000000, v2
	v_lshlrev_b32_e32 v0, 20, v0
	s_delay_alu instid0(VALU_DEP_3) | instskip(NEXT) | instid1(VALU_DEP_1)
	v_lshl_add_u32 v3, v14, 23, 0x3b800000
	v_or3_b32 v0, v2, v3, v0
.LBB25_492:                             ;   in Loop: Header=BB25_17 Depth=1
	s_or_b32 exec_lo, exec_lo, s24
.LBB25_493:                             ;   in Loop: Header=BB25_17 Depth=1
	s_delay_alu instid0(SALU_CYCLE_1) | instskip(NEXT) | instid1(SALU_CYCLE_1)
	s_or_b32 exec_lo, exec_lo, s22
	s_or_b32 s20, s20, exec_lo
.LBB25_494:                             ;   in Loop: Header=BB25_17 Depth=1
	s_or_b32 exec_lo, exec_lo, s21
	s_delay_alu instid0(SALU_CYCLE_1)
	s_and_b32 s20, s20, exec_lo
                                        ; implicit-def: $vgpr2_vgpr3
.LBB25_495:                             ;   in Loop: Header=BB25_17 Depth=1
	s_and_not1_saveexec_b32 s17, s17
	s_cbranch_execz .LBB25_521
; %bb.496:                              ;   in Loop: Header=BB25_17 Depth=1
	s_mov_b32 s22, s20
	s_mov_b32 s21, exec_lo
                                        ; implicit-def: $vgpr0
	v_cmpx_lt_i16_e32 22, v8
	s_xor_b32 s21, exec_lo, s21
	s_cbranch_execz .LBB25_510
; %bb.497:                              ;   in Loop: Header=BB25_17 Depth=1
	s_mov_b32 s22, exec_lo
                                        ; implicit-def: $vgpr0
	v_cmpx_lt_i16_e32 23, v8
	s_xor_b32 s22, exec_lo, s22
	s_cbranch_execz .LBB25_507
; %bb.498:                              ;   in Loop: Header=BB25_17 Depth=1
	;; [unrolled: 6-line block ×3, first 2 shown]
	flat_load_u8 v2, v[2:3]
	s_mov_b32 s24, 0
	s_mov_b32 s25, exec_lo
	s_wait_loadcnt_dscnt 0x0
	v_cmpx_lt_i16_e32 0x7f, v2
	s_xor_b32 s25, exec_lo, s25
	s_cbranch_execnz .LBB25_2658
; %bb.500:                              ;   in Loop: Header=BB25_17 Depth=1
	s_or_saveexec_b32 s25, s25
	v_mov_b32_e32 v0, 0x7f800001
	s_xor_b32 exec_lo, exec_lo, s25
	s_cbranch_execnz .LBB25_2661
.LBB25_501:                             ;   in Loop: Header=BB25_17 Depth=1
	s_or_b32 exec_lo, exec_lo, s25
	s_and_saveexec_b32 s25, s24
	s_cbranch_execz .LBB25_503
.LBB25_502:                             ;   in Loop: Header=BB25_17 Depth=1
	v_and_b32_e32 v0, 0xffff, v2
	s_delay_alu instid0(VALU_DEP_1) | instskip(SKIP_1) | instid1(VALU_DEP_2)
	v_and_b32_e32 v3, 3, v0
	v_bfe_u32 v16, v0, 2, 5
	v_clz_i32_u32_e32 v14, v3
	s_delay_alu instid0(VALU_DEP_2) | instskip(NEXT) | instid1(VALU_DEP_2)
	v_cmp_eq_u32_e32 vcc_lo, 0, v16
	v_min_u32_e32 v14, 32, v14
	s_delay_alu instid0(VALU_DEP_1) | instskip(NEXT) | instid1(VALU_DEP_1)
	v_subrev_nc_u32_e32 v15, 29, v14
	v_dual_lshlrev_b32 v0, v15, v0 :: v_dual_sub_nc_u32 v14, 30, v14
	s_delay_alu instid0(VALU_DEP_1) | instskip(NEXT) | instid1(VALU_DEP_1)
	v_dual_lshlrev_b32 v2, 24, v2 :: v_dual_bitop2_b32 v0, 3, v0 bitop3:0x40
	v_dual_cndmask_b32 v0, v3, v0, vcc_lo :: v_dual_cndmask_b32 v14, v16, v14, vcc_lo
	s_delay_alu instid0(VALU_DEP_2) | instskip(NEXT) | instid1(VALU_DEP_2)
	v_and_b32_e32 v2, 0x80000000, v2
	v_lshlrev_b32_e32 v0, 21, v0
	s_delay_alu instid0(VALU_DEP_3) | instskip(NEXT) | instid1(VALU_DEP_1)
	v_lshl_add_u32 v3, v14, 23, 0x37800000
	v_or3_b32 v0, v2, v3, v0
.LBB25_503:                             ;   in Loop: Header=BB25_17 Depth=1
	s_or_b32 exec_lo, exec_lo, s25
                                        ; implicit-def: $vgpr2_vgpr3
.LBB25_504:                             ;   in Loop: Header=BB25_17 Depth=1
	s_and_not1_saveexec_b32 s23, s23
	s_cbranch_execz .LBB25_506
; %bb.505:                              ;   in Loop: Header=BB25_17 Depth=1
	flat_load_u8 v0, v[2:3]
	s_wait_loadcnt_dscnt 0x0
	v_lshlrev_b32_e32 v0, 24, v0
	s_wait_xcnt 0x0
	s_delay_alu instid0(VALU_DEP_1) | instskip(NEXT) | instid1(VALU_DEP_1)
	v_and_b32_e32 v2, 0x7f000000, v0
	v_clz_i32_u32_e32 v3, v2
	v_cmp_ne_u32_e32 vcc_lo, 0, v2
	v_add_nc_u32_e32 v15, 0x1000000, v2
	s_delay_alu instid0(VALU_DEP_3) | instskip(NEXT) | instid1(VALU_DEP_1)
	v_min_u32_e32 v3, 32, v3
	v_sub_nc_u32_e64 v3, v3, 4 clamp
	s_delay_alu instid0(VALU_DEP_1) | instskip(NEXT) | instid1(VALU_DEP_1)
	v_dual_lshlrev_b32 v14, v3, v2 :: v_dual_lshlrev_b32 v3, 23, v3
	v_lshrrev_b32_e32 v14, 4, v14
	s_delay_alu instid0(VALU_DEP_1) | instskip(SKIP_1) | instid1(VALU_DEP_2)
	v_sub_nc_u32_e32 v3, v14, v3
	v_ashrrev_i32_e32 v14, 8, v15
	v_add_nc_u32_e32 v3, 0x3c000000, v3
	s_delay_alu instid0(VALU_DEP_1) | instskip(NEXT) | instid1(VALU_DEP_1)
	v_and_or_b32 v3, 0x7f800000, v14, v3
	v_cndmask_b32_e32 v2, 0, v3, vcc_lo
	s_delay_alu instid0(VALU_DEP_1)
	v_and_or_b32 v0, 0x80000000, v0, v2
.LBB25_506:                             ;   in Loop: Header=BB25_17 Depth=1
	s_or_b32 exec_lo, exec_lo, s23
                                        ; implicit-def: $vgpr2_vgpr3
.LBB25_507:                             ;   in Loop: Header=BB25_17 Depth=1
	s_and_not1_saveexec_b32 s22, s22
	s_cbranch_execz .LBB25_509
; %bb.508:                              ;   in Loop: Header=BB25_17 Depth=1
	flat_load_u8 v0, v[2:3]
	s_wait_loadcnt_dscnt 0x0
	v_lshlrev_b32_e32 v2, 25, v0
	v_lshlrev_b16 v0, 8, v0
	s_delay_alu instid0(VALU_DEP_1) | instskip(SKIP_1) | instid1(VALU_DEP_2)
	v_and_or_b32 v14, 0x7f00, v0, 0.5
	v_bfe_i32 v0, v0, 0, 16
	v_add_f32_e32 v14, -0.5, v14
	v_lshrrev_b32_e32 v3, 4, v2
	v_cmp_gt_u32_e32 vcc_lo, 0x8000000, v2
	s_delay_alu instid0(VALU_DEP_2) | instskip(NEXT) | instid1(VALU_DEP_1)
	v_or_b32_e32 v3, 0x70000000, v3
	v_mul_f32_e32 v3, 0x7800000, v3
	s_delay_alu instid0(VALU_DEP_1) | instskip(NEXT) | instid1(VALU_DEP_1)
	v_cndmask_b32_e32 v2, v3, v14, vcc_lo
	v_and_or_b32 v0, 0x80000000, v0, v2
.LBB25_509:                             ;   in Loop: Header=BB25_17 Depth=1
	s_or_b32 exec_lo, exec_lo, s22
	s_delay_alu instid0(SALU_CYCLE_1)
	s_or_b32 s22, s20, exec_lo
                                        ; implicit-def: $vgpr2_vgpr3
.LBB25_510:                             ;   in Loop: Header=BB25_17 Depth=1
	s_and_not1_saveexec_b32 s21, s21
	s_cbranch_execz .LBB25_520
; %bb.511:                              ;   in Loop: Header=BB25_17 Depth=1
	s_mov_b32 s23, s22
	s_mov_b32 s24, exec_lo
                                        ; implicit-def: $vgpr0
	v_cmpx_lt_i16_e32 14, v8
	s_xor_b32 s24, exec_lo, s24
	s_cbranch_execz .LBB25_515
; %bb.512:                              ;   in Loop: Header=BB25_17 Depth=1
	s_mov_b32 s23, s22
	s_mov_b32 s25, exec_lo
                                        ; implicit-def: $vgpr0
	v_cmpx_eq_u16_e32 15, v8
	s_cbranch_execz .LBB25_514
; %bb.513:                              ;   in Loop: Header=BB25_17 Depth=1
	flat_load_u16 v0, v[2:3]
	s_or_b32 s23, s22, exec_lo
	s_wait_loadcnt_dscnt 0x0
	v_lshlrev_b32_e32 v0, 16, v0
.LBB25_514:                             ;   in Loop: Header=BB25_17 Depth=1
	s_wait_xcnt 0x0
	s_or_b32 exec_lo, exec_lo, s25
	s_delay_alu instid0(SALU_CYCLE_1) | instskip(SKIP_1) | instid1(SALU_CYCLE_1)
	s_and_not1_b32 s25, s22, exec_lo
	s_and_b32 s23, s23, exec_lo
                                        ; implicit-def: $vgpr2_vgpr3
	s_or_b32 s23, s25, s23
.LBB25_515:                             ;   in Loop: Header=BB25_17 Depth=1
	s_and_not1_saveexec_b32 s24, s24
	s_cbranch_execz .LBB25_519
; %bb.516:                              ;   in Loop: Header=BB25_17 Depth=1
	s_mov_b32 s25, s23
	s_mov_b32 s26, exec_lo
                                        ; implicit-def: $vgpr0
	v_cmpx_eq_u16_e32 11, v8
	s_cbranch_execz .LBB25_518
; %bb.517:                              ;   in Loop: Header=BB25_17 Depth=1
	flat_load_u8 v0, v[2:3]
	s_or_b32 s25, s23, exec_lo
	s_wait_loadcnt_dscnt 0x0
	v_cmp_ne_u16_e32 vcc_lo, 0, v0
	v_cndmask_b32_e64 v0, 0, 1.0, vcc_lo
.LBB25_518:                             ;   in Loop: Header=BB25_17 Depth=1
	s_wait_xcnt 0x0
	s_or_b32 exec_lo, exec_lo, s26
	s_delay_alu instid0(SALU_CYCLE_1) | instskip(SKIP_1) | instid1(SALU_CYCLE_1)
	s_and_not1_b32 s23, s23, exec_lo
	s_and_b32 s25, s25, exec_lo
	s_or_b32 s23, s23, s25
.LBB25_519:                             ;   in Loop: Header=BB25_17 Depth=1
	s_or_b32 exec_lo, exec_lo, s24
	s_delay_alu instid0(SALU_CYCLE_1) | instskip(SKIP_1) | instid1(SALU_CYCLE_1)
	s_and_not1_b32 s22, s22, exec_lo
	s_and_b32 s23, s23, exec_lo
	s_or_b32 s22, s22, s23
.LBB25_520:                             ;   in Loop: Header=BB25_17 Depth=1
	s_or_b32 exec_lo, exec_lo, s21
	s_delay_alu instid0(SALU_CYCLE_1) | instskip(SKIP_1) | instid1(SALU_CYCLE_1)
	s_and_not1_b32 s20, s20, exec_lo
	s_and_b32 s21, s22, exec_lo
	s_or_b32 s20, s20, s21
.LBB25_521:                             ;   in Loop: Header=BB25_17 Depth=1
	s_or_b32 exec_lo, exec_lo, s17
	s_delay_alu instid0(SALU_CYCLE_1)
	s_and_b32 s21, s20, exec_lo
                                        ; implicit-def: $vgpr2_vgpr3
.LBB25_522:                             ;   in Loop: Header=BB25_17 Depth=1
	s_and_not1_saveexec_b32 s16, s16
	s_cbranch_execz .LBB25_564
; %bb.523:                              ;   in Loop: Header=BB25_17 Depth=1
	s_mov_b32 s17, exec_lo
                                        ; implicit-def: $vgpr0
	v_cmpx_lt_i16_e32 4, v8
	s_xor_b32 s17, exec_lo, s17
	s_cbranch_execz .LBB25_545
; %bb.524:                              ;   in Loop: Header=BB25_17 Depth=1
	s_mov_b32 s20, exec_lo
                                        ; implicit-def: $vgpr0
	v_cmpx_lt_i16_e32 7, v8
	s_xor_b32 s20, exec_lo, s20
	;; [unrolled: 6-line block ×4, first 2 shown]
	s_cbranch_execz .LBB25_528
; %bb.527:                              ;   in Loop: Header=BB25_17 Depth=1
	flat_load_b64 v[2:3], v[2:3]
	s_wait_loadcnt_dscnt 0x0
	v_cvt_f32_f64_e32 v0, v[2:3]
                                        ; implicit-def: $vgpr2_vgpr3
.LBB25_528:                             ;   in Loop: Header=BB25_17 Depth=1
	s_wait_xcnt 0x0
	s_and_not1_saveexec_b32 s23, s23
	s_cbranch_execz .LBB25_530
; %bb.529:                              ;   in Loop: Header=BB25_17 Depth=1
	flat_load_b32 v0, v[2:3]
.LBB25_530:                             ;   in Loop: Header=BB25_17 Depth=1
	s_wait_xcnt 0x0
	s_or_b32 exec_lo, exec_lo, s23
                                        ; implicit-def: $vgpr2_vgpr3
.LBB25_531:                             ;   in Loop: Header=BB25_17 Depth=1
	s_and_not1_saveexec_b32 s22, s22
	s_cbranch_execz .LBB25_533
; %bb.532:                              ;   in Loop: Header=BB25_17 Depth=1
	s_wait_loadcnt_dscnt 0x0
	flat_load_b32 v0, v[2:3]
	s_wait_loadcnt_dscnt 0x0
	v_cvt_f32_f16_e32 v0, v0
.LBB25_533:                             ;   in Loop: Header=BB25_17 Depth=1
	s_wait_xcnt 0x0
	s_or_b32 exec_lo, exec_lo, s22
                                        ; implicit-def: $vgpr2_vgpr3
.LBB25_534:                             ;   in Loop: Header=BB25_17 Depth=1
	s_and_not1_saveexec_b32 s20, s20
	s_cbranch_execz .LBB25_544
; %bb.535:                              ;   in Loop: Header=BB25_17 Depth=1
	s_mov_b32 s22, exec_lo
                                        ; implicit-def: $vgpr0
	v_cmpx_lt_i16_e32 5, v8
	s_xor_b32 s22, exec_lo, s22
	s_cbranch_execz .LBB25_541
; %bb.536:                              ;   in Loop: Header=BB25_17 Depth=1
	s_mov_b32 s23, exec_lo
                                        ; implicit-def: $vgpr0
	v_cmpx_lt_i16_e32 6, v8
	s_xor_b32 s23, exec_lo, s23
	s_cbranch_execz .LBB25_538
; %bb.537:                              ;   in Loop: Header=BB25_17 Depth=1
	flat_load_b64 v[2:3], v[2:3]
	s_wait_loadcnt_dscnt 0x0
	v_cvt_f32_f64_e32 v0, v[2:3]
                                        ; implicit-def: $vgpr2_vgpr3
.LBB25_538:                             ;   in Loop: Header=BB25_17 Depth=1
	s_wait_xcnt 0x0
	s_and_not1_saveexec_b32 s23, s23
	s_cbranch_execz .LBB25_540
; %bb.539:                              ;   in Loop: Header=BB25_17 Depth=1
	s_wait_loadcnt_dscnt 0x0
	flat_load_b32 v0, v[2:3]
.LBB25_540:                             ;   in Loop: Header=BB25_17 Depth=1
	s_wait_xcnt 0x0
	s_or_b32 exec_lo, exec_lo, s23
                                        ; implicit-def: $vgpr2_vgpr3
.LBB25_541:                             ;   in Loop: Header=BB25_17 Depth=1
	s_and_not1_saveexec_b32 s22, s22
	s_cbranch_execz .LBB25_543
; %bb.542:                              ;   in Loop: Header=BB25_17 Depth=1
	s_wait_loadcnt_dscnt 0x0
	flat_load_u16 v0, v[2:3]
	s_wait_loadcnt_dscnt 0x0
	v_cvt_f32_f16_e32 v0, v0
.LBB25_543:                             ;   in Loop: Header=BB25_17 Depth=1
	s_wait_xcnt 0x0
	s_or_b32 exec_lo, exec_lo, s22
.LBB25_544:                             ;   in Loop: Header=BB25_17 Depth=1
	s_delay_alu instid0(SALU_CYCLE_1)
	s_or_b32 exec_lo, exec_lo, s20
                                        ; implicit-def: $vgpr2_vgpr3
.LBB25_545:                             ;   in Loop: Header=BB25_17 Depth=1
	s_and_not1_saveexec_b32 s17, s17
	s_cbranch_execz .LBB25_563
; %bb.546:                              ;   in Loop: Header=BB25_17 Depth=1
	s_mov_b32 s20, exec_lo
                                        ; implicit-def: $vgpr0
	v_cmpx_lt_i16_e32 1, v8
	s_xor_b32 s20, exec_lo, s20
	s_cbranch_execz .LBB25_556
; %bb.547:                              ;   in Loop: Header=BB25_17 Depth=1
	s_mov_b32 s22, exec_lo
                                        ; implicit-def: $vgpr0
	v_cmpx_lt_i16_e32 2, v8
	s_xor_b32 s22, exec_lo, s22
	;; [unrolled: 6-line block ×3, first 2 shown]
	s_cbranch_execz .LBB25_550
; %bb.549:                              ;   in Loop: Header=BB25_17 Depth=1
	flat_load_b64 v[2:3], v[2:3]
	s_wait_loadcnt_dscnt 0x0
	v_xor_b32_e32 v0, v2, v3
	v_cls_i32_e32 v14, v3
	s_delay_alu instid0(VALU_DEP_2) | instskip(NEXT) | instid1(VALU_DEP_1)
	v_ashrrev_i32_e32 v0, 31, v0
	v_add_nc_u32_e32 v0, 32, v0
	s_delay_alu instid0(VALU_DEP_1) | instskip(SKIP_1) | instid1(VALU_DEP_1)
	v_add_min_u32_e64 v0, v14, -1, v0
	s_wait_xcnt 0x0
	v_lshlrev_b64_e32 v[2:3], v0, v[2:3]
	v_sub_nc_u32_e32 v0, 32, v0
	s_delay_alu instid0(VALU_DEP_2) | instskip(NEXT) | instid1(VALU_DEP_1)
	v_min_u32_e32 v2, 1, v2
	v_or_b32_e32 v2, v3, v2
	s_delay_alu instid0(VALU_DEP_1) | instskip(NEXT) | instid1(VALU_DEP_1)
	v_cvt_f32_i32_e32 v2, v2
	v_ldexp_f32 v0, v2, v0
                                        ; implicit-def: $vgpr2_vgpr3
.LBB25_550:                             ;   in Loop: Header=BB25_17 Depth=1
	s_and_not1_saveexec_b32 s23, s23
	s_cbranch_execz .LBB25_552
; %bb.551:                              ;   in Loop: Header=BB25_17 Depth=1
	s_wait_loadcnt_dscnt 0x0
	flat_load_b32 v0, v[2:3]
	s_wait_loadcnt_dscnt 0x0
	v_cvt_f32_i32_e32 v0, v0
.LBB25_552:                             ;   in Loop: Header=BB25_17 Depth=1
	s_wait_xcnt 0x0
	s_or_b32 exec_lo, exec_lo, s23
                                        ; implicit-def: $vgpr2_vgpr3
.LBB25_553:                             ;   in Loop: Header=BB25_17 Depth=1
	s_and_not1_saveexec_b32 s22, s22
	s_cbranch_execz .LBB25_555
; %bb.554:                              ;   in Loop: Header=BB25_17 Depth=1
	s_wait_loadcnt_dscnt 0x0
	flat_load_i16 v0, v[2:3]
	s_wait_loadcnt_dscnt 0x0
	v_cvt_f32_i32_e32 v0, v0
.LBB25_555:                             ;   in Loop: Header=BB25_17 Depth=1
	s_wait_xcnt 0x0
	s_or_b32 exec_lo, exec_lo, s22
                                        ; implicit-def: $vgpr2_vgpr3
.LBB25_556:                             ;   in Loop: Header=BB25_17 Depth=1
	s_and_not1_saveexec_b32 s20, s20
	s_cbranch_execz .LBB25_562
; %bb.557:                              ;   in Loop: Header=BB25_17 Depth=1
	s_mov_b32 s22, exec_lo
                                        ; implicit-def: $vgpr0
	v_cmpx_lt_i16_e32 0, v8
	s_xor_b32 s22, exec_lo, s22
	s_cbranch_execz .LBB25_559
; %bb.558:                              ;   in Loop: Header=BB25_17 Depth=1
	s_wait_loadcnt_dscnt 0x0
	flat_load_i8 v0, v[2:3]
                                        ; implicit-def: $vgpr2_vgpr3
	s_wait_loadcnt_dscnt 0x0
	v_cvt_f32_i32_e32 v0, v0
.LBB25_559:                             ;   in Loop: Header=BB25_17 Depth=1
	s_wait_xcnt 0x0
	s_and_not1_saveexec_b32 s22, s22
	s_cbranch_execz .LBB25_561
; %bb.560:                              ;   in Loop: Header=BB25_17 Depth=1
	s_wait_loadcnt_dscnt 0x0
	flat_load_u8 v0, v[2:3]
	s_wait_loadcnt_dscnt 0x0
	v_cvt_f32_ubyte0_e32 v0, v0
.LBB25_561:                             ;   in Loop: Header=BB25_17 Depth=1
	s_wait_xcnt 0x0
	s_or_b32 exec_lo, exec_lo, s22
.LBB25_562:                             ;   in Loop: Header=BB25_17 Depth=1
	s_delay_alu instid0(SALU_CYCLE_1)
	s_or_b32 exec_lo, exec_lo, s20
.LBB25_563:                             ;   in Loop: Header=BB25_17 Depth=1
	s_delay_alu instid0(SALU_CYCLE_1) | instskip(NEXT) | instid1(SALU_CYCLE_1)
	s_or_b32 exec_lo, exec_lo, s17
	s_or_b32 s21, s21, exec_lo
.LBB25_564:                             ;   in Loop: Header=BB25_17 Depth=1
	s_or_b32 exec_lo, exec_lo, s16
	s_mov_b32 s16, -1
	s_mov_b32 s22, 0
	s_mov_b32 s17, 0
	s_and_saveexec_b32 s20, s21
	s_cbranch_execz .LBB25_570
; %bb.565:                              ;   in Loop: Header=BB25_17 Depth=1
	s_add_co_i32 s16, s33, s1
	s_mov_b32 s21, 0
	s_add_co_i32 s16, s16, 16
	s_mov_b32 s17, exec_lo
	s_wait_loadcnt_dscnt 0x0
	scratch_store_b32 off, v0, s16 offset:36
	s_wait_xcnt 0x0
	v_mul_lo_u32 v0, v13, v11
	v_and_b32_e32 v13, 0xff, v9
	s_delay_alu instid0(VALU_DEP_2) | instskip(NEXT) | instid1(VALU_DEP_2)
	v_add_nc_u64_e32 v[2:3], v[6:7], v[0:1]
                                        ; implicit-def: $vgpr0
	v_cmpx_lt_i16_e32 10, v13
	s_xor_b32 s17, exec_lo, s17
	s_cbranch_execnz .LBB25_2206
; %bb.566:                              ;   in Loop: Header=BB25_17 Depth=1
	s_and_not1_saveexec_b32 s17, s17
	s_cbranch_execnz .LBB25_2265
.LBB25_567:                             ;   in Loop: Header=BB25_17 Depth=1
	s_or_b32 exec_lo, exec_lo, s17
	s_mov_b32 s22, 0
	s_and_saveexec_b32 s17, s21
	s_cbranch_execz .LBB25_569
.LBB25_568:                             ;   in Loop: Header=BB25_17 Depth=1
	v_add_nc_u32_e32 v12, 0x200, v12
	s_mov_b32 s22, exec_lo
	s_wait_loadcnt_dscnt 0x0
	scratch_store_b32 off, v0, s16 offset:32
.LBB25_569:                             ;   in Loop: Header=BB25_17 Depth=1
	s_wait_xcnt 0x0
	s_or_b32 exec_lo, exec_lo, s17
	s_delay_alu instid0(SALU_CYCLE_1)
	s_mov_b32 s17, exec_lo
	s_xor_b32 s16, exec_lo, -1
	s_and_b32 s22, s22, exec_lo
.LBB25_570:                             ;   in Loop: Header=BB25_17 Depth=1
	s_or_b32 exec_lo, exec_lo, s20
	s_delay_alu instid0(SALU_CYCLE_1)
	s_or_not1_b32 s20, s22, exec_lo
.LBB25_571:                             ;   in Loop: Header=BB25_17 Depth=1
	s_or_b32 exec_lo, exec_lo, s18
	s_and_saveexec_b32 s18, s20
	s_cbranch_execz .LBB25_12
; %bb.572:                              ;   in Loop: Header=BB25_17 Depth=1
	s_mov_b32 s22, -1
	s_mov_b32 s23, -1
	s_mov_b32 s21, exec_lo
                                        ; implicit-def: $sgpr19
                                        ; implicit-def: $sgpr20
	v_cmpx_lt_i32_e64 v12, v211
	s_cbranch_execz .LBB25_682
; %bb.573:                              ;   in Loop: Header=BB25_17 Depth=1
	v_add_nc_u32_e32 v13, s60, v12
	s_mov_b32 s24, 0
	s_mov_b32 s19, exec_lo
	s_wait_loadcnt_dscnt 0x0
	s_delay_alu instid0(VALU_DEP_1) | instskip(NEXT) | instid1(VALU_DEP_1)
	v_mul_lo_u32 v0, v13, v10
	v_add_nc_u64_e32 v[2:3], v[4:5], v[0:1]
                                        ; implicit-def: $vgpr0
	v_cmpx_lt_i16_e32 10, v8
	s_xor_b32 s19, exec_lo, s19
	s_cbranch_execz .LBB25_633
; %bb.574:                              ;   in Loop: Header=BB25_17 Depth=1
	s_mov_b32 s23, 0
	s_mov_b32 s20, exec_lo
                                        ; implicit-def: $vgpr0
	v_cmpx_lt_i16_e32 25, v8
	s_xor_b32 s20, exec_lo, s20
	s_cbranch_execz .LBB25_606
; %bb.575:                              ;   in Loop: Header=BB25_17 Depth=1
	s_mov_b32 s24, exec_lo
                                        ; implicit-def: $vgpr0
	v_cmpx_lt_i16_e32 28, v8
	s_xor_b32 s24, exec_lo, s24
	s_cbranch_execz .LBB25_591
; %bb.576:                              ;   in Loop: Header=BB25_17 Depth=1
	s_mov_b32 s25, 0
	s_mov_b32 s23, exec_lo
                                        ; implicit-def: $vgpr0
	v_cmpx_lt_i16_e32 43, v8
	s_xor_b32 s23, exec_lo, s23
	s_cbranch_execz .LBB25_586
; %bb.577:                              ;   in Loop: Header=BB25_17 Depth=1
	s_mov_b32 s26, exec_lo
                                        ; implicit-def: $vgpr0
	v_cmpx_lt_i16_e32 45, v8
	s_xor_b32 s26, exec_lo, s26
	s_cbranch_execz .LBB25_581
; %bb.578:                              ;   in Loop: Header=BB25_17 Depth=1
	s_mov_b32 s27, exec_lo
                                        ; implicit-def: $vgpr0
	v_cmpx_eq_u16_e32 46, v8
	s_cbranch_execz .LBB25_580
; %bb.579:                              ;   in Loop: Header=BB25_17 Depth=1
	flat_load_b32 v0, v[2:3]
	s_mov_b32 s25, exec_lo
	s_wait_loadcnt_dscnt 0x0
	v_lshlrev_b32_e32 v0, 16, v0
.LBB25_580:                             ;   in Loop: Header=BB25_17 Depth=1
	s_wait_xcnt 0x0
	s_or_b32 exec_lo, exec_lo, s27
	s_delay_alu instid0(SALU_CYCLE_1)
	s_and_b32 s25, s25, exec_lo
                                        ; implicit-def: $vgpr2_vgpr3
.LBB25_581:                             ;   in Loop: Header=BB25_17 Depth=1
	s_and_not1_saveexec_b32 s26, s26
	s_cbranch_execz .LBB25_585
; %bb.582:                              ;   in Loop: Header=BB25_17 Depth=1
	s_mov_b32 s28, s25
	s_mov_b32 s27, exec_lo
                                        ; implicit-def: $vgpr0
	v_cmpx_eq_u16_e32 44, v8
	s_cbranch_execz .LBB25_584
; %bb.583:                              ;   in Loop: Header=BB25_17 Depth=1
	flat_load_u8 v0, v[2:3]
	s_or_b32 s28, s25, exec_lo
	s_wait_loadcnt_dscnt 0x0
	v_lshlrev_b32_e32 v2, 23, v0
	v_cmp_ne_u32_e32 vcc_lo, 0xff, v0
	s_delay_alu instid0(VALU_DEP_2) | instskip(SKIP_1) | instid1(VALU_DEP_2)
	v_cndmask_b32_e32 v2, 0x7f800001, v2, vcc_lo
	v_cmp_ne_u32_e32 vcc_lo, 0, v0
	v_cndmask_b32_e32 v0, 0x400000, v2, vcc_lo
.LBB25_584:                             ;   in Loop: Header=BB25_17 Depth=1
	s_or_b32 exec_lo, exec_lo, s27
	s_delay_alu instid0(SALU_CYCLE_1) | instskip(SKIP_1) | instid1(SALU_CYCLE_1)
	s_and_not1_b32 s25, s25, exec_lo
	s_and_b32 s27, s28, exec_lo
	s_or_b32 s25, s25, s27
.LBB25_585:                             ;   in Loop: Header=BB25_17 Depth=1
	s_or_b32 exec_lo, exec_lo, s26
	s_delay_alu instid0(SALU_CYCLE_1)
	s_and_b32 s25, s25, exec_lo
                                        ; implicit-def: $vgpr2_vgpr3
.LBB25_586:                             ;   in Loop: Header=BB25_17 Depth=1
	s_and_not1_saveexec_b32 s23, s23
	s_cbranch_execz .LBB25_590
; %bb.587:                              ;   in Loop: Header=BB25_17 Depth=1
	s_mov_b32 s27, s25
	s_mov_b32 s26, exec_lo
                                        ; implicit-def: $vgpr0
	v_cmpx_eq_u16_e32 29, v8
	s_cbranch_execz .LBB25_589
; %bb.588:                              ;   in Loop: Header=BB25_17 Depth=1
	flat_load_b64 v[2:3], v[2:3]
	s_or_b32 s27, s25, exec_lo
	s_wait_loadcnt_dscnt 0x0
	v_clz_i32_u32_e32 v0, v3
	s_delay_alu instid0(VALU_DEP_1) | instskip(SKIP_1) | instid1(VALU_DEP_1)
	v_min_u32_e32 v0, 32, v0
	s_wait_xcnt 0x0
	v_lshlrev_b64_e32 v[2:3], v0, v[2:3]
	v_sub_nc_u32_e32 v0, 32, v0
	s_delay_alu instid0(VALU_DEP_2) | instskip(NEXT) | instid1(VALU_DEP_1)
	v_min_u32_e32 v2, 1, v2
	v_or_b32_e32 v2, v3, v2
	s_delay_alu instid0(VALU_DEP_1) | instskip(NEXT) | instid1(VALU_DEP_1)
	v_cvt_f32_u32_e32 v2, v2
	v_ldexp_f32 v0, v2, v0
.LBB25_589:                             ;   in Loop: Header=BB25_17 Depth=1
	s_or_b32 exec_lo, exec_lo, s26
	s_delay_alu instid0(SALU_CYCLE_1) | instskip(SKIP_1) | instid1(SALU_CYCLE_1)
	s_and_not1_b32 s25, s25, exec_lo
	s_and_b32 s26, s27, exec_lo
	s_or_b32 s25, s25, s26
.LBB25_590:                             ;   in Loop: Header=BB25_17 Depth=1
	s_or_b32 exec_lo, exec_lo, s23
	s_delay_alu instid0(SALU_CYCLE_1)
	s_and_b32 s23, s25, exec_lo
                                        ; implicit-def: $vgpr2_vgpr3
.LBB25_591:                             ;   in Loop: Header=BB25_17 Depth=1
	s_and_not1_saveexec_b32 s24, s24
	s_cbranch_execz .LBB25_605
; %bb.592:                              ;   in Loop: Header=BB25_17 Depth=1
	s_mov_b32 s25, exec_lo
                                        ; implicit-def: $vgpr0
	v_cmpx_lt_i16_e32 26, v8
	s_xor_b32 s25, exec_lo, s25
	s_cbranch_execz .LBB25_598
; %bb.593:                              ;   in Loop: Header=BB25_17 Depth=1
	s_mov_b32 s26, exec_lo
                                        ; implicit-def: $vgpr0
	v_cmpx_lt_i16_e32 27, v8
	s_xor_b32 s26, exec_lo, s26
	s_cbranch_execz .LBB25_595
; %bb.594:                              ;   in Loop: Header=BB25_17 Depth=1
	flat_load_b32 v0, v[2:3]
                                        ; implicit-def: $vgpr2_vgpr3
	s_wait_loadcnt_dscnt 0x0
	v_cvt_f32_u32_e32 v0, v0
.LBB25_595:                             ;   in Loop: Header=BB25_17 Depth=1
	s_wait_xcnt 0x0
	s_and_not1_saveexec_b32 s26, s26
	s_cbranch_execz .LBB25_597
; %bb.596:                              ;   in Loop: Header=BB25_17 Depth=1
	flat_load_u16 v0, v[2:3]
	s_wait_loadcnt_dscnt 0x0
	v_cvt_f32_u32_e32 v0, v0
.LBB25_597:                             ;   in Loop: Header=BB25_17 Depth=1
	s_wait_xcnt 0x0
	s_or_b32 exec_lo, exec_lo, s26
                                        ; implicit-def: $vgpr2_vgpr3
.LBB25_598:                             ;   in Loop: Header=BB25_17 Depth=1
	s_and_not1_saveexec_b32 s25, s25
	s_cbranch_execz .LBB25_604
; %bb.599:                              ;   in Loop: Header=BB25_17 Depth=1
	flat_load_u8 v2, v[2:3]
	s_mov_b32 s26, 0
	s_mov_b32 s27, exec_lo
	s_wait_loadcnt_dscnt 0x0
	v_cmpx_lt_i16_e32 0x7f, v2
	s_xor_b32 s27, exec_lo, s27
	s_cbranch_execnz .LBB25_2662
; %bb.600:                              ;   in Loop: Header=BB25_17 Depth=1
	s_or_saveexec_b32 s27, s27
	v_mov_b32_e32 v0, 0x7f800001
	s_xor_b32 exec_lo, exec_lo, s27
	s_cbranch_execnz .LBB25_2665
.LBB25_601:                             ;   in Loop: Header=BB25_17 Depth=1
	s_or_b32 exec_lo, exec_lo, s27
	s_and_saveexec_b32 s27, s26
	s_cbranch_execz .LBB25_603
.LBB25_602:                             ;   in Loop: Header=BB25_17 Depth=1
	v_and_b32_e32 v0, 0xffff, v2
	s_delay_alu instid0(VALU_DEP_1) | instskip(SKIP_1) | instid1(VALU_DEP_2)
	v_and_b32_e32 v3, 7, v0
	v_bfe_u32 v16, v0, 3, 4
	v_clz_i32_u32_e32 v14, v3
	s_delay_alu instid0(VALU_DEP_2) | instskip(NEXT) | instid1(VALU_DEP_2)
	v_cmp_eq_u32_e32 vcc_lo, 0, v16
	v_min_u32_e32 v14, 32, v14
	s_delay_alu instid0(VALU_DEP_1) | instskip(NEXT) | instid1(VALU_DEP_1)
	v_subrev_nc_u32_e32 v15, 28, v14
	v_dual_lshlrev_b32 v0, v15, v0 :: v_dual_sub_nc_u32 v14, 29, v14
	s_delay_alu instid0(VALU_DEP_1) | instskip(NEXT) | instid1(VALU_DEP_1)
	v_dual_lshlrev_b32 v2, 24, v2 :: v_dual_bitop2_b32 v0, 7, v0 bitop3:0x40
	v_dual_cndmask_b32 v0, v3, v0, vcc_lo :: v_dual_cndmask_b32 v14, v16, v14, vcc_lo
	s_delay_alu instid0(VALU_DEP_2) | instskip(NEXT) | instid1(VALU_DEP_2)
	v_and_b32_e32 v2, 0x80000000, v2
	v_lshlrev_b32_e32 v0, 20, v0
	s_delay_alu instid0(VALU_DEP_3) | instskip(NEXT) | instid1(VALU_DEP_1)
	v_lshl_add_u32 v3, v14, 23, 0x3b800000
	v_or3_b32 v0, v2, v3, v0
.LBB25_603:                             ;   in Loop: Header=BB25_17 Depth=1
	s_or_b32 exec_lo, exec_lo, s27
.LBB25_604:                             ;   in Loop: Header=BB25_17 Depth=1
	s_delay_alu instid0(SALU_CYCLE_1) | instskip(NEXT) | instid1(SALU_CYCLE_1)
	s_or_b32 exec_lo, exec_lo, s25
	s_or_b32 s23, s23, exec_lo
.LBB25_605:                             ;   in Loop: Header=BB25_17 Depth=1
	s_or_b32 exec_lo, exec_lo, s24
	s_delay_alu instid0(SALU_CYCLE_1)
	s_and_b32 s23, s23, exec_lo
                                        ; implicit-def: $vgpr2_vgpr3
.LBB25_606:                             ;   in Loop: Header=BB25_17 Depth=1
	s_and_not1_saveexec_b32 s20, s20
	s_cbranch_execz .LBB25_632
; %bb.607:                              ;   in Loop: Header=BB25_17 Depth=1
	s_mov_b32 s25, s23
	s_mov_b32 s24, exec_lo
                                        ; implicit-def: $vgpr0
	v_cmpx_lt_i16_e32 22, v8
	s_xor_b32 s24, exec_lo, s24
	s_cbranch_execz .LBB25_621
; %bb.608:                              ;   in Loop: Header=BB25_17 Depth=1
	s_mov_b32 s25, exec_lo
                                        ; implicit-def: $vgpr0
	v_cmpx_lt_i16_e32 23, v8
	s_xor_b32 s25, exec_lo, s25
	s_cbranch_execz .LBB25_618
; %bb.609:                              ;   in Loop: Header=BB25_17 Depth=1
	;; [unrolled: 6-line block ×3, first 2 shown]
	flat_load_u8 v2, v[2:3]
	s_mov_b32 s27, 0
	s_mov_b32 s28, exec_lo
	s_wait_loadcnt_dscnt 0x0
	v_cmpx_lt_i16_e32 0x7f, v2
	s_xor_b32 s28, exec_lo, s28
	s_cbranch_execnz .LBB25_2774
; %bb.611:                              ;   in Loop: Header=BB25_17 Depth=1
	s_or_saveexec_b32 s28, s28
	v_mov_b32_e32 v0, 0x7f800001
	s_xor_b32 exec_lo, exec_lo, s28
	s_cbranch_execnz .LBB25_2777
.LBB25_612:                             ;   in Loop: Header=BB25_17 Depth=1
	s_or_b32 exec_lo, exec_lo, s28
	s_and_saveexec_b32 s28, s27
	s_cbranch_execz .LBB25_614
.LBB25_613:                             ;   in Loop: Header=BB25_17 Depth=1
	v_and_b32_e32 v0, 0xffff, v2
	s_delay_alu instid0(VALU_DEP_1) | instskip(SKIP_1) | instid1(VALU_DEP_2)
	v_and_b32_e32 v3, 3, v0
	v_bfe_u32 v16, v0, 2, 5
	v_clz_i32_u32_e32 v14, v3
	s_delay_alu instid0(VALU_DEP_2) | instskip(NEXT) | instid1(VALU_DEP_2)
	v_cmp_eq_u32_e32 vcc_lo, 0, v16
	v_min_u32_e32 v14, 32, v14
	s_delay_alu instid0(VALU_DEP_1) | instskip(NEXT) | instid1(VALU_DEP_1)
	v_subrev_nc_u32_e32 v15, 29, v14
	v_dual_lshlrev_b32 v0, v15, v0 :: v_dual_sub_nc_u32 v14, 30, v14
	s_delay_alu instid0(VALU_DEP_1) | instskip(NEXT) | instid1(VALU_DEP_1)
	v_dual_lshlrev_b32 v2, 24, v2 :: v_dual_bitop2_b32 v0, 3, v0 bitop3:0x40
	v_dual_cndmask_b32 v0, v3, v0, vcc_lo :: v_dual_cndmask_b32 v14, v16, v14, vcc_lo
	s_delay_alu instid0(VALU_DEP_2) | instskip(NEXT) | instid1(VALU_DEP_2)
	v_and_b32_e32 v2, 0x80000000, v2
	v_lshlrev_b32_e32 v0, 21, v0
	s_delay_alu instid0(VALU_DEP_3) | instskip(NEXT) | instid1(VALU_DEP_1)
	v_lshl_add_u32 v3, v14, 23, 0x37800000
	v_or3_b32 v0, v2, v3, v0
.LBB25_614:                             ;   in Loop: Header=BB25_17 Depth=1
	s_or_b32 exec_lo, exec_lo, s28
                                        ; implicit-def: $vgpr2_vgpr3
.LBB25_615:                             ;   in Loop: Header=BB25_17 Depth=1
	s_and_not1_saveexec_b32 s26, s26
	s_cbranch_execz .LBB25_617
; %bb.616:                              ;   in Loop: Header=BB25_17 Depth=1
	flat_load_u8 v0, v[2:3]
	s_wait_loadcnt_dscnt 0x0
	v_lshlrev_b32_e32 v0, 24, v0
	s_wait_xcnt 0x0
	s_delay_alu instid0(VALU_DEP_1) | instskip(NEXT) | instid1(VALU_DEP_1)
	v_and_b32_e32 v2, 0x7f000000, v0
	v_clz_i32_u32_e32 v3, v2
	v_cmp_ne_u32_e32 vcc_lo, 0, v2
	v_add_nc_u32_e32 v15, 0x1000000, v2
	s_delay_alu instid0(VALU_DEP_3) | instskip(NEXT) | instid1(VALU_DEP_1)
	v_min_u32_e32 v3, 32, v3
	v_sub_nc_u32_e64 v3, v3, 4 clamp
	s_delay_alu instid0(VALU_DEP_1) | instskip(NEXT) | instid1(VALU_DEP_1)
	v_dual_lshlrev_b32 v14, v3, v2 :: v_dual_lshlrev_b32 v3, 23, v3
	v_lshrrev_b32_e32 v14, 4, v14
	s_delay_alu instid0(VALU_DEP_1) | instskip(SKIP_1) | instid1(VALU_DEP_2)
	v_sub_nc_u32_e32 v3, v14, v3
	v_ashrrev_i32_e32 v14, 8, v15
	v_add_nc_u32_e32 v3, 0x3c000000, v3
	s_delay_alu instid0(VALU_DEP_1) | instskip(NEXT) | instid1(VALU_DEP_1)
	v_and_or_b32 v3, 0x7f800000, v14, v3
	v_cndmask_b32_e32 v2, 0, v3, vcc_lo
	s_delay_alu instid0(VALU_DEP_1)
	v_and_or_b32 v0, 0x80000000, v0, v2
.LBB25_617:                             ;   in Loop: Header=BB25_17 Depth=1
	s_or_b32 exec_lo, exec_lo, s26
                                        ; implicit-def: $vgpr2_vgpr3
.LBB25_618:                             ;   in Loop: Header=BB25_17 Depth=1
	s_and_not1_saveexec_b32 s25, s25
	s_cbranch_execz .LBB25_620
; %bb.619:                              ;   in Loop: Header=BB25_17 Depth=1
	flat_load_u8 v0, v[2:3]
	s_wait_loadcnt_dscnt 0x0
	v_lshlrev_b32_e32 v2, 25, v0
	v_lshlrev_b16 v0, 8, v0
	s_delay_alu instid0(VALU_DEP_1) | instskip(SKIP_1) | instid1(VALU_DEP_2)
	v_and_or_b32 v14, 0x7f00, v0, 0.5
	v_bfe_i32 v0, v0, 0, 16
	v_add_f32_e32 v14, -0.5, v14
	v_lshrrev_b32_e32 v3, 4, v2
	v_cmp_gt_u32_e32 vcc_lo, 0x8000000, v2
	s_delay_alu instid0(VALU_DEP_2) | instskip(NEXT) | instid1(VALU_DEP_1)
	v_or_b32_e32 v3, 0x70000000, v3
	v_mul_f32_e32 v3, 0x7800000, v3
	s_delay_alu instid0(VALU_DEP_1) | instskip(NEXT) | instid1(VALU_DEP_1)
	v_cndmask_b32_e32 v2, v3, v14, vcc_lo
	v_and_or_b32 v0, 0x80000000, v0, v2
.LBB25_620:                             ;   in Loop: Header=BB25_17 Depth=1
	s_or_b32 exec_lo, exec_lo, s25
	s_delay_alu instid0(SALU_CYCLE_1)
	s_or_b32 s25, s23, exec_lo
                                        ; implicit-def: $vgpr2_vgpr3
.LBB25_621:                             ;   in Loop: Header=BB25_17 Depth=1
	s_and_not1_saveexec_b32 s24, s24
	s_cbranch_execz .LBB25_631
; %bb.622:                              ;   in Loop: Header=BB25_17 Depth=1
	s_mov_b32 s26, s25
	s_mov_b32 s27, exec_lo
                                        ; implicit-def: $vgpr0
	v_cmpx_lt_i16_e32 14, v8
	s_xor_b32 s27, exec_lo, s27
	s_cbranch_execz .LBB25_626
; %bb.623:                              ;   in Loop: Header=BB25_17 Depth=1
	s_mov_b32 s26, s25
	s_mov_b32 s28, exec_lo
                                        ; implicit-def: $vgpr0
	v_cmpx_eq_u16_e32 15, v8
	s_cbranch_execz .LBB25_625
; %bb.624:                              ;   in Loop: Header=BB25_17 Depth=1
	flat_load_u16 v0, v[2:3]
	s_or_b32 s26, s25, exec_lo
	s_wait_loadcnt_dscnt 0x0
	v_lshlrev_b32_e32 v0, 16, v0
.LBB25_625:                             ;   in Loop: Header=BB25_17 Depth=1
	s_wait_xcnt 0x0
	s_or_b32 exec_lo, exec_lo, s28
	s_delay_alu instid0(SALU_CYCLE_1) | instskip(SKIP_1) | instid1(SALU_CYCLE_1)
	s_and_not1_b32 s28, s25, exec_lo
	s_and_b32 s26, s26, exec_lo
                                        ; implicit-def: $vgpr2_vgpr3
	s_or_b32 s26, s28, s26
.LBB25_626:                             ;   in Loop: Header=BB25_17 Depth=1
	s_and_not1_saveexec_b32 s27, s27
	s_cbranch_execz .LBB25_630
; %bb.627:                              ;   in Loop: Header=BB25_17 Depth=1
	s_mov_b32 s28, s26
	s_mov_b32 s29, exec_lo
                                        ; implicit-def: $vgpr0
	v_cmpx_eq_u16_e32 11, v8
	s_cbranch_execz .LBB25_629
; %bb.628:                              ;   in Loop: Header=BB25_17 Depth=1
	flat_load_u8 v0, v[2:3]
	s_or_b32 s28, s26, exec_lo
	s_wait_loadcnt_dscnt 0x0
	v_cmp_ne_u16_e32 vcc_lo, 0, v0
	v_cndmask_b32_e64 v0, 0, 1.0, vcc_lo
.LBB25_629:                             ;   in Loop: Header=BB25_17 Depth=1
	s_wait_xcnt 0x0
	s_or_b32 exec_lo, exec_lo, s29
	s_delay_alu instid0(SALU_CYCLE_1) | instskip(SKIP_1) | instid1(SALU_CYCLE_1)
	s_and_not1_b32 s26, s26, exec_lo
	s_and_b32 s28, s28, exec_lo
	s_or_b32 s26, s26, s28
.LBB25_630:                             ;   in Loop: Header=BB25_17 Depth=1
	s_or_b32 exec_lo, exec_lo, s27
	s_delay_alu instid0(SALU_CYCLE_1) | instskip(SKIP_1) | instid1(SALU_CYCLE_1)
	s_and_not1_b32 s25, s25, exec_lo
	s_and_b32 s26, s26, exec_lo
	s_or_b32 s25, s25, s26
.LBB25_631:                             ;   in Loop: Header=BB25_17 Depth=1
	s_or_b32 exec_lo, exec_lo, s24
	s_delay_alu instid0(SALU_CYCLE_1) | instskip(SKIP_1) | instid1(SALU_CYCLE_1)
	s_and_not1_b32 s23, s23, exec_lo
	s_and_b32 s24, s25, exec_lo
	s_or_b32 s23, s23, s24
.LBB25_632:                             ;   in Loop: Header=BB25_17 Depth=1
	s_or_b32 exec_lo, exec_lo, s20
	s_delay_alu instid0(SALU_CYCLE_1)
	s_and_b32 s24, s23, exec_lo
                                        ; implicit-def: $vgpr2_vgpr3
.LBB25_633:                             ;   in Loop: Header=BB25_17 Depth=1
	s_and_not1_saveexec_b32 s19, s19
	s_cbranch_execz .LBB25_675
; %bb.634:                              ;   in Loop: Header=BB25_17 Depth=1
	s_mov_b32 s20, exec_lo
                                        ; implicit-def: $vgpr0
	v_cmpx_lt_i16_e32 4, v8
	s_xor_b32 s20, exec_lo, s20
	s_cbranch_execz .LBB25_656
; %bb.635:                              ;   in Loop: Header=BB25_17 Depth=1
	s_mov_b32 s23, exec_lo
                                        ; implicit-def: $vgpr0
	v_cmpx_lt_i16_e32 7, v8
	s_xor_b32 s23, exec_lo, s23
	;; [unrolled: 6-line block ×4, first 2 shown]
	s_cbranch_execz .LBB25_639
; %bb.638:                              ;   in Loop: Header=BB25_17 Depth=1
	flat_load_b64 v[2:3], v[2:3]
	s_wait_loadcnt_dscnt 0x0
	v_cvt_f32_f64_e32 v0, v[2:3]
                                        ; implicit-def: $vgpr2_vgpr3
.LBB25_639:                             ;   in Loop: Header=BB25_17 Depth=1
	s_wait_xcnt 0x0
	s_and_not1_saveexec_b32 s26, s26
	s_cbranch_execz .LBB25_641
; %bb.640:                              ;   in Loop: Header=BB25_17 Depth=1
	flat_load_b32 v0, v[2:3]
.LBB25_641:                             ;   in Loop: Header=BB25_17 Depth=1
	s_wait_xcnt 0x0
	s_or_b32 exec_lo, exec_lo, s26
                                        ; implicit-def: $vgpr2_vgpr3
.LBB25_642:                             ;   in Loop: Header=BB25_17 Depth=1
	s_and_not1_saveexec_b32 s25, s25
	s_cbranch_execz .LBB25_644
; %bb.643:                              ;   in Loop: Header=BB25_17 Depth=1
	s_wait_loadcnt_dscnt 0x0
	flat_load_b32 v0, v[2:3]
	s_wait_loadcnt_dscnt 0x0
	v_cvt_f32_f16_e32 v0, v0
.LBB25_644:                             ;   in Loop: Header=BB25_17 Depth=1
	s_wait_xcnt 0x0
	s_or_b32 exec_lo, exec_lo, s25
                                        ; implicit-def: $vgpr2_vgpr3
.LBB25_645:                             ;   in Loop: Header=BB25_17 Depth=1
	s_and_not1_saveexec_b32 s23, s23
	s_cbranch_execz .LBB25_655
; %bb.646:                              ;   in Loop: Header=BB25_17 Depth=1
	s_mov_b32 s25, exec_lo
                                        ; implicit-def: $vgpr0
	v_cmpx_lt_i16_e32 5, v8
	s_xor_b32 s25, exec_lo, s25
	s_cbranch_execz .LBB25_652
; %bb.647:                              ;   in Loop: Header=BB25_17 Depth=1
	s_mov_b32 s26, exec_lo
                                        ; implicit-def: $vgpr0
	v_cmpx_lt_i16_e32 6, v8
	s_xor_b32 s26, exec_lo, s26
	s_cbranch_execz .LBB25_649
; %bb.648:                              ;   in Loop: Header=BB25_17 Depth=1
	flat_load_b64 v[2:3], v[2:3]
	s_wait_loadcnt_dscnt 0x0
	v_cvt_f32_f64_e32 v0, v[2:3]
                                        ; implicit-def: $vgpr2_vgpr3
.LBB25_649:                             ;   in Loop: Header=BB25_17 Depth=1
	s_wait_xcnt 0x0
	s_and_not1_saveexec_b32 s26, s26
	s_cbranch_execz .LBB25_651
; %bb.650:                              ;   in Loop: Header=BB25_17 Depth=1
	s_wait_loadcnt_dscnt 0x0
	flat_load_b32 v0, v[2:3]
.LBB25_651:                             ;   in Loop: Header=BB25_17 Depth=1
	s_wait_xcnt 0x0
	s_or_b32 exec_lo, exec_lo, s26
                                        ; implicit-def: $vgpr2_vgpr3
.LBB25_652:                             ;   in Loop: Header=BB25_17 Depth=1
	s_and_not1_saveexec_b32 s25, s25
	s_cbranch_execz .LBB25_654
; %bb.653:                              ;   in Loop: Header=BB25_17 Depth=1
	s_wait_loadcnt_dscnt 0x0
	flat_load_u16 v0, v[2:3]
	s_wait_loadcnt_dscnt 0x0
	v_cvt_f32_f16_e32 v0, v0
.LBB25_654:                             ;   in Loop: Header=BB25_17 Depth=1
	s_wait_xcnt 0x0
	s_or_b32 exec_lo, exec_lo, s25
.LBB25_655:                             ;   in Loop: Header=BB25_17 Depth=1
	s_delay_alu instid0(SALU_CYCLE_1)
	s_or_b32 exec_lo, exec_lo, s23
                                        ; implicit-def: $vgpr2_vgpr3
.LBB25_656:                             ;   in Loop: Header=BB25_17 Depth=1
	s_and_not1_saveexec_b32 s20, s20
	s_cbranch_execz .LBB25_674
; %bb.657:                              ;   in Loop: Header=BB25_17 Depth=1
	s_mov_b32 s23, exec_lo
                                        ; implicit-def: $vgpr0
	v_cmpx_lt_i16_e32 1, v8
	s_xor_b32 s23, exec_lo, s23
	s_cbranch_execz .LBB25_667
; %bb.658:                              ;   in Loop: Header=BB25_17 Depth=1
	s_mov_b32 s25, exec_lo
                                        ; implicit-def: $vgpr0
	v_cmpx_lt_i16_e32 2, v8
	s_xor_b32 s25, exec_lo, s25
	;; [unrolled: 6-line block ×3, first 2 shown]
	s_cbranch_execz .LBB25_661
; %bb.660:                              ;   in Loop: Header=BB25_17 Depth=1
	flat_load_b64 v[2:3], v[2:3]
	s_wait_loadcnt_dscnt 0x0
	v_xor_b32_e32 v0, v2, v3
	v_cls_i32_e32 v14, v3
	s_delay_alu instid0(VALU_DEP_2) | instskip(NEXT) | instid1(VALU_DEP_1)
	v_ashrrev_i32_e32 v0, 31, v0
	v_add_nc_u32_e32 v0, 32, v0
	s_delay_alu instid0(VALU_DEP_1) | instskip(SKIP_1) | instid1(VALU_DEP_1)
	v_add_min_u32_e64 v0, v14, -1, v0
	s_wait_xcnt 0x0
	v_lshlrev_b64_e32 v[2:3], v0, v[2:3]
	v_sub_nc_u32_e32 v0, 32, v0
	s_delay_alu instid0(VALU_DEP_2) | instskip(NEXT) | instid1(VALU_DEP_1)
	v_min_u32_e32 v2, 1, v2
	v_or_b32_e32 v2, v3, v2
	s_delay_alu instid0(VALU_DEP_1) | instskip(NEXT) | instid1(VALU_DEP_1)
	v_cvt_f32_i32_e32 v2, v2
	v_ldexp_f32 v0, v2, v0
                                        ; implicit-def: $vgpr2_vgpr3
.LBB25_661:                             ;   in Loop: Header=BB25_17 Depth=1
	s_and_not1_saveexec_b32 s26, s26
	s_cbranch_execz .LBB25_663
; %bb.662:                              ;   in Loop: Header=BB25_17 Depth=1
	s_wait_loadcnt_dscnt 0x0
	flat_load_b32 v0, v[2:3]
	s_wait_loadcnt_dscnt 0x0
	v_cvt_f32_i32_e32 v0, v0
.LBB25_663:                             ;   in Loop: Header=BB25_17 Depth=1
	s_wait_xcnt 0x0
	s_or_b32 exec_lo, exec_lo, s26
                                        ; implicit-def: $vgpr2_vgpr3
.LBB25_664:                             ;   in Loop: Header=BB25_17 Depth=1
	s_and_not1_saveexec_b32 s25, s25
	s_cbranch_execz .LBB25_666
; %bb.665:                              ;   in Loop: Header=BB25_17 Depth=1
	s_wait_loadcnt_dscnt 0x0
	flat_load_i16 v0, v[2:3]
	s_wait_loadcnt_dscnt 0x0
	v_cvt_f32_i32_e32 v0, v0
.LBB25_666:                             ;   in Loop: Header=BB25_17 Depth=1
	s_wait_xcnt 0x0
	s_or_b32 exec_lo, exec_lo, s25
                                        ; implicit-def: $vgpr2_vgpr3
.LBB25_667:                             ;   in Loop: Header=BB25_17 Depth=1
	s_and_not1_saveexec_b32 s23, s23
	s_cbranch_execz .LBB25_673
; %bb.668:                              ;   in Loop: Header=BB25_17 Depth=1
	s_mov_b32 s25, exec_lo
                                        ; implicit-def: $vgpr0
	v_cmpx_lt_i16_e32 0, v8
	s_xor_b32 s25, exec_lo, s25
	s_cbranch_execz .LBB25_670
; %bb.669:                              ;   in Loop: Header=BB25_17 Depth=1
	s_wait_loadcnt_dscnt 0x0
	flat_load_i8 v0, v[2:3]
                                        ; implicit-def: $vgpr2_vgpr3
	s_wait_loadcnt_dscnt 0x0
	v_cvt_f32_i32_e32 v0, v0
.LBB25_670:                             ;   in Loop: Header=BB25_17 Depth=1
	s_wait_xcnt 0x0
	s_and_not1_saveexec_b32 s25, s25
	s_cbranch_execz .LBB25_672
; %bb.671:                              ;   in Loop: Header=BB25_17 Depth=1
	s_wait_loadcnt_dscnt 0x0
	flat_load_u8 v0, v[2:3]
	s_wait_loadcnt_dscnt 0x0
	v_cvt_f32_ubyte0_e32 v0, v0
.LBB25_672:                             ;   in Loop: Header=BB25_17 Depth=1
	s_wait_xcnt 0x0
	s_or_b32 exec_lo, exec_lo, s25
.LBB25_673:                             ;   in Loop: Header=BB25_17 Depth=1
	s_delay_alu instid0(SALU_CYCLE_1)
	s_or_b32 exec_lo, exec_lo, s23
.LBB25_674:                             ;   in Loop: Header=BB25_17 Depth=1
	s_delay_alu instid0(SALU_CYCLE_1) | instskip(NEXT) | instid1(SALU_CYCLE_1)
	s_or_b32 exec_lo, exec_lo, s20
	s_or_b32 s24, s24, exec_lo
.LBB25_675:                             ;   in Loop: Header=BB25_17 Depth=1
	s_or_b32 exec_lo, exec_lo, s19
	s_mov_b32 s19, -1
	s_mov_b32 s25, 0
	s_mov_b32 s20, 0
	s_and_saveexec_b32 s23, s24
	s_cbranch_execz .LBB25_681
; %bb.676:                              ;   in Loop: Header=BB25_17 Depth=1
	s_add_co_i32 s19, s33, s1
	s_mov_b32 s24, 0
	s_add_co_i32 s19, s19, 16
	s_mov_b32 s20, exec_lo
	s_wait_loadcnt_dscnt 0x0
	scratch_store_b32 off, v0, s19 offset:44
	s_wait_xcnt 0x0
	v_mul_lo_u32 v0, v13, v11
	v_and_b32_e32 v13, 0xff, v9
	s_delay_alu instid0(VALU_DEP_2) | instskip(NEXT) | instid1(VALU_DEP_2)
	v_add_nc_u64_e32 v[2:3], v[6:7], v[0:1]
                                        ; implicit-def: $vgpr0
	v_cmpx_lt_i16_e32 10, v13
	s_xor_b32 s20, exec_lo, s20
	s_cbranch_execnz .LBB25_2318
; %bb.677:                              ;   in Loop: Header=BB25_17 Depth=1
	s_and_not1_saveexec_b32 s20, s20
	s_cbranch_execnz .LBB25_2377
.LBB25_678:                             ;   in Loop: Header=BB25_17 Depth=1
	s_or_b32 exec_lo, exec_lo, s20
	s_mov_b32 s25, 0
	s_and_saveexec_b32 s20, s24
	s_cbranch_execz .LBB25_680
.LBB25_679:                             ;   in Loop: Header=BB25_17 Depth=1
	v_add_nc_u32_e32 v12, 0x200, v12
	s_mov_b32 s25, exec_lo
	s_wait_loadcnt_dscnt 0x0
	scratch_store_b32 off, v0, s19 offset:40
.LBB25_680:                             ;   in Loop: Header=BB25_17 Depth=1
	s_wait_xcnt 0x0
	s_or_b32 exec_lo, exec_lo, s20
	s_delay_alu instid0(SALU_CYCLE_1)
	s_mov_b32 s20, exec_lo
	s_xor_b32 s19, exec_lo, -1
	s_and_b32 s25, s25, exec_lo
.LBB25_681:                             ;   in Loop: Header=BB25_17 Depth=1
	s_or_b32 exec_lo, exec_lo, s23
	s_delay_alu instid0(SALU_CYCLE_1)
	s_or_not1_b32 s23, s25, exec_lo
.LBB25_682:                             ;   in Loop: Header=BB25_17 Depth=1
	s_or_b32 exec_lo, exec_lo, s21
	s_and_saveexec_b32 s21, s23
	s_cbranch_execz .LBB25_11
; %bb.683:                              ;   in Loop: Header=BB25_17 Depth=1
	s_mov_b32 s25, -1
	s_mov_b32 s26, -1
	s_mov_b32 s24, exec_lo
                                        ; implicit-def: $sgpr22
                                        ; implicit-def: $sgpr23
	v_cmpx_lt_i32_e64 v12, v211
	s_cbranch_execz .LBB25_793
; %bb.684:                              ;   in Loop: Header=BB25_17 Depth=1
	v_add_nc_u32_e32 v13, s60, v12
	s_mov_b32 s27, 0
	s_mov_b32 s22, exec_lo
	s_wait_loadcnt_dscnt 0x0
	s_delay_alu instid0(VALU_DEP_1) | instskip(NEXT) | instid1(VALU_DEP_1)
	v_mul_lo_u32 v0, v13, v10
	v_add_nc_u64_e32 v[2:3], v[4:5], v[0:1]
                                        ; implicit-def: $vgpr0
	v_cmpx_lt_i16_e32 10, v8
	s_xor_b32 s22, exec_lo, s22
	s_cbranch_execz .LBB25_744
; %bb.685:                              ;   in Loop: Header=BB25_17 Depth=1
	s_mov_b32 s26, 0
	s_mov_b32 s23, exec_lo
                                        ; implicit-def: $vgpr0
	v_cmpx_lt_i16_e32 25, v8
	s_xor_b32 s23, exec_lo, s23
	s_cbranch_execz .LBB25_717
; %bb.686:                              ;   in Loop: Header=BB25_17 Depth=1
	s_mov_b32 s27, exec_lo
                                        ; implicit-def: $vgpr0
	v_cmpx_lt_i16_e32 28, v8
	s_xor_b32 s27, exec_lo, s27
	s_cbranch_execz .LBB25_702
; %bb.687:                              ;   in Loop: Header=BB25_17 Depth=1
	s_mov_b32 s28, 0
	s_mov_b32 s26, exec_lo
                                        ; implicit-def: $vgpr0
	v_cmpx_lt_i16_e32 43, v8
	s_xor_b32 s26, exec_lo, s26
	s_cbranch_execz .LBB25_697
; %bb.688:                              ;   in Loop: Header=BB25_17 Depth=1
	s_mov_b32 s29, exec_lo
                                        ; implicit-def: $vgpr0
	v_cmpx_lt_i16_e32 45, v8
	s_xor_b32 s29, exec_lo, s29
	s_cbranch_execz .LBB25_692
; %bb.689:                              ;   in Loop: Header=BB25_17 Depth=1
	s_mov_b32 s40, exec_lo
                                        ; implicit-def: $vgpr0
	v_cmpx_eq_u16_e32 46, v8
	s_cbranch_execz .LBB25_691
; %bb.690:                              ;   in Loop: Header=BB25_17 Depth=1
	flat_load_b32 v0, v[2:3]
	s_mov_b32 s28, exec_lo
	s_wait_loadcnt_dscnt 0x0
	v_lshlrev_b32_e32 v0, 16, v0
.LBB25_691:                             ;   in Loop: Header=BB25_17 Depth=1
	s_wait_xcnt 0x0
	s_or_b32 exec_lo, exec_lo, s40
	s_delay_alu instid0(SALU_CYCLE_1)
	s_and_b32 s28, s28, exec_lo
                                        ; implicit-def: $vgpr2_vgpr3
.LBB25_692:                             ;   in Loop: Header=BB25_17 Depth=1
	s_and_not1_saveexec_b32 s29, s29
	s_cbranch_execz .LBB25_696
; %bb.693:                              ;   in Loop: Header=BB25_17 Depth=1
	s_mov_b32 s41, s28
	s_mov_b32 s40, exec_lo
                                        ; implicit-def: $vgpr0
	v_cmpx_eq_u16_e32 44, v8
	s_cbranch_execz .LBB25_695
; %bb.694:                              ;   in Loop: Header=BB25_17 Depth=1
	flat_load_u8 v0, v[2:3]
	s_or_b32 s41, s28, exec_lo
	s_wait_loadcnt_dscnt 0x0
	v_lshlrev_b32_e32 v2, 23, v0
	v_cmp_ne_u32_e32 vcc_lo, 0xff, v0
	s_delay_alu instid0(VALU_DEP_2) | instskip(SKIP_1) | instid1(VALU_DEP_2)
	v_cndmask_b32_e32 v2, 0x7f800001, v2, vcc_lo
	v_cmp_ne_u32_e32 vcc_lo, 0, v0
	v_cndmask_b32_e32 v0, 0x400000, v2, vcc_lo
.LBB25_695:                             ;   in Loop: Header=BB25_17 Depth=1
	s_or_b32 exec_lo, exec_lo, s40
	s_delay_alu instid0(SALU_CYCLE_1) | instskip(SKIP_1) | instid1(SALU_CYCLE_1)
	s_and_not1_b32 s28, s28, exec_lo
	s_and_b32 s40, s41, exec_lo
	s_or_b32 s28, s28, s40
.LBB25_696:                             ;   in Loop: Header=BB25_17 Depth=1
	s_or_b32 exec_lo, exec_lo, s29
	s_delay_alu instid0(SALU_CYCLE_1)
	s_and_b32 s28, s28, exec_lo
                                        ; implicit-def: $vgpr2_vgpr3
.LBB25_697:                             ;   in Loop: Header=BB25_17 Depth=1
	s_and_not1_saveexec_b32 s26, s26
	s_cbranch_execz .LBB25_701
; %bb.698:                              ;   in Loop: Header=BB25_17 Depth=1
	s_mov_b32 s40, s28
	s_mov_b32 s29, exec_lo
                                        ; implicit-def: $vgpr0
	v_cmpx_eq_u16_e32 29, v8
	s_cbranch_execz .LBB25_700
; %bb.699:                              ;   in Loop: Header=BB25_17 Depth=1
	flat_load_b64 v[2:3], v[2:3]
	s_or_b32 s40, s28, exec_lo
	s_wait_loadcnt_dscnt 0x0
	v_clz_i32_u32_e32 v0, v3
	s_delay_alu instid0(VALU_DEP_1) | instskip(SKIP_1) | instid1(VALU_DEP_1)
	v_min_u32_e32 v0, 32, v0
	s_wait_xcnt 0x0
	v_lshlrev_b64_e32 v[2:3], v0, v[2:3]
	v_sub_nc_u32_e32 v0, 32, v0
	s_delay_alu instid0(VALU_DEP_2) | instskip(NEXT) | instid1(VALU_DEP_1)
	v_min_u32_e32 v2, 1, v2
	v_or_b32_e32 v2, v3, v2
	s_delay_alu instid0(VALU_DEP_1) | instskip(NEXT) | instid1(VALU_DEP_1)
	v_cvt_f32_u32_e32 v2, v2
	v_ldexp_f32 v0, v2, v0
.LBB25_700:                             ;   in Loop: Header=BB25_17 Depth=1
	s_or_b32 exec_lo, exec_lo, s29
	s_delay_alu instid0(SALU_CYCLE_1) | instskip(SKIP_1) | instid1(SALU_CYCLE_1)
	s_and_not1_b32 s28, s28, exec_lo
	s_and_b32 s29, s40, exec_lo
	s_or_b32 s28, s28, s29
.LBB25_701:                             ;   in Loop: Header=BB25_17 Depth=1
	s_or_b32 exec_lo, exec_lo, s26
	s_delay_alu instid0(SALU_CYCLE_1)
	s_and_b32 s26, s28, exec_lo
                                        ; implicit-def: $vgpr2_vgpr3
.LBB25_702:                             ;   in Loop: Header=BB25_17 Depth=1
	s_and_not1_saveexec_b32 s27, s27
	s_cbranch_execz .LBB25_716
; %bb.703:                              ;   in Loop: Header=BB25_17 Depth=1
	s_mov_b32 s28, exec_lo
                                        ; implicit-def: $vgpr0
	v_cmpx_lt_i16_e32 26, v8
	s_xor_b32 s28, exec_lo, s28
	s_cbranch_execz .LBB25_709
; %bb.704:                              ;   in Loop: Header=BB25_17 Depth=1
	s_mov_b32 s29, exec_lo
                                        ; implicit-def: $vgpr0
	v_cmpx_lt_i16_e32 27, v8
	s_xor_b32 s29, exec_lo, s29
	s_cbranch_execz .LBB25_706
; %bb.705:                              ;   in Loop: Header=BB25_17 Depth=1
	flat_load_b32 v0, v[2:3]
                                        ; implicit-def: $vgpr2_vgpr3
	s_wait_loadcnt_dscnt 0x0
	v_cvt_f32_u32_e32 v0, v0
.LBB25_706:                             ;   in Loop: Header=BB25_17 Depth=1
	s_wait_xcnt 0x0
	s_and_not1_saveexec_b32 s29, s29
	s_cbranch_execz .LBB25_708
; %bb.707:                              ;   in Loop: Header=BB25_17 Depth=1
	flat_load_u16 v0, v[2:3]
	s_wait_loadcnt_dscnt 0x0
	v_cvt_f32_u32_e32 v0, v0
.LBB25_708:                             ;   in Loop: Header=BB25_17 Depth=1
	s_wait_xcnt 0x0
	s_or_b32 exec_lo, exec_lo, s29
                                        ; implicit-def: $vgpr2_vgpr3
.LBB25_709:                             ;   in Loop: Header=BB25_17 Depth=1
	s_and_not1_saveexec_b32 s28, s28
	s_cbranch_execz .LBB25_715
; %bb.710:                              ;   in Loop: Header=BB25_17 Depth=1
	flat_load_u8 v2, v[2:3]
	s_mov_b32 s29, 0
	s_mov_b32 s40, exec_lo
	s_wait_loadcnt_dscnt 0x0
	v_cmpx_lt_i16_e32 0x7f, v2
	s_xor_b32 s40, exec_lo, s40
	s_cbranch_execnz .LBB25_2778
; %bb.711:                              ;   in Loop: Header=BB25_17 Depth=1
	s_or_saveexec_b32 s40, s40
	v_mov_b32_e32 v0, 0x7f800001
	s_xor_b32 exec_lo, exec_lo, s40
	s_cbranch_execnz .LBB25_2781
.LBB25_712:                             ;   in Loop: Header=BB25_17 Depth=1
	s_or_b32 exec_lo, exec_lo, s40
	s_and_saveexec_b32 s40, s29
	s_cbranch_execz .LBB25_714
.LBB25_713:                             ;   in Loop: Header=BB25_17 Depth=1
	v_and_b32_e32 v0, 0xffff, v2
	s_delay_alu instid0(VALU_DEP_1) | instskip(SKIP_1) | instid1(VALU_DEP_2)
	v_and_b32_e32 v3, 7, v0
	v_bfe_u32 v16, v0, 3, 4
	v_clz_i32_u32_e32 v14, v3
	s_delay_alu instid0(VALU_DEP_2) | instskip(NEXT) | instid1(VALU_DEP_2)
	v_cmp_eq_u32_e32 vcc_lo, 0, v16
	v_min_u32_e32 v14, 32, v14
	s_delay_alu instid0(VALU_DEP_1) | instskip(NEXT) | instid1(VALU_DEP_1)
	v_subrev_nc_u32_e32 v15, 28, v14
	v_dual_lshlrev_b32 v0, v15, v0 :: v_dual_sub_nc_u32 v14, 29, v14
	s_delay_alu instid0(VALU_DEP_1) | instskip(NEXT) | instid1(VALU_DEP_1)
	v_dual_lshlrev_b32 v2, 24, v2 :: v_dual_bitop2_b32 v0, 7, v0 bitop3:0x40
	v_dual_cndmask_b32 v0, v3, v0, vcc_lo :: v_dual_cndmask_b32 v14, v16, v14, vcc_lo
	s_delay_alu instid0(VALU_DEP_2) | instskip(NEXT) | instid1(VALU_DEP_2)
	v_and_b32_e32 v2, 0x80000000, v2
	v_lshlrev_b32_e32 v0, 20, v0
	s_delay_alu instid0(VALU_DEP_3) | instskip(NEXT) | instid1(VALU_DEP_1)
	v_lshl_add_u32 v3, v14, 23, 0x3b800000
	v_or3_b32 v0, v2, v3, v0
.LBB25_714:                             ;   in Loop: Header=BB25_17 Depth=1
	s_or_b32 exec_lo, exec_lo, s40
.LBB25_715:                             ;   in Loop: Header=BB25_17 Depth=1
	s_delay_alu instid0(SALU_CYCLE_1) | instskip(NEXT) | instid1(SALU_CYCLE_1)
	s_or_b32 exec_lo, exec_lo, s28
	s_or_b32 s26, s26, exec_lo
.LBB25_716:                             ;   in Loop: Header=BB25_17 Depth=1
	s_or_b32 exec_lo, exec_lo, s27
	s_delay_alu instid0(SALU_CYCLE_1)
	s_and_b32 s26, s26, exec_lo
                                        ; implicit-def: $vgpr2_vgpr3
.LBB25_717:                             ;   in Loop: Header=BB25_17 Depth=1
	s_and_not1_saveexec_b32 s23, s23
	s_cbranch_execz .LBB25_743
; %bb.718:                              ;   in Loop: Header=BB25_17 Depth=1
	s_mov_b32 s28, s26
	s_mov_b32 s27, exec_lo
                                        ; implicit-def: $vgpr0
	v_cmpx_lt_i16_e32 22, v8
	s_xor_b32 s27, exec_lo, s27
	s_cbranch_execz .LBB25_732
; %bb.719:                              ;   in Loop: Header=BB25_17 Depth=1
	s_mov_b32 s28, exec_lo
                                        ; implicit-def: $vgpr0
	v_cmpx_lt_i16_e32 23, v8
	s_xor_b32 s28, exec_lo, s28
	s_cbranch_execz .LBB25_729
; %bb.720:                              ;   in Loop: Header=BB25_17 Depth=1
	;; [unrolled: 6-line block ×3, first 2 shown]
	flat_load_u8 v2, v[2:3]
	s_mov_b32 s40, 0
	s_mov_b32 s41, exec_lo
	s_wait_loadcnt_dscnt 0x0
	v_cmpx_lt_i16_e32 0x7f, v2
	s_xor_b32 s41, exec_lo, s41
	s_cbranch_execnz .LBB25_2890
; %bb.722:                              ;   in Loop: Header=BB25_17 Depth=1
	s_or_saveexec_b32 s41, s41
	v_mov_b32_e32 v0, 0x7f800001
	s_xor_b32 exec_lo, exec_lo, s41
	s_cbranch_execnz .LBB25_2893
.LBB25_723:                             ;   in Loop: Header=BB25_17 Depth=1
	s_or_b32 exec_lo, exec_lo, s41
	s_and_saveexec_b32 s41, s40
	s_cbranch_execz .LBB25_725
.LBB25_724:                             ;   in Loop: Header=BB25_17 Depth=1
	v_and_b32_e32 v0, 0xffff, v2
	s_delay_alu instid0(VALU_DEP_1) | instskip(SKIP_1) | instid1(VALU_DEP_2)
	v_and_b32_e32 v3, 3, v0
	v_bfe_u32 v16, v0, 2, 5
	v_clz_i32_u32_e32 v14, v3
	s_delay_alu instid0(VALU_DEP_2) | instskip(NEXT) | instid1(VALU_DEP_2)
	v_cmp_eq_u32_e32 vcc_lo, 0, v16
	v_min_u32_e32 v14, 32, v14
	s_delay_alu instid0(VALU_DEP_1) | instskip(NEXT) | instid1(VALU_DEP_1)
	v_subrev_nc_u32_e32 v15, 29, v14
	v_dual_lshlrev_b32 v0, v15, v0 :: v_dual_sub_nc_u32 v14, 30, v14
	s_delay_alu instid0(VALU_DEP_1) | instskip(NEXT) | instid1(VALU_DEP_1)
	v_dual_lshlrev_b32 v2, 24, v2 :: v_dual_bitop2_b32 v0, 3, v0 bitop3:0x40
	v_dual_cndmask_b32 v0, v3, v0, vcc_lo :: v_dual_cndmask_b32 v14, v16, v14, vcc_lo
	s_delay_alu instid0(VALU_DEP_2) | instskip(NEXT) | instid1(VALU_DEP_2)
	v_and_b32_e32 v2, 0x80000000, v2
	v_lshlrev_b32_e32 v0, 21, v0
	s_delay_alu instid0(VALU_DEP_3) | instskip(NEXT) | instid1(VALU_DEP_1)
	v_lshl_add_u32 v3, v14, 23, 0x37800000
	v_or3_b32 v0, v2, v3, v0
.LBB25_725:                             ;   in Loop: Header=BB25_17 Depth=1
	s_or_b32 exec_lo, exec_lo, s41
                                        ; implicit-def: $vgpr2_vgpr3
.LBB25_726:                             ;   in Loop: Header=BB25_17 Depth=1
	s_and_not1_saveexec_b32 s29, s29
	s_cbranch_execz .LBB25_728
; %bb.727:                              ;   in Loop: Header=BB25_17 Depth=1
	flat_load_u8 v0, v[2:3]
	s_wait_loadcnt_dscnt 0x0
	v_lshlrev_b32_e32 v0, 24, v0
	s_wait_xcnt 0x0
	s_delay_alu instid0(VALU_DEP_1) | instskip(NEXT) | instid1(VALU_DEP_1)
	v_and_b32_e32 v2, 0x7f000000, v0
	v_clz_i32_u32_e32 v3, v2
	v_cmp_ne_u32_e32 vcc_lo, 0, v2
	v_add_nc_u32_e32 v15, 0x1000000, v2
	s_delay_alu instid0(VALU_DEP_3) | instskip(NEXT) | instid1(VALU_DEP_1)
	v_min_u32_e32 v3, 32, v3
	v_sub_nc_u32_e64 v3, v3, 4 clamp
	s_delay_alu instid0(VALU_DEP_1) | instskip(NEXT) | instid1(VALU_DEP_1)
	v_dual_lshlrev_b32 v14, v3, v2 :: v_dual_lshlrev_b32 v3, 23, v3
	v_lshrrev_b32_e32 v14, 4, v14
	s_delay_alu instid0(VALU_DEP_1) | instskip(SKIP_1) | instid1(VALU_DEP_2)
	v_sub_nc_u32_e32 v3, v14, v3
	v_ashrrev_i32_e32 v14, 8, v15
	v_add_nc_u32_e32 v3, 0x3c000000, v3
	s_delay_alu instid0(VALU_DEP_1) | instskip(NEXT) | instid1(VALU_DEP_1)
	v_and_or_b32 v3, 0x7f800000, v14, v3
	v_cndmask_b32_e32 v2, 0, v3, vcc_lo
	s_delay_alu instid0(VALU_DEP_1)
	v_and_or_b32 v0, 0x80000000, v0, v2
.LBB25_728:                             ;   in Loop: Header=BB25_17 Depth=1
	s_or_b32 exec_lo, exec_lo, s29
                                        ; implicit-def: $vgpr2_vgpr3
.LBB25_729:                             ;   in Loop: Header=BB25_17 Depth=1
	s_and_not1_saveexec_b32 s28, s28
	s_cbranch_execz .LBB25_731
; %bb.730:                              ;   in Loop: Header=BB25_17 Depth=1
	flat_load_u8 v0, v[2:3]
	s_wait_loadcnt_dscnt 0x0
	v_lshlrev_b32_e32 v2, 25, v0
	v_lshlrev_b16 v0, 8, v0
	s_delay_alu instid0(VALU_DEP_1) | instskip(SKIP_1) | instid1(VALU_DEP_2)
	v_and_or_b32 v14, 0x7f00, v0, 0.5
	v_bfe_i32 v0, v0, 0, 16
	v_add_f32_e32 v14, -0.5, v14
	v_lshrrev_b32_e32 v3, 4, v2
	v_cmp_gt_u32_e32 vcc_lo, 0x8000000, v2
	s_delay_alu instid0(VALU_DEP_2) | instskip(NEXT) | instid1(VALU_DEP_1)
	v_or_b32_e32 v3, 0x70000000, v3
	v_mul_f32_e32 v3, 0x7800000, v3
	s_delay_alu instid0(VALU_DEP_1) | instskip(NEXT) | instid1(VALU_DEP_1)
	v_cndmask_b32_e32 v2, v3, v14, vcc_lo
	v_and_or_b32 v0, 0x80000000, v0, v2
.LBB25_731:                             ;   in Loop: Header=BB25_17 Depth=1
	s_or_b32 exec_lo, exec_lo, s28
	s_delay_alu instid0(SALU_CYCLE_1)
	s_or_b32 s28, s26, exec_lo
                                        ; implicit-def: $vgpr2_vgpr3
.LBB25_732:                             ;   in Loop: Header=BB25_17 Depth=1
	s_and_not1_saveexec_b32 s27, s27
	s_cbranch_execz .LBB25_742
; %bb.733:                              ;   in Loop: Header=BB25_17 Depth=1
	s_mov_b32 s29, s28
	s_mov_b32 s40, exec_lo
                                        ; implicit-def: $vgpr0
	v_cmpx_lt_i16_e32 14, v8
	s_xor_b32 s40, exec_lo, s40
	s_cbranch_execz .LBB25_737
; %bb.734:                              ;   in Loop: Header=BB25_17 Depth=1
	s_mov_b32 s29, s28
	s_mov_b32 s41, exec_lo
                                        ; implicit-def: $vgpr0
	v_cmpx_eq_u16_e32 15, v8
	s_cbranch_execz .LBB25_736
; %bb.735:                              ;   in Loop: Header=BB25_17 Depth=1
	flat_load_u16 v0, v[2:3]
	s_or_b32 s29, s28, exec_lo
	s_wait_loadcnt_dscnt 0x0
	v_lshlrev_b32_e32 v0, 16, v0
.LBB25_736:                             ;   in Loop: Header=BB25_17 Depth=1
	s_wait_xcnt 0x0
	s_or_b32 exec_lo, exec_lo, s41
	s_delay_alu instid0(SALU_CYCLE_1) | instskip(SKIP_1) | instid1(SALU_CYCLE_1)
	s_and_not1_b32 s41, s28, exec_lo
	s_and_b32 s29, s29, exec_lo
                                        ; implicit-def: $vgpr2_vgpr3
	s_or_b32 s29, s41, s29
.LBB25_737:                             ;   in Loop: Header=BB25_17 Depth=1
	s_and_not1_saveexec_b32 s40, s40
	s_cbranch_execz .LBB25_741
; %bb.738:                              ;   in Loop: Header=BB25_17 Depth=1
	s_mov_b32 s41, s29
	s_mov_b32 s42, exec_lo
                                        ; implicit-def: $vgpr0
	v_cmpx_eq_u16_e32 11, v8
	s_cbranch_execz .LBB25_740
; %bb.739:                              ;   in Loop: Header=BB25_17 Depth=1
	flat_load_u8 v0, v[2:3]
	s_or_b32 s41, s29, exec_lo
	s_wait_loadcnt_dscnt 0x0
	v_cmp_ne_u16_e32 vcc_lo, 0, v0
	v_cndmask_b32_e64 v0, 0, 1.0, vcc_lo
.LBB25_740:                             ;   in Loop: Header=BB25_17 Depth=1
	s_wait_xcnt 0x0
	s_or_b32 exec_lo, exec_lo, s42
	s_delay_alu instid0(SALU_CYCLE_1) | instskip(SKIP_1) | instid1(SALU_CYCLE_1)
	s_and_not1_b32 s29, s29, exec_lo
	s_and_b32 s41, s41, exec_lo
	s_or_b32 s29, s29, s41
.LBB25_741:                             ;   in Loop: Header=BB25_17 Depth=1
	s_or_b32 exec_lo, exec_lo, s40
	s_delay_alu instid0(SALU_CYCLE_1) | instskip(SKIP_1) | instid1(SALU_CYCLE_1)
	s_and_not1_b32 s28, s28, exec_lo
	s_and_b32 s29, s29, exec_lo
	s_or_b32 s28, s28, s29
.LBB25_742:                             ;   in Loop: Header=BB25_17 Depth=1
	s_or_b32 exec_lo, exec_lo, s27
	s_delay_alu instid0(SALU_CYCLE_1) | instskip(SKIP_1) | instid1(SALU_CYCLE_1)
	s_and_not1_b32 s26, s26, exec_lo
	s_and_b32 s27, s28, exec_lo
	s_or_b32 s26, s26, s27
.LBB25_743:                             ;   in Loop: Header=BB25_17 Depth=1
	s_or_b32 exec_lo, exec_lo, s23
	s_delay_alu instid0(SALU_CYCLE_1)
	s_and_b32 s27, s26, exec_lo
                                        ; implicit-def: $vgpr2_vgpr3
.LBB25_744:                             ;   in Loop: Header=BB25_17 Depth=1
	s_and_not1_saveexec_b32 s22, s22
	s_cbranch_execz .LBB25_786
; %bb.745:                              ;   in Loop: Header=BB25_17 Depth=1
	s_mov_b32 s23, exec_lo
                                        ; implicit-def: $vgpr0
	v_cmpx_lt_i16_e32 4, v8
	s_xor_b32 s23, exec_lo, s23
	s_cbranch_execz .LBB25_767
; %bb.746:                              ;   in Loop: Header=BB25_17 Depth=1
	s_mov_b32 s26, exec_lo
                                        ; implicit-def: $vgpr0
	v_cmpx_lt_i16_e32 7, v8
	s_xor_b32 s26, exec_lo, s26
	;; [unrolled: 6-line block ×4, first 2 shown]
	s_cbranch_execz .LBB25_750
; %bb.749:                              ;   in Loop: Header=BB25_17 Depth=1
	flat_load_b64 v[2:3], v[2:3]
	s_wait_loadcnt_dscnt 0x0
	v_cvt_f32_f64_e32 v0, v[2:3]
                                        ; implicit-def: $vgpr2_vgpr3
.LBB25_750:                             ;   in Loop: Header=BB25_17 Depth=1
	s_wait_xcnt 0x0
	s_and_not1_saveexec_b32 s29, s29
	s_cbranch_execz .LBB25_752
; %bb.751:                              ;   in Loop: Header=BB25_17 Depth=1
	flat_load_b32 v0, v[2:3]
.LBB25_752:                             ;   in Loop: Header=BB25_17 Depth=1
	s_wait_xcnt 0x0
	s_or_b32 exec_lo, exec_lo, s29
                                        ; implicit-def: $vgpr2_vgpr3
.LBB25_753:                             ;   in Loop: Header=BB25_17 Depth=1
	s_and_not1_saveexec_b32 s28, s28
	s_cbranch_execz .LBB25_755
; %bb.754:                              ;   in Loop: Header=BB25_17 Depth=1
	s_wait_loadcnt_dscnt 0x0
	flat_load_b32 v0, v[2:3]
	s_wait_loadcnt_dscnt 0x0
	v_cvt_f32_f16_e32 v0, v0
.LBB25_755:                             ;   in Loop: Header=BB25_17 Depth=1
	s_wait_xcnt 0x0
	s_or_b32 exec_lo, exec_lo, s28
                                        ; implicit-def: $vgpr2_vgpr3
.LBB25_756:                             ;   in Loop: Header=BB25_17 Depth=1
	s_and_not1_saveexec_b32 s26, s26
	s_cbranch_execz .LBB25_766
; %bb.757:                              ;   in Loop: Header=BB25_17 Depth=1
	s_mov_b32 s28, exec_lo
                                        ; implicit-def: $vgpr0
	v_cmpx_lt_i16_e32 5, v8
	s_xor_b32 s28, exec_lo, s28
	s_cbranch_execz .LBB25_763
; %bb.758:                              ;   in Loop: Header=BB25_17 Depth=1
	s_mov_b32 s29, exec_lo
                                        ; implicit-def: $vgpr0
	v_cmpx_lt_i16_e32 6, v8
	s_xor_b32 s29, exec_lo, s29
	s_cbranch_execz .LBB25_760
; %bb.759:                              ;   in Loop: Header=BB25_17 Depth=1
	flat_load_b64 v[2:3], v[2:3]
	s_wait_loadcnt_dscnt 0x0
	v_cvt_f32_f64_e32 v0, v[2:3]
                                        ; implicit-def: $vgpr2_vgpr3
.LBB25_760:                             ;   in Loop: Header=BB25_17 Depth=1
	s_wait_xcnt 0x0
	s_and_not1_saveexec_b32 s29, s29
	s_cbranch_execz .LBB25_762
; %bb.761:                              ;   in Loop: Header=BB25_17 Depth=1
	s_wait_loadcnt_dscnt 0x0
	flat_load_b32 v0, v[2:3]
.LBB25_762:                             ;   in Loop: Header=BB25_17 Depth=1
	s_wait_xcnt 0x0
	s_or_b32 exec_lo, exec_lo, s29
                                        ; implicit-def: $vgpr2_vgpr3
.LBB25_763:                             ;   in Loop: Header=BB25_17 Depth=1
	s_and_not1_saveexec_b32 s28, s28
	s_cbranch_execz .LBB25_765
; %bb.764:                              ;   in Loop: Header=BB25_17 Depth=1
	s_wait_loadcnt_dscnt 0x0
	flat_load_u16 v0, v[2:3]
	s_wait_loadcnt_dscnt 0x0
	v_cvt_f32_f16_e32 v0, v0
.LBB25_765:                             ;   in Loop: Header=BB25_17 Depth=1
	s_wait_xcnt 0x0
	s_or_b32 exec_lo, exec_lo, s28
.LBB25_766:                             ;   in Loop: Header=BB25_17 Depth=1
	s_delay_alu instid0(SALU_CYCLE_1)
	s_or_b32 exec_lo, exec_lo, s26
                                        ; implicit-def: $vgpr2_vgpr3
.LBB25_767:                             ;   in Loop: Header=BB25_17 Depth=1
	s_and_not1_saveexec_b32 s23, s23
	s_cbranch_execz .LBB25_785
; %bb.768:                              ;   in Loop: Header=BB25_17 Depth=1
	s_mov_b32 s26, exec_lo
                                        ; implicit-def: $vgpr0
	v_cmpx_lt_i16_e32 1, v8
	s_xor_b32 s26, exec_lo, s26
	s_cbranch_execz .LBB25_778
; %bb.769:                              ;   in Loop: Header=BB25_17 Depth=1
	s_mov_b32 s28, exec_lo
                                        ; implicit-def: $vgpr0
	v_cmpx_lt_i16_e32 2, v8
	s_xor_b32 s28, exec_lo, s28
	;; [unrolled: 6-line block ×3, first 2 shown]
	s_cbranch_execz .LBB25_772
; %bb.771:                              ;   in Loop: Header=BB25_17 Depth=1
	flat_load_b64 v[2:3], v[2:3]
	s_wait_loadcnt_dscnt 0x0
	v_xor_b32_e32 v0, v2, v3
	v_cls_i32_e32 v14, v3
	s_delay_alu instid0(VALU_DEP_2) | instskip(NEXT) | instid1(VALU_DEP_1)
	v_ashrrev_i32_e32 v0, 31, v0
	v_add_nc_u32_e32 v0, 32, v0
	s_delay_alu instid0(VALU_DEP_1) | instskip(SKIP_1) | instid1(VALU_DEP_1)
	v_add_min_u32_e64 v0, v14, -1, v0
	s_wait_xcnt 0x0
	v_lshlrev_b64_e32 v[2:3], v0, v[2:3]
	v_sub_nc_u32_e32 v0, 32, v0
	s_delay_alu instid0(VALU_DEP_2) | instskip(NEXT) | instid1(VALU_DEP_1)
	v_min_u32_e32 v2, 1, v2
	v_or_b32_e32 v2, v3, v2
	s_delay_alu instid0(VALU_DEP_1) | instskip(NEXT) | instid1(VALU_DEP_1)
	v_cvt_f32_i32_e32 v2, v2
	v_ldexp_f32 v0, v2, v0
                                        ; implicit-def: $vgpr2_vgpr3
.LBB25_772:                             ;   in Loop: Header=BB25_17 Depth=1
	s_and_not1_saveexec_b32 s29, s29
	s_cbranch_execz .LBB25_774
; %bb.773:                              ;   in Loop: Header=BB25_17 Depth=1
	s_wait_loadcnt_dscnt 0x0
	flat_load_b32 v0, v[2:3]
	s_wait_loadcnt_dscnt 0x0
	v_cvt_f32_i32_e32 v0, v0
.LBB25_774:                             ;   in Loop: Header=BB25_17 Depth=1
	s_wait_xcnt 0x0
	s_or_b32 exec_lo, exec_lo, s29
                                        ; implicit-def: $vgpr2_vgpr3
.LBB25_775:                             ;   in Loop: Header=BB25_17 Depth=1
	s_and_not1_saveexec_b32 s28, s28
	s_cbranch_execz .LBB25_777
; %bb.776:                              ;   in Loop: Header=BB25_17 Depth=1
	s_wait_loadcnt_dscnt 0x0
	flat_load_i16 v0, v[2:3]
	s_wait_loadcnt_dscnt 0x0
	v_cvt_f32_i32_e32 v0, v0
.LBB25_777:                             ;   in Loop: Header=BB25_17 Depth=1
	s_wait_xcnt 0x0
	s_or_b32 exec_lo, exec_lo, s28
                                        ; implicit-def: $vgpr2_vgpr3
.LBB25_778:                             ;   in Loop: Header=BB25_17 Depth=1
	s_and_not1_saveexec_b32 s26, s26
	s_cbranch_execz .LBB25_784
; %bb.779:                              ;   in Loop: Header=BB25_17 Depth=1
	s_mov_b32 s28, exec_lo
                                        ; implicit-def: $vgpr0
	v_cmpx_lt_i16_e32 0, v8
	s_xor_b32 s28, exec_lo, s28
	s_cbranch_execz .LBB25_781
; %bb.780:                              ;   in Loop: Header=BB25_17 Depth=1
	s_wait_loadcnt_dscnt 0x0
	flat_load_i8 v0, v[2:3]
                                        ; implicit-def: $vgpr2_vgpr3
	s_wait_loadcnt_dscnt 0x0
	v_cvt_f32_i32_e32 v0, v0
.LBB25_781:                             ;   in Loop: Header=BB25_17 Depth=1
	s_wait_xcnt 0x0
	s_and_not1_saveexec_b32 s28, s28
	s_cbranch_execz .LBB25_783
; %bb.782:                              ;   in Loop: Header=BB25_17 Depth=1
	s_wait_loadcnt_dscnt 0x0
	flat_load_u8 v0, v[2:3]
	s_wait_loadcnt_dscnt 0x0
	v_cvt_f32_ubyte0_e32 v0, v0
.LBB25_783:                             ;   in Loop: Header=BB25_17 Depth=1
	s_wait_xcnt 0x0
	s_or_b32 exec_lo, exec_lo, s28
.LBB25_784:                             ;   in Loop: Header=BB25_17 Depth=1
	s_delay_alu instid0(SALU_CYCLE_1)
	s_or_b32 exec_lo, exec_lo, s26
.LBB25_785:                             ;   in Loop: Header=BB25_17 Depth=1
	s_delay_alu instid0(SALU_CYCLE_1) | instskip(NEXT) | instid1(SALU_CYCLE_1)
	s_or_b32 exec_lo, exec_lo, s23
	s_or_b32 s27, s27, exec_lo
.LBB25_786:                             ;   in Loop: Header=BB25_17 Depth=1
	s_or_b32 exec_lo, exec_lo, s22
	s_mov_b32 s22, -1
	s_mov_b32 s28, 0
	s_mov_b32 s23, 0
	s_and_saveexec_b32 s26, s27
	s_cbranch_execz .LBB25_792
; %bb.787:                              ;   in Loop: Header=BB25_17 Depth=1
	s_add_co_i32 s22, s33, s1
	s_mov_b32 s27, 0
	s_add_co_i32 s22, s22, 16
	s_mov_b32 s23, exec_lo
	s_wait_loadcnt_dscnt 0x0
	scratch_store_b32 off, v0, s22 offset:52
	s_wait_xcnt 0x0
	v_mul_lo_u32 v0, v13, v11
	v_and_b32_e32 v13, 0xff, v9
	s_delay_alu instid0(VALU_DEP_2) | instskip(NEXT) | instid1(VALU_DEP_2)
	v_add_nc_u64_e32 v[2:3], v[6:7], v[0:1]
                                        ; implicit-def: $vgpr0
	v_cmpx_lt_i16_e32 10, v13
	s_xor_b32 s23, exec_lo, s23
	s_cbranch_execnz .LBB25_2434
; %bb.788:                              ;   in Loop: Header=BB25_17 Depth=1
	s_and_not1_saveexec_b32 s23, s23
	s_cbranch_execnz .LBB25_2493
.LBB25_789:                             ;   in Loop: Header=BB25_17 Depth=1
	s_or_b32 exec_lo, exec_lo, s23
	s_mov_b32 s28, 0
	s_and_saveexec_b32 s23, s27
	s_cbranch_execz .LBB25_791
.LBB25_790:                             ;   in Loop: Header=BB25_17 Depth=1
	v_add_nc_u32_e32 v12, 0x200, v12
	s_mov_b32 s28, exec_lo
	s_wait_loadcnt_dscnt 0x0
	scratch_store_b32 off, v0, s22 offset:48
.LBB25_791:                             ;   in Loop: Header=BB25_17 Depth=1
	s_wait_xcnt 0x0
	s_or_b32 exec_lo, exec_lo, s23
	s_delay_alu instid0(SALU_CYCLE_1)
	s_mov_b32 s23, exec_lo
	s_xor_b32 s22, exec_lo, -1
	s_and_b32 s28, s28, exec_lo
.LBB25_792:                             ;   in Loop: Header=BB25_17 Depth=1
	s_or_b32 exec_lo, exec_lo, s26
	s_delay_alu instid0(SALU_CYCLE_1)
	s_or_not1_b32 s26, s28, exec_lo
.LBB25_793:                             ;   in Loop: Header=BB25_17 Depth=1
	s_or_b32 exec_lo, exec_lo, s24
	s_and_saveexec_b32 s24, s26
	s_cbranch_execz .LBB25_10
; %bb.794:                              ;   in Loop: Header=BB25_17 Depth=1
	s_mov_b32 s28, -1
	s_mov_b32 s29, -1
	s_mov_b32 s27, exec_lo
                                        ; implicit-def: $sgpr25
                                        ; implicit-def: $sgpr26
	v_cmpx_lt_i32_e64 v12, v211
	s_cbranch_execz .LBB25_904
; %bb.795:                              ;   in Loop: Header=BB25_17 Depth=1
	v_add_nc_u32_e32 v13, s60, v12
	s_mov_b32 s40, 0
	s_mov_b32 s25, exec_lo
	s_wait_loadcnt_dscnt 0x0
	s_delay_alu instid0(VALU_DEP_1) | instskip(NEXT) | instid1(VALU_DEP_1)
	v_mul_lo_u32 v0, v13, v10
	v_add_nc_u64_e32 v[2:3], v[4:5], v[0:1]
                                        ; implicit-def: $vgpr0
	v_cmpx_lt_i16_e32 10, v8
	s_xor_b32 s25, exec_lo, s25
	s_cbranch_execz .LBB25_855
; %bb.796:                              ;   in Loop: Header=BB25_17 Depth=1
	s_mov_b32 s29, 0
	s_mov_b32 s26, exec_lo
                                        ; implicit-def: $vgpr0
	v_cmpx_lt_i16_e32 25, v8
	s_xor_b32 s26, exec_lo, s26
	s_cbranch_execz .LBB25_828
; %bb.797:                              ;   in Loop: Header=BB25_17 Depth=1
	s_mov_b32 s40, exec_lo
                                        ; implicit-def: $vgpr0
	v_cmpx_lt_i16_e32 28, v8
	s_xor_b32 s40, exec_lo, s40
	s_cbranch_execz .LBB25_813
; %bb.798:                              ;   in Loop: Header=BB25_17 Depth=1
	s_mov_b32 s41, 0
	s_mov_b32 s29, exec_lo
                                        ; implicit-def: $vgpr0
	v_cmpx_lt_i16_e32 43, v8
	s_xor_b32 s29, exec_lo, s29
	s_cbranch_execz .LBB25_808
; %bb.799:                              ;   in Loop: Header=BB25_17 Depth=1
	s_mov_b32 s42, exec_lo
                                        ; implicit-def: $vgpr0
	v_cmpx_lt_i16_e32 45, v8
	s_xor_b32 s42, exec_lo, s42
	s_cbranch_execz .LBB25_803
; %bb.800:                              ;   in Loop: Header=BB25_17 Depth=1
	s_mov_b32 s43, exec_lo
                                        ; implicit-def: $vgpr0
	v_cmpx_eq_u16_e32 46, v8
	s_cbranch_execz .LBB25_802
; %bb.801:                              ;   in Loop: Header=BB25_17 Depth=1
	flat_load_b32 v0, v[2:3]
	s_mov_b32 s41, exec_lo
	s_wait_loadcnt_dscnt 0x0
	v_lshlrev_b32_e32 v0, 16, v0
.LBB25_802:                             ;   in Loop: Header=BB25_17 Depth=1
	s_wait_xcnt 0x0
	s_or_b32 exec_lo, exec_lo, s43
	s_delay_alu instid0(SALU_CYCLE_1)
	s_and_b32 s41, s41, exec_lo
                                        ; implicit-def: $vgpr2_vgpr3
.LBB25_803:                             ;   in Loop: Header=BB25_17 Depth=1
	s_and_not1_saveexec_b32 s42, s42
	s_cbranch_execz .LBB25_807
; %bb.804:                              ;   in Loop: Header=BB25_17 Depth=1
	s_mov_b32 s44, s41
	s_mov_b32 s43, exec_lo
                                        ; implicit-def: $vgpr0
	v_cmpx_eq_u16_e32 44, v8
	s_cbranch_execz .LBB25_806
; %bb.805:                              ;   in Loop: Header=BB25_17 Depth=1
	flat_load_u8 v0, v[2:3]
	s_or_b32 s44, s41, exec_lo
	s_wait_loadcnt_dscnt 0x0
	v_lshlrev_b32_e32 v2, 23, v0
	v_cmp_ne_u32_e32 vcc_lo, 0xff, v0
	s_delay_alu instid0(VALU_DEP_2) | instskip(SKIP_1) | instid1(VALU_DEP_2)
	v_cndmask_b32_e32 v2, 0x7f800001, v2, vcc_lo
	v_cmp_ne_u32_e32 vcc_lo, 0, v0
	v_cndmask_b32_e32 v0, 0x400000, v2, vcc_lo
.LBB25_806:                             ;   in Loop: Header=BB25_17 Depth=1
	s_or_b32 exec_lo, exec_lo, s43
	s_delay_alu instid0(SALU_CYCLE_1) | instskip(SKIP_1) | instid1(SALU_CYCLE_1)
	s_and_not1_b32 s41, s41, exec_lo
	s_and_b32 s43, s44, exec_lo
	s_or_b32 s41, s41, s43
.LBB25_807:                             ;   in Loop: Header=BB25_17 Depth=1
	s_or_b32 exec_lo, exec_lo, s42
	s_delay_alu instid0(SALU_CYCLE_1)
	s_and_b32 s41, s41, exec_lo
                                        ; implicit-def: $vgpr2_vgpr3
.LBB25_808:                             ;   in Loop: Header=BB25_17 Depth=1
	s_and_not1_saveexec_b32 s29, s29
	s_cbranch_execz .LBB25_812
; %bb.809:                              ;   in Loop: Header=BB25_17 Depth=1
	s_mov_b32 s43, s41
	s_mov_b32 s42, exec_lo
                                        ; implicit-def: $vgpr0
	v_cmpx_eq_u16_e32 29, v8
	s_cbranch_execz .LBB25_811
; %bb.810:                              ;   in Loop: Header=BB25_17 Depth=1
	flat_load_b64 v[2:3], v[2:3]
	s_or_b32 s43, s41, exec_lo
	s_wait_loadcnt_dscnt 0x0
	v_clz_i32_u32_e32 v0, v3
	s_delay_alu instid0(VALU_DEP_1) | instskip(SKIP_1) | instid1(VALU_DEP_1)
	v_min_u32_e32 v0, 32, v0
	s_wait_xcnt 0x0
	v_lshlrev_b64_e32 v[2:3], v0, v[2:3]
	v_sub_nc_u32_e32 v0, 32, v0
	s_delay_alu instid0(VALU_DEP_2) | instskip(NEXT) | instid1(VALU_DEP_1)
	v_min_u32_e32 v2, 1, v2
	v_or_b32_e32 v2, v3, v2
	s_delay_alu instid0(VALU_DEP_1) | instskip(NEXT) | instid1(VALU_DEP_1)
	v_cvt_f32_u32_e32 v2, v2
	v_ldexp_f32 v0, v2, v0
.LBB25_811:                             ;   in Loop: Header=BB25_17 Depth=1
	s_or_b32 exec_lo, exec_lo, s42
	s_delay_alu instid0(SALU_CYCLE_1) | instskip(SKIP_1) | instid1(SALU_CYCLE_1)
	s_and_not1_b32 s41, s41, exec_lo
	s_and_b32 s42, s43, exec_lo
	s_or_b32 s41, s41, s42
.LBB25_812:                             ;   in Loop: Header=BB25_17 Depth=1
	s_or_b32 exec_lo, exec_lo, s29
	s_delay_alu instid0(SALU_CYCLE_1)
	s_and_b32 s29, s41, exec_lo
                                        ; implicit-def: $vgpr2_vgpr3
.LBB25_813:                             ;   in Loop: Header=BB25_17 Depth=1
	s_and_not1_saveexec_b32 s40, s40
	s_cbranch_execz .LBB25_827
; %bb.814:                              ;   in Loop: Header=BB25_17 Depth=1
	s_mov_b32 s41, exec_lo
                                        ; implicit-def: $vgpr0
	v_cmpx_lt_i16_e32 26, v8
	s_xor_b32 s41, exec_lo, s41
	s_cbranch_execz .LBB25_820
; %bb.815:                              ;   in Loop: Header=BB25_17 Depth=1
	s_mov_b32 s42, exec_lo
                                        ; implicit-def: $vgpr0
	v_cmpx_lt_i16_e32 27, v8
	s_xor_b32 s42, exec_lo, s42
	s_cbranch_execz .LBB25_817
; %bb.816:                              ;   in Loop: Header=BB25_17 Depth=1
	flat_load_b32 v0, v[2:3]
                                        ; implicit-def: $vgpr2_vgpr3
	s_wait_loadcnt_dscnt 0x0
	v_cvt_f32_u32_e32 v0, v0
.LBB25_817:                             ;   in Loop: Header=BB25_17 Depth=1
	s_wait_xcnt 0x0
	s_and_not1_saveexec_b32 s42, s42
	s_cbranch_execz .LBB25_819
; %bb.818:                              ;   in Loop: Header=BB25_17 Depth=1
	flat_load_u16 v0, v[2:3]
	s_wait_loadcnt_dscnt 0x0
	v_cvt_f32_u32_e32 v0, v0
.LBB25_819:                             ;   in Loop: Header=BB25_17 Depth=1
	s_wait_xcnt 0x0
	s_or_b32 exec_lo, exec_lo, s42
                                        ; implicit-def: $vgpr2_vgpr3
.LBB25_820:                             ;   in Loop: Header=BB25_17 Depth=1
	s_and_not1_saveexec_b32 s41, s41
	s_cbranch_execz .LBB25_826
; %bb.821:                              ;   in Loop: Header=BB25_17 Depth=1
	flat_load_u8 v2, v[2:3]
	s_mov_b32 s42, 0
	s_mov_b32 s43, exec_lo
	s_wait_loadcnt_dscnt 0x0
	v_cmpx_lt_i16_e32 0x7f, v2
	s_xor_b32 s43, exec_lo, s43
	s_cbranch_execnz .LBB25_2894
; %bb.822:                              ;   in Loop: Header=BB25_17 Depth=1
	s_or_saveexec_b32 s43, s43
	v_mov_b32_e32 v0, 0x7f800001
	s_xor_b32 exec_lo, exec_lo, s43
	s_cbranch_execnz .LBB25_2897
.LBB25_823:                             ;   in Loop: Header=BB25_17 Depth=1
	s_or_b32 exec_lo, exec_lo, s43
	s_and_saveexec_b32 s43, s42
	s_cbranch_execz .LBB25_825
.LBB25_824:                             ;   in Loop: Header=BB25_17 Depth=1
	v_and_b32_e32 v0, 0xffff, v2
	s_delay_alu instid0(VALU_DEP_1) | instskip(SKIP_1) | instid1(VALU_DEP_2)
	v_and_b32_e32 v3, 7, v0
	v_bfe_u32 v16, v0, 3, 4
	v_clz_i32_u32_e32 v14, v3
	s_delay_alu instid0(VALU_DEP_2) | instskip(NEXT) | instid1(VALU_DEP_2)
	v_cmp_eq_u32_e32 vcc_lo, 0, v16
	v_min_u32_e32 v14, 32, v14
	s_delay_alu instid0(VALU_DEP_1) | instskip(NEXT) | instid1(VALU_DEP_1)
	v_subrev_nc_u32_e32 v15, 28, v14
	v_dual_lshlrev_b32 v0, v15, v0 :: v_dual_sub_nc_u32 v14, 29, v14
	s_delay_alu instid0(VALU_DEP_1) | instskip(NEXT) | instid1(VALU_DEP_1)
	v_dual_lshlrev_b32 v2, 24, v2 :: v_dual_bitop2_b32 v0, 7, v0 bitop3:0x40
	v_dual_cndmask_b32 v0, v3, v0, vcc_lo :: v_dual_cndmask_b32 v14, v16, v14, vcc_lo
	s_delay_alu instid0(VALU_DEP_2) | instskip(NEXT) | instid1(VALU_DEP_2)
	v_and_b32_e32 v2, 0x80000000, v2
	v_lshlrev_b32_e32 v0, 20, v0
	s_delay_alu instid0(VALU_DEP_3) | instskip(NEXT) | instid1(VALU_DEP_1)
	v_lshl_add_u32 v3, v14, 23, 0x3b800000
	v_or3_b32 v0, v2, v3, v0
.LBB25_825:                             ;   in Loop: Header=BB25_17 Depth=1
	s_or_b32 exec_lo, exec_lo, s43
.LBB25_826:                             ;   in Loop: Header=BB25_17 Depth=1
	s_delay_alu instid0(SALU_CYCLE_1) | instskip(NEXT) | instid1(SALU_CYCLE_1)
	s_or_b32 exec_lo, exec_lo, s41
	s_or_b32 s29, s29, exec_lo
.LBB25_827:                             ;   in Loop: Header=BB25_17 Depth=1
	s_or_b32 exec_lo, exec_lo, s40
	s_delay_alu instid0(SALU_CYCLE_1)
	s_and_b32 s29, s29, exec_lo
                                        ; implicit-def: $vgpr2_vgpr3
.LBB25_828:                             ;   in Loop: Header=BB25_17 Depth=1
	s_and_not1_saveexec_b32 s26, s26
	s_cbranch_execz .LBB25_854
; %bb.829:                              ;   in Loop: Header=BB25_17 Depth=1
	s_mov_b32 s41, s29
	s_mov_b32 s40, exec_lo
                                        ; implicit-def: $vgpr0
	v_cmpx_lt_i16_e32 22, v8
	s_xor_b32 s40, exec_lo, s40
	s_cbranch_execz .LBB25_843
; %bb.830:                              ;   in Loop: Header=BB25_17 Depth=1
	s_mov_b32 s41, exec_lo
                                        ; implicit-def: $vgpr0
	v_cmpx_lt_i16_e32 23, v8
	s_xor_b32 s41, exec_lo, s41
	s_cbranch_execz .LBB25_840
; %bb.831:                              ;   in Loop: Header=BB25_17 Depth=1
	;; [unrolled: 6-line block ×3, first 2 shown]
	flat_load_u8 v2, v[2:3]
	s_mov_b32 s43, 0
	s_mov_b32 s44, exec_lo
	s_wait_loadcnt_dscnt 0x0
	v_cmpx_lt_i16_e32 0x7f, v2
	s_xor_b32 s44, exec_lo, s44
	s_cbranch_execnz .LBB25_3006
; %bb.833:                              ;   in Loop: Header=BB25_17 Depth=1
	s_or_saveexec_b32 s44, s44
	v_mov_b32_e32 v0, 0x7f800001
	s_xor_b32 exec_lo, exec_lo, s44
	s_cbranch_execnz .LBB25_3009
.LBB25_834:                             ;   in Loop: Header=BB25_17 Depth=1
	s_or_b32 exec_lo, exec_lo, s44
	s_and_saveexec_b32 s44, s43
	s_cbranch_execz .LBB25_836
.LBB25_835:                             ;   in Loop: Header=BB25_17 Depth=1
	v_and_b32_e32 v0, 0xffff, v2
	s_delay_alu instid0(VALU_DEP_1) | instskip(SKIP_1) | instid1(VALU_DEP_2)
	v_and_b32_e32 v3, 3, v0
	v_bfe_u32 v16, v0, 2, 5
	v_clz_i32_u32_e32 v14, v3
	s_delay_alu instid0(VALU_DEP_2) | instskip(NEXT) | instid1(VALU_DEP_2)
	v_cmp_eq_u32_e32 vcc_lo, 0, v16
	v_min_u32_e32 v14, 32, v14
	s_delay_alu instid0(VALU_DEP_1) | instskip(NEXT) | instid1(VALU_DEP_1)
	v_subrev_nc_u32_e32 v15, 29, v14
	v_dual_lshlrev_b32 v0, v15, v0 :: v_dual_sub_nc_u32 v14, 30, v14
	s_delay_alu instid0(VALU_DEP_1) | instskip(NEXT) | instid1(VALU_DEP_1)
	v_dual_lshlrev_b32 v2, 24, v2 :: v_dual_bitop2_b32 v0, 3, v0 bitop3:0x40
	v_dual_cndmask_b32 v0, v3, v0, vcc_lo :: v_dual_cndmask_b32 v14, v16, v14, vcc_lo
	s_delay_alu instid0(VALU_DEP_2) | instskip(NEXT) | instid1(VALU_DEP_2)
	v_and_b32_e32 v2, 0x80000000, v2
	v_lshlrev_b32_e32 v0, 21, v0
	s_delay_alu instid0(VALU_DEP_3) | instskip(NEXT) | instid1(VALU_DEP_1)
	v_lshl_add_u32 v3, v14, 23, 0x37800000
	v_or3_b32 v0, v2, v3, v0
.LBB25_836:                             ;   in Loop: Header=BB25_17 Depth=1
	s_or_b32 exec_lo, exec_lo, s44
                                        ; implicit-def: $vgpr2_vgpr3
.LBB25_837:                             ;   in Loop: Header=BB25_17 Depth=1
	s_and_not1_saveexec_b32 s42, s42
	s_cbranch_execz .LBB25_839
; %bb.838:                              ;   in Loop: Header=BB25_17 Depth=1
	flat_load_u8 v0, v[2:3]
	s_wait_loadcnt_dscnt 0x0
	v_lshlrev_b32_e32 v0, 24, v0
	s_wait_xcnt 0x0
	s_delay_alu instid0(VALU_DEP_1) | instskip(NEXT) | instid1(VALU_DEP_1)
	v_and_b32_e32 v2, 0x7f000000, v0
	v_clz_i32_u32_e32 v3, v2
	v_cmp_ne_u32_e32 vcc_lo, 0, v2
	v_add_nc_u32_e32 v15, 0x1000000, v2
	s_delay_alu instid0(VALU_DEP_3) | instskip(NEXT) | instid1(VALU_DEP_1)
	v_min_u32_e32 v3, 32, v3
	v_sub_nc_u32_e64 v3, v3, 4 clamp
	s_delay_alu instid0(VALU_DEP_1) | instskip(NEXT) | instid1(VALU_DEP_1)
	v_dual_lshlrev_b32 v14, v3, v2 :: v_dual_lshlrev_b32 v3, 23, v3
	v_lshrrev_b32_e32 v14, 4, v14
	s_delay_alu instid0(VALU_DEP_1) | instskip(SKIP_1) | instid1(VALU_DEP_2)
	v_sub_nc_u32_e32 v3, v14, v3
	v_ashrrev_i32_e32 v14, 8, v15
	v_add_nc_u32_e32 v3, 0x3c000000, v3
	s_delay_alu instid0(VALU_DEP_1) | instskip(NEXT) | instid1(VALU_DEP_1)
	v_and_or_b32 v3, 0x7f800000, v14, v3
	v_cndmask_b32_e32 v2, 0, v3, vcc_lo
	s_delay_alu instid0(VALU_DEP_1)
	v_and_or_b32 v0, 0x80000000, v0, v2
.LBB25_839:                             ;   in Loop: Header=BB25_17 Depth=1
	s_or_b32 exec_lo, exec_lo, s42
                                        ; implicit-def: $vgpr2_vgpr3
.LBB25_840:                             ;   in Loop: Header=BB25_17 Depth=1
	s_and_not1_saveexec_b32 s41, s41
	s_cbranch_execz .LBB25_842
; %bb.841:                              ;   in Loop: Header=BB25_17 Depth=1
	flat_load_u8 v0, v[2:3]
	s_wait_loadcnt_dscnt 0x0
	v_lshlrev_b32_e32 v2, 25, v0
	v_lshlrev_b16 v0, 8, v0
	s_delay_alu instid0(VALU_DEP_1) | instskip(SKIP_1) | instid1(VALU_DEP_2)
	v_and_or_b32 v14, 0x7f00, v0, 0.5
	v_bfe_i32 v0, v0, 0, 16
	v_add_f32_e32 v14, -0.5, v14
	v_lshrrev_b32_e32 v3, 4, v2
	v_cmp_gt_u32_e32 vcc_lo, 0x8000000, v2
	s_delay_alu instid0(VALU_DEP_2) | instskip(NEXT) | instid1(VALU_DEP_1)
	v_or_b32_e32 v3, 0x70000000, v3
	v_mul_f32_e32 v3, 0x7800000, v3
	s_delay_alu instid0(VALU_DEP_1) | instskip(NEXT) | instid1(VALU_DEP_1)
	v_cndmask_b32_e32 v2, v3, v14, vcc_lo
	v_and_or_b32 v0, 0x80000000, v0, v2
.LBB25_842:                             ;   in Loop: Header=BB25_17 Depth=1
	s_or_b32 exec_lo, exec_lo, s41
	s_delay_alu instid0(SALU_CYCLE_1)
	s_or_b32 s41, s29, exec_lo
                                        ; implicit-def: $vgpr2_vgpr3
.LBB25_843:                             ;   in Loop: Header=BB25_17 Depth=1
	s_and_not1_saveexec_b32 s40, s40
	s_cbranch_execz .LBB25_853
; %bb.844:                              ;   in Loop: Header=BB25_17 Depth=1
	s_mov_b32 s42, s41
	s_mov_b32 s43, exec_lo
                                        ; implicit-def: $vgpr0
	v_cmpx_lt_i16_e32 14, v8
	s_xor_b32 s43, exec_lo, s43
	s_cbranch_execz .LBB25_848
; %bb.845:                              ;   in Loop: Header=BB25_17 Depth=1
	s_mov_b32 s42, s41
	s_mov_b32 s44, exec_lo
                                        ; implicit-def: $vgpr0
	v_cmpx_eq_u16_e32 15, v8
	s_cbranch_execz .LBB25_847
; %bb.846:                              ;   in Loop: Header=BB25_17 Depth=1
	flat_load_u16 v0, v[2:3]
	s_or_b32 s42, s41, exec_lo
	s_wait_loadcnt_dscnt 0x0
	v_lshlrev_b32_e32 v0, 16, v0
.LBB25_847:                             ;   in Loop: Header=BB25_17 Depth=1
	s_wait_xcnt 0x0
	s_or_b32 exec_lo, exec_lo, s44
	s_delay_alu instid0(SALU_CYCLE_1) | instskip(SKIP_1) | instid1(SALU_CYCLE_1)
	s_and_not1_b32 s44, s41, exec_lo
	s_and_b32 s42, s42, exec_lo
                                        ; implicit-def: $vgpr2_vgpr3
	s_or_b32 s42, s44, s42
.LBB25_848:                             ;   in Loop: Header=BB25_17 Depth=1
	s_and_not1_saveexec_b32 s43, s43
	s_cbranch_execz .LBB25_852
; %bb.849:                              ;   in Loop: Header=BB25_17 Depth=1
	s_mov_b32 s44, s42
	s_mov_b32 s45, exec_lo
                                        ; implicit-def: $vgpr0
	v_cmpx_eq_u16_e32 11, v8
	s_cbranch_execz .LBB25_851
; %bb.850:                              ;   in Loop: Header=BB25_17 Depth=1
	flat_load_u8 v0, v[2:3]
	s_or_b32 s44, s42, exec_lo
	s_wait_loadcnt_dscnt 0x0
	v_cmp_ne_u16_e32 vcc_lo, 0, v0
	v_cndmask_b32_e64 v0, 0, 1.0, vcc_lo
.LBB25_851:                             ;   in Loop: Header=BB25_17 Depth=1
	s_wait_xcnt 0x0
	s_or_b32 exec_lo, exec_lo, s45
	s_delay_alu instid0(SALU_CYCLE_1) | instskip(SKIP_1) | instid1(SALU_CYCLE_1)
	s_and_not1_b32 s42, s42, exec_lo
	s_and_b32 s44, s44, exec_lo
	s_or_b32 s42, s42, s44
.LBB25_852:                             ;   in Loop: Header=BB25_17 Depth=1
	s_or_b32 exec_lo, exec_lo, s43
	s_delay_alu instid0(SALU_CYCLE_1) | instskip(SKIP_1) | instid1(SALU_CYCLE_1)
	s_and_not1_b32 s41, s41, exec_lo
	s_and_b32 s42, s42, exec_lo
	s_or_b32 s41, s41, s42
.LBB25_853:                             ;   in Loop: Header=BB25_17 Depth=1
	s_or_b32 exec_lo, exec_lo, s40
	s_delay_alu instid0(SALU_CYCLE_1) | instskip(SKIP_1) | instid1(SALU_CYCLE_1)
	s_and_not1_b32 s29, s29, exec_lo
	s_and_b32 s40, s41, exec_lo
	s_or_b32 s29, s29, s40
.LBB25_854:                             ;   in Loop: Header=BB25_17 Depth=1
	s_or_b32 exec_lo, exec_lo, s26
	s_delay_alu instid0(SALU_CYCLE_1)
	s_and_b32 s40, s29, exec_lo
                                        ; implicit-def: $vgpr2_vgpr3
.LBB25_855:                             ;   in Loop: Header=BB25_17 Depth=1
	s_and_not1_saveexec_b32 s25, s25
	s_cbranch_execz .LBB25_897
; %bb.856:                              ;   in Loop: Header=BB25_17 Depth=1
	s_mov_b32 s26, exec_lo
                                        ; implicit-def: $vgpr0
	v_cmpx_lt_i16_e32 4, v8
	s_xor_b32 s26, exec_lo, s26
	s_cbranch_execz .LBB25_878
; %bb.857:                              ;   in Loop: Header=BB25_17 Depth=1
	s_mov_b32 s29, exec_lo
                                        ; implicit-def: $vgpr0
	v_cmpx_lt_i16_e32 7, v8
	s_xor_b32 s29, exec_lo, s29
	s_cbranch_execz .LBB25_867
; %bb.858:                              ;   in Loop: Header=BB25_17 Depth=1
	s_mov_b32 s41, exec_lo
                                        ; implicit-def: $vgpr0
	v_cmpx_lt_i16_e32 8, v8
	s_xor_b32 s41, exec_lo, s41
	s_cbranch_execz .LBB25_864
; %bb.859:                              ;   in Loop: Header=BB25_17 Depth=1
	s_mov_b32 s42, exec_lo
                                        ; implicit-def: $vgpr0
	v_cmpx_lt_i16_e32 9, v8
	s_xor_b32 s42, exec_lo, s42
	s_cbranch_execz .LBB25_861
; %bb.860:                              ;   in Loop: Header=BB25_17 Depth=1
	flat_load_b64 v[2:3], v[2:3]
	s_wait_loadcnt_dscnt 0x0
	v_cvt_f32_f64_e32 v0, v[2:3]
                                        ; implicit-def: $vgpr2_vgpr3
.LBB25_861:                             ;   in Loop: Header=BB25_17 Depth=1
	s_wait_xcnt 0x0
	s_and_not1_saveexec_b32 s42, s42
	s_cbranch_execz .LBB25_863
; %bb.862:                              ;   in Loop: Header=BB25_17 Depth=1
	flat_load_b32 v0, v[2:3]
.LBB25_863:                             ;   in Loop: Header=BB25_17 Depth=1
	s_wait_xcnt 0x0
	s_or_b32 exec_lo, exec_lo, s42
                                        ; implicit-def: $vgpr2_vgpr3
.LBB25_864:                             ;   in Loop: Header=BB25_17 Depth=1
	s_and_not1_saveexec_b32 s41, s41
	s_cbranch_execz .LBB25_866
; %bb.865:                              ;   in Loop: Header=BB25_17 Depth=1
	s_wait_loadcnt_dscnt 0x0
	flat_load_b32 v0, v[2:3]
	s_wait_loadcnt_dscnt 0x0
	v_cvt_f32_f16_e32 v0, v0
.LBB25_866:                             ;   in Loop: Header=BB25_17 Depth=1
	s_wait_xcnt 0x0
	s_or_b32 exec_lo, exec_lo, s41
                                        ; implicit-def: $vgpr2_vgpr3
.LBB25_867:                             ;   in Loop: Header=BB25_17 Depth=1
	s_and_not1_saveexec_b32 s29, s29
	s_cbranch_execz .LBB25_877
; %bb.868:                              ;   in Loop: Header=BB25_17 Depth=1
	s_mov_b32 s41, exec_lo
                                        ; implicit-def: $vgpr0
	v_cmpx_lt_i16_e32 5, v8
	s_xor_b32 s41, exec_lo, s41
	s_cbranch_execz .LBB25_874
; %bb.869:                              ;   in Loop: Header=BB25_17 Depth=1
	s_mov_b32 s42, exec_lo
                                        ; implicit-def: $vgpr0
	v_cmpx_lt_i16_e32 6, v8
	s_xor_b32 s42, exec_lo, s42
	s_cbranch_execz .LBB25_871
; %bb.870:                              ;   in Loop: Header=BB25_17 Depth=1
	flat_load_b64 v[2:3], v[2:3]
	s_wait_loadcnt_dscnt 0x0
	v_cvt_f32_f64_e32 v0, v[2:3]
                                        ; implicit-def: $vgpr2_vgpr3
.LBB25_871:                             ;   in Loop: Header=BB25_17 Depth=1
	s_wait_xcnt 0x0
	s_and_not1_saveexec_b32 s42, s42
	s_cbranch_execz .LBB25_873
; %bb.872:                              ;   in Loop: Header=BB25_17 Depth=1
	s_wait_loadcnt_dscnt 0x0
	flat_load_b32 v0, v[2:3]
.LBB25_873:                             ;   in Loop: Header=BB25_17 Depth=1
	s_wait_xcnt 0x0
	s_or_b32 exec_lo, exec_lo, s42
                                        ; implicit-def: $vgpr2_vgpr3
.LBB25_874:                             ;   in Loop: Header=BB25_17 Depth=1
	s_and_not1_saveexec_b32 s41, s41
	s_cbranch_execz .LBB25_876
; %bb.875:                              ;   in Loop: Header=BB25_17 Depth=1
	s_wait_loadcnt_dscnt 0x0
	flat_load_u16 v0, v[2:3]
	s_wait_loadcnt_dscnt 0x0
	v_cvt_f32_f16_e32 v0, v0
.LBB25_876:                             ;   in Loop: Header=BB25_17 Depth=1
	s_wait_xcnt 0x0
	s_or_b32 exec_lo, exec_lo, s41
.LBB25_877:                             ;   in Loop: Header=BB25_17 Depth=1
	s_delay_alu instid0(SALU_CYCLE_1)
	s_or_b32 exec_lo, exec_lo, s29
                                        ; implicit-def: $vgpr2_vgpr3
.LBB25_878:                             ;   in Loop: Header=BB25_17 Depth=1
	s_and_not1_saveexec_b32 s26, s26
	s_cbranch_execz .LBB25_896
; %bb.879:                              ;   in Loop: Header=BB25_17 Depth=1
	s_mov_b32 s29, exec_lo
                                        ; implicit-def: $vgpr0
	v_cmpx_lt_i16_e32 1, v8
	s_xor_b32 s29, exec_lo, s29
	s_cbranch_execz .LBB25_889
; %bb.880:                              ;   in Loop: Header=BB25_17 Depth=1
	s_mov_b32 s41, exec_lo
                                        ; implicit-def: $vgpr0
	v_cmpx_lt_i16_e32 2, v8
	s_xor_b32 s41, exec_lo, s41
	s_cbranch_execz .LBB25_886
; %bb.881:                              ;   in Loop: Header=BB25_17 Depth=1
	s_mov_b32 s42, exec_lo
                                        ; implicit-def: $vgpr0
	v_cmpx_lt_i16_e32 3, v8
	s_xor_b32 s42, exec_lo, s42
	s_cbranch_execz .LBB25_883
; %bb.882:                              ;   in Loop: Header=BB25_17 Depth=1
	flat_load_b64 v[2:3], v[2:3]
	s_wait_loadcnt_dscnt 0x0
	v_xor_b32_e32 v0, v2, v3
	v_cls_i32_e32 v14, v3
	s_delay_alu instid0(VALU_DEP_2) | instskip(NEXT) | instid1(VALU_DEP_1)
	v_ashrrev_i32_e32 v0, 31, v0
	v_add_nc_u32_e32 v0, 32, v0
	s_delay_alu instid0(VALU_DEP_1) | instskip(SKIP_1) | instid1(VALU_DEP_1)
	v_add_min_u32_e64 v0, v14, -1, v0
	s_wait_xcnt 0x0
	v_lshlrev_b64_e32 v[2:3], v0, v[2:3]
	v_sub_nc_u32_e32 v0, 32, v0
	s_delay_alu instid0(VALU_DEP_2) | instskip(NEXT) | instid1(VALU_DEP_1)
	v_min_u32_e32 v2, 1, v2
	v_or_b32_e32 v2, v3, v2
	s_delay_alu instid0(VALU_DEP_1) | instskip(NEXT) | instid1(VALU_DEP_1)
	v_cvt_f32_i32_e32 v2, v2
	v_ldexp_f32 v0, v2, v0
                                        ; implicit-def: $vgpr2_vgpr3
.LBB25_883:                             ;   in Loop: Header=BB25_17 Depth=1
	s_and_not1_saveexec_b32 s42, s42
	s_cbranch_execz .LBB25_885
; %bb.884:                              ;   in Loop: Header=BB25_17 Depth=1
	s_wait_loadcnt_dscnt 0x0
	flat_load_b32 v0, v[2:3]
	s_wait_loadcnt_dscnt 0x0
	v_cvt_f32_i32_e32 v0, v0
.LBB25_885:                             ;   in Loop: Header=BB25_17 Depth=1
	s_wait_xcnt 0x0
	s_or_b32 exec_lo, exec_lo, s42
                                        ; implicit-def: $vgpr2_vgpr3
.LBB25_886:                             ;   in Loop: Header=BB25_17 Depth=1
	s_and_not1_saveexec_b32 s41, s41
	s_cbranch_execz .LBB25_888
; %bb.887:                              ;   in Loop: Header=BB25_17 Depth=1
	s_wait_loadcnt_dscnt 0x0
	flat_load_i16 v0, v[2:3]
	s_wait_loadcnt_dscnt 0x0
	v_cvt_f32_i32_e32 v0, v0
.LBB25_888:                             ;   in Loop: Header=BB25_17 Depth=1
	s_wait_xcnt 0x0
	s_or_b32 exec_lo, exec_lo, s41
                                        ; implicit-def: $vgpr2_vgpr3
.LBB25_889:                             ;   in Loop: Header=BB25_17 Depth=1
	s_and_not1_saveexec_b32 s29, s29
	s_cbranch_execz .LBB25_895
; %bb.890:                              ;   in Loop: Header=BB25_17 Depth=1
	s_mov_b32 s41, exec_lo
                                        ; implicit-def: $vgpr0
	v_cmpx_lt_i16_e32 0, v8
	s_xor_b32 s41, exec_lo, s41
	s_cbranch_execz .LBB25_892
; %bb.891:                              ;   in Loop: Header=BB25_17 Depth=1
	s_wait_loadcnt_dscnt 0x0
	flat_load_i8 v0, v[2:3]
                                        ; implicit-def: $vgpr2_vgpr3
	s_wait_loadcnt_dscnt 0x0
	v_cvt_f32_i32_e32 v0, v0
.LBB25_892:                             ;   in Loop: Header=BB25_17 Depth=1
	s_wait_xcnt 0x0
	s_and_not1_saveexec_b32 s41, s41
	s_cbranch_execz .LBB25_894
; %bb.893:                              ;   in Loop: Header=BB25_17 Depth=1
	s_wait_loadcnt_dscnt 0x0
	flat_load_u8 v0, v[2:3]
	s_wait_loadcnt_dscnt 0x0
	v_cvt_f32_ubyte0_e32 v0, v0
.LBB25_894:                             ;   in Loop: Header=BB25_17 Depth=1
	s_wait_xcnt 0x0
	s_or_b32 exec_lo, exec_lo, s41
.LBB25_895:                             ;   in Loop: Header=BB25_17 Depth=1
	s_delay_alu instid0(SALU_CYCLE_1)
	s_or_b32 exec_lo, exec_lo, s29
.LBB25_896:                             ;   in Loop: Header=BB25_17 Depth=1
	s_delay_alu instid0(SALU_CYCLE_1) | instskip(NEXT) | instid1(SALU_CYCLE_1)
	s_or_b32 exec_lo, exec_lo, s26
	s_or_b32 s40, s40, exec_lo
.LBB25_897:                             ;   in Loop: Header=BB25_17 Depth=1
	s_or_b32 exec_lo, exec_lo, s25
	s_mov_b32 s25, -1
	s_mov_b32 s41, 0
	s_mov_b32 s26, 0
	s_and_saveexec_b32 s29, s40
	s_cbranch_execz .LBB25_903
; %bb.898:                              ;   in Loop: Header=BB25_17 Depth=1
	s_add_co_i32 s25, s33, s1
	s_mov_b32 s40, 0
	s_add_co_i32 s25, s25, 16
	s_mov_b32 s26, exec_lo
	s_wait_loadcnt_dscnt 0x0
	scratch_store_b32 off, v0, s25 offset:60
	s_wait_xcnt 0x0
	v_mul_lo_u32 v0, v13, v11
	v_and_b32_e32 v13, 0xff, v9
	s_delay_alu instid0(VALU_DEP_2) | instskip(NEXT) | instid1(VALU_DEP_2)
	v_add_nc_u64_e32 v[2:3], v[6:7], v[0:1]
                                        ; implicit-def: $vgpr0
	v_cmpx_lt_i16_e32 10, v13
	s_xor_b32 s26, exec_lo, s26
	s_cbranch_execnz .LBB25_2550
; %bb.899:                              ;   in Loop: Header=BB25_17 Depth=1
	s_and_not1_saveexec_b32 s26, s26
	s_cbranch_execnz .LBB25_2609
.LBB25_900:                             ;   in Loop: Header=BB25_17 Depth=1
	s_or_b32 exec_lo, exec_lo, s26
	s_mov_b32 s41, 0
	s_and_saveexec_b32 s26, s40
	s_cbranch_execz .LBB25_902
.LBB25_901:                             ;   in Loop: Header=BB25_17 Depth=1
	v_add_nc_u32_e32 v12, 0x200, v12
	s_mov_b32 s41, exec_lo
	s_wait_loadcnt_dscnt 0x0
	scratch_store_b32 off, v0, s25 offset:56
.LBB25_902:                             ;   in Loop: Header=BB25_17 Depth=1
	s_wait_xcnt 0x0
	s_or_b32 exec_lo, exec_lo, s26
	s_delay_alu instid0(SALU_CYCLE_1)
	s_mov_b32 s26, exec_lo
	s_xor_b32 s25, exec_lo, -1
	s_and_b32 s41, s41, exec_lo
.LBB25_903:                             ;   in Loop: Header=BB25_17 Depth=1
	s_or_b32 exec_lo, exec_lo, s29
	s_delay_alu instid0(SALU_CYCLE_1)
	s_or_not1_b32 s29, s41, exec_lo
.LBB25_904:                             ;   in Loop: Header=BB25_17 Depth=1
	s_or_b32 exec_lo, exec_lo, s27
	s_and_saveexec_b32 s27, s29
	s_cbranch_execz .LBB25_9
; %bb.905:                              ;   in Loop: Header=BB25_17 Depth=1
	s_mov_b32 s41, -1
	s_mov_b32 s42, -1
	s_mov_b32 s40, exec_lo
                                        ; implicit-def: $sgpr28
                                        ; implicit-def: $sgpr29
	v_cmpx_lt_i32_e64 v12, v211
	s_cbranch_execz .LBB25_1015
; %bb.906:                              ;   in Loop: Header=BB25_17 Depth=1
	v_add_nc_u32_e32 v13, s60, v12
	s_mov_b32 s43, 0
	s_mov_b32 s28, exec_lo
	s_wait_loadcnt_dscnt 0x0
	s_delay_alu instid0(VALU_DEP_1) | instskip(NEXT) | instid1(VALU_DEP_1)
	v_mul_lo_u32 v0, v13, v10
	v_add_nc_u64_e32 v[2:3], v[4:5], v[0:1]
                                        ; implicit-def: $vgpr0
	v_cmpx_lt_i16_e32 10, v8
	s_xor_b32 s28, exec_lo, s28
	s_cbranch_execz .LBB25_966
; %bb.907:                              ;   in Loop: Header=BB25_17 Depth=1
	s_mov_b32 s42, 0
	s_mov_b32 s29, exec_lo
                                        ; implicit-def: $vgpr0
	v_cmpx_lt_i16_e32 25, v8
	s_xor_b32 s29, exec_lo, s29
	s_cbranch_execz .LBB25_939
; %bb.908:                              ;   in Loop: Header=BB25_17 Depth=1
	s_mov_b32 s43, exec_lo
                                        ; implicit-def: $vgpr0
	v_cmpx_lt_i16_e32 28, v8
	s_xor_b32 s43, exec_lo, s43
	s_cbranch_execz .LBB25_924
; %bb.909:                              ;   in Loop: Header=BB25_17 Depth=1
	s_mov_b32 s44, 0
	s_mov_b32 s42, exec_lo
                                        ; implicit-def: $vgpr0
	v_cmpx_lt_i16_e32 43, v8
	s_xor_b32 s42, exec_lo, s42
	s_cbranch_execz .LBB25_919
; %bb.910:                              ;   in Loop: Header=BB25_17 Depth=1
	s_mov_b32 s45, exec_lo
                                        ; implicit-def: $vgpr0
	v_cmpx_lt_i16_e32 45, v8
	s_xor_b32 s45, exec_lo, s45
	s_cbranch_execz .LBB25_914
; %bb.911:                              ;   in Loop: Header=BB25_17 Depth=1
	s_mov_b32 s46, exec_lo
                                        ; implicit-def: $vgpr0
	v_cmpx_eq_u16_e32 46, v8
	s_cbranch_execz .LBB25_913
; %bb.912:                              ;   in Loop: Header=BB25_17 Depth=1
	flat_load_b32 v0, v[2:3]
	s_mov_b32 s44, exec_lo
	s_wait_loadcnt_dscnt 0x0
	v_lshlrev_b32_e32 v0, 16, v0
.LBB25_913:                             ;   in Loop: Header=BB25_17 Depth=1
	s_wait_xcnt 0x0
	s_or_b32 exec_lo, exec_lo, s46
	s_delay_alu instid0(SALU_CYCLE_1)
	s_and_b32 s44, s44, exec_lo
                                        ; implicit-def: $vgpr2_vgpr3
.LBB25_914:                             ;   in Loop: Header=BB25_17 Depth=1
	s_and_not1_saveexec_b32 s45, s45
	s_cbranch_execz .LBB25_918
; %bb.915:                              ;   in Loop: Header=BB25_17 Depth=1
	s_mov_b32 s47, s44
	s_mov_b32 s46, exec_lo
                                        ; implicit-def: $vgpr0
	v_cmpx_eq_u16_e32 44, v8
	s_cbranch_execz .LBB25_917
; %bb.916:                              ;   in Loop: Header=BB25_17 Depth=1
	flat_load_u8 v0, v[2:3]
	s_or_b32 s47, s44, exec_lo
	s_wait_loadcnt_dscnt 0x0
	v_lshlrev_b32_e32 v2, 23, v0
	v_cmp_ne_u32_e32 vcc_lo, 0xff, v0
	s_delay_alu instid0(VALU_DEP_2) | instskip(SKIP_1) | instid1(VALU_DEP_2)
	v_cndmask_b32_e32 v2, 0x7f800001, v2, vcc_lo
	v_cmp_ne_u32_e32 vcc_lo, 0, v0
	v_cndmask_b32_e32 v0, 0x400000, v2, vcc_lo
.LBB25_917:                             ;   in Loop: Header=BB25_17 Depth=1
	s_or_b32 exec_lo, exec_lo, s46
	s_delay_alu instid0(SALU_CYCLE_1) | instskip(SKIP_1) | instid1(SALU_CYCLE_1)
	s_and_not1_b32 s44, s44, exec_lo
	s_and_b32 s46, s47, exec_lo
	s_or_b32 s44, s44, s46
.LBB25_918:                             ;   in Loop: Header=BB25_17 Depth=1
	s_or_b32 exec_lo, exec_lo, s45
	s_delay_alu instid0(SALU_CYCLE_1)
	s_and_b32 s44, s44, exec_lo
                                        ; implicit-def: $vgpr2_vgpr3
.LBB25_919:                             ;   in Loop: Header=BB25_17 Depth=1
	s_and_not1_saveexec_b32 s42, s42
	s_cbranch_execz .LBB25_923
; %bb.920:                              ;   in Loop: Header=BB25_17 Depth=1
	s_mov_b32 s46, s44
	s_mov_b32 s45, exec_lo
                                        ; implicit-def: $vgpr0
	v_cmpx_eq_u16_e32 29, v8
	s_cbranch_execz .LBB25_922
; %bb.921:                              ;   in Loop: Header=BB25_17 Depth=1
	flat_load_b64 v[2:3], v[2:3]
	s_or_b32 s46, s44, exec_lo
	s_wait_loadcnt_dscnt 0x0
	v_clz_i32_u32_e32 v0, v3
	s_delay_alu instid0(VALU_DEP_1) | instskip(SKIP_1) | instid1(VALU_DEP_1)
	v_min_u32_e32 v0, 32, v0
	s_wait_xcnt 0x0
	v_lshlrev_b64_e32 v[2:3], v0, v[2:3]
	v_sub_nc_u32_e32 v0, 32, v0
	s_delay_alu instid0(VALU_DEP_2) | instskip(NEXT) | instid1(VALU_DEP_1)
	v_min_u32_e32 v2, 1, v2
	v_or_b32_e32 v2, v3, v2
	s_delay_alu instid0(VALU_DEP_1) | instskip(NEXT) | instid1(VALU_DEP_1)
	v_cvt_f32_u32_e32 v2, v2
	v_ldexp_f32 v0, v2, v0
.LBB25_922:                             ;   in Loop: Header=BB25_17 Depth=1
	s_or_b32 exec_lo, exec_lo, s45
	s_delay_alu instid0(SALU_CYCLE_1) | instskip(SKIP_1) | instid1(SALU_CYCLE_1)
	s_and_not1_b32 s44, s44, exec_lo
	s_and_b32 s45, s46, exec_lo
	s_or_b32 s44, s44, s45
.LBB25_923:                             ;   in Loop: Header=BB25_17 Depth=1
	s_or_b32 exec_lo, exec_lo, s42
	s_delay_alu instid0(SALU_CYCLE_1)
	s_and_b32 s42, s44, exec_lo
                                        ; implicit-def: $vgpr2_vgpr3
.LBB25_924:                             ;   in Loop: Header=BB25_17 Depth=1
	s_and_not1_saveexec_b32 s43, s43
	s_cbranch_execz .LBB25_938
; %bb.925:                              ;   in Loop: Header=BB25_17 Depth=1
	s_mov_b32 s44, exec_lo
                                        ; implicit-def: $vgpr0
	v_cmpx_lt_i16_e32 26, v8
	s_xor_b32 s44, exec_lo, s44
	s_cbranch_execz .LBB25_931
; %bb.926:                              ;   in Loop: Header=BB25_17 Depth=1
	s_mov_b32 s45, exec_lo
                                        ; implicit-def: $vgpr0
	v_cmpx_lt_i16_e32 27, v8
	s_xor_b32 s45, exec_lo, s45
	s_cbranch_execz .LBB25_928
; %bb.927:                              ;   in Loop: Header=BB25_17 Depth=1
	flat_load_b32 v0, v[2:3]
                                        ; implicit-def: $vgpr2_vgpr3
	s_wait_loadcnt_dscnt 0x0
	v_cvt_f32_u32_e32 v0, v0
.LBB25_928:                             ;   in Loop: Header=BB25_17 Depth=1
	s_wait_xcnt 0x0
	s_and_not1_saveexec_b32 s45, s45
	s_cbranch_execz .LBB25_930
; %bb.929:                              ;   in Loop: Header=BB25_17 Depth=1
	flat_load_u16 v0, v[2:3]
	s_wait_loadcnt_dscnt 0x0
	v_cvt_f32_u32_e32 v0, v0
.LBB25_930:                             ;   in Loop: Header=BB25_17 Depth=1
	s_wait_xcnt 0x0
	s_or_b32 exec_lo, exec_lo, s45
                                        ; implicit-def: $vgpr2_vgpr3
.LBB25_931:                             ;   in Loop: Header=BB25_17 Depth=1
	s_and_not1_saveexec_b32 s44, s44
	s_cbranch_execz .LBB25_937
; %bb.932:                              ;   in Loop: Header=BB25_17 Depth=1
	flat_load_u8 v2, v[2:3]
	s_mov_b32 s45, 0
	s_mov_b32 s46, exec_lo
	s_wait_loadcnt_dscnt 0x0
	v_cmpx_lt_i16_e32 0x7f, v2
	s_xor_b32 s46, exec_lo, s46
	s_cbranch_execnz .LBB25_3010
; %bb.933:                              ;   in Loop: Header=BB25_17 Depth=1
	s_or_saveexec_b32 s46, s46
	v_mov_b32_e32 v0, 0x7f800001
	s_xor_b32 exec_lo, exec_lo, s46
	s_cbranch_execnz .LBB25_3013
.LBB25_934:                             ;   in Loop: Header=BB25_17 Depth=1
	s_or_b32 exec_lo, exec_lo, s46
	s_and_saveexec_b32 s46, s45
	s_cbranch_execz .LBB25_936
.LBB25_935:                             ;   in Loop: Header=BB25_17 Depth=1
	v_and_b32_e32 v0, 0xffff, v2
	s_delay_alu instid0(VALU_DEP_1) | instskip(SKIP_1) | instid1(VALU_DEP_2)
	v_and_b32_e32 v3, 7, v0
	v_bfe_u32 v16, v0, 3, 4
	v_clz_i32_u32_e32 v14, v3
	s_delay_alu instid0(VALU_DEP_2) | instskip(NEXT) | instid1(VALU_DEP_2)
	v_cmp_eq_u32_e32 vcc_lo, 0, v16
	v_min_u32_e32 v14, 32, v14
	s_delay_alu instid0(VALU_DEP_1) | instskip(NEXT) | instid1(VALU_DEP_1)
	v_subrev_nc_u32_e32 v15, 28, v14
	v_dual_lshlrev_b32 v0, v15, v0 :: v_dual_sub_nc_u32 v14, 29, v14
	s_delay_alu instid0(VALU_DEP_1) | instskip(NEXT) | instid1(VALU_DEP_1)
	v_dual_lshlrev_b32 v2, 24, v2 :: v_dual_bitop2_b32 v0, 7, v0 bitop3:0x40
	v_dual_cndmask_b32 v0, v3, v0, vcc_lo :: v_dual_cndmask_b32 v14, v16, v14, vcc_lo
	s_delay_alu instid0(VALU_DEP_2) | instskip(NEXT) | instid1(VALU_DEP_2)
	v_and_b32_e32 v2, 0x80000000, v2
	v_lshlrev_b32_e32 v0, 20, v0
	s_delay_alu instid0(VALU_DEP_3) | instskip(NEXT) | instid1(VALU_DEP_1)
	v_lshl_add_u32 v3, v14, 23, 0x3b800000
	v_or3_b32 v0, v2, v3, v0
.LBB25_936:                             ;   in Loop: Header=BB25_17 Depth=1
	s_or_b32 exec_lo, exec_lo, s46
.LBB25_937:                             ;   in Loop: Header=BB25_17 Depth=1
	s_delay_alu instid0(SALU_CYCLE_1) | instskip(NEXT) | instid1(SALU_CYCLE_1)
	s_or_b32 exec_lo, exec_lo, s44
	s_or_b32 s42, s42, exec_lo
.LBB25_938:                             ;   in Loop: Header=BB25_17 Depth=1
	s_or_b32 exec_lo, exec_lo, s43
	s_delay_alu instid0(SALU_CYCLE_1)
	s_and_b32 s42, s42, exec_lo
                                        ; implicit-def: $vgpr2_vgpr3
.LBB25_939:                             ;   in Loop: Header=BB25_17 Depth=1
	s_and_not1_saveexec_b32 s29, s29
	s_cbranch_execz .LBB25_965
; %bb.940:                              ;   in Loop: Header=BB25_17 Depth=1
	s_mov_b32 s44, s42
	s_mov_b32 s43, exec_lo
                                        ; implicit-def: $vgpr0
	v_cmpx_lt_i16_e32 22, v8
	s_xor_b32 s43, exec_lo, s43
	s_cbranch_execz .LBB25_954
; %bb.941:                              ;   in Loop: Header=BB25_17 Depth=1
	s_mov_b32 s44, exec_lo
                                        ; implicit-def: $vgpr0
	v_cmpx_lt_i16_e32 23, v8
	s_xor_b32 s44, exec_lo, s44
	s_cbranch_execz .LBB25_951
; %bb.942:                              ;   in Loop: Header=BB25_17 Depth=1
	;; [unrolled: 6-line block ×3, first 2 shown]
	flat_load_u8 v2, v[2:3]
	s_mov_b32 s46, 0
	s_mov_b32 s47, exec_lo
	s_wait_loadcnt_dscnt 0x0
	v_cmpx_lt_i16_e32 0x7f, v2
	s_xor_b32 s47, exec_lo, s47
	s_cbranch_execnz .LBB25_3122
; %bb.944:                              ;   in Loop: Header=BB25_17 Depth=1
	s_or_saveexec_b32 s47, s47
	v_mov_b32_e32 v0, 0x7f800001
	s_xor_b32 exec_lo, exec_lo, s47
	s_cbranch_execnz .LBB25_3125
.LBB25_945:                             ;   in Loop: Header=BB25_17 Depth=1
	s_or_b32 exec_lo, exec_lo, s47
	s_and_saveexec_b32 s47, s46
	s_cbranch_execz .LBB25_947
.LBB25_946:                             ;   in Loop: Header=BB25_17 Depth=1
	v_and_b32_e32 v0, 0xffff, v2
	s_delay_alu instid0(VALU_DEP_1) | instskip(SKIP_1) | instid1(VALU_DEP_2)
	v_and_b32_e32 v3, 3, v0
	v_bfe_u32 v16, v0, 2, 5
	v_clz_i32_u32_e32 v14, v3
	s_delay_alu instid0(VALU_DEP_2) | instskip(NEXT) | instid1(VALU_DEP_2)
	v_cmp_eq_u32_e32 vcc_lo, 0, v16
	v_min_u32_e32 v14, 32, v14
	s_delay_alu instid0(VALU_DEP_1) | instskip(NEXT) | instid1(VALU_DEP_1)
	v_subrev_nc_u32_e32 v15, 29, v14
	v_dual_lshlrev_b32 v0, v15, v0 :: v_dual_sub_nc_u32 v14, 30, v14
	s_delay_alu instid0(VALU_DEP_1) | instskip(NEXT) | instid1(VALU_DEP_1)
	v_dual_lshlrev_b32 v2, 24, v2 :: v_dual_bitop2_b32 v0, 3, v0 bitop3:0x40
	v_dual_cndmask_b32 v0, v3, v0, vcc_lo :: v_dual_cndmask_b32 v14, v16, v14, vcc_lo
	s_delay_alu instid0(VALU_DEP_2) | instskip(NEXT) | instid1(VALU_DEP_2)
	v_and_b32_e32 v2, 0x80000000, v2
	v_lshlrev_b32_e32 v0, 21, v0
	s_delay_alu instid0(VALU_DEP_3) | instskip(NEXT) | instid1(VALU_DEP_1)
	v_lshl_add_u32 v3, v14, 23, 0x37800000
	v_or3_b32 v0, v2, v3, v0
.LBB25_947:                             ;   in Loop: Header=BB25_17 Depth=1
	s_or_b32 exec_lo, exec_lo, s47
                                        ; implicit-def: $vgpr2_vgpr3
.LBB25_948:                             ;   in Loop: Header=BB25_17 Depth=1
	s_and_not1_saveexec_b32 s45, s45
	s_cbranch_execz .LBB25_950
; %bb.949:                              ;   in Loop: Header=BB25_17 Depth=1
	flat_load_u8 v0, v[2:3]
	s_wait_loadcnt_dscnt 0x0
	v_lshlrev_b32_e32 v0, 24, v0
	s_wait_xcnt 0x0
	s_delay_alu instid0(VALU_DEP_1) | instskip(NEXT) | instid1(VALU_DEP_1)
	v_and_b32_e32 v2, 0x7f000000, v0
	v_clz_i32_u32_e32 v3, v2
	v_cmp_ne_u32_e32 vcc_lo, 0, v2
	v_add_nc_u32_e32 v15, 0x1000000, v2
	s_delay_alu instid0(VALU_DEP_3) | instskip(NEXT) | instid1(VALU_DEP_1)
	v_min_u32_e32 v3, 32, v3
	v_sub_nc_u32_e64 v3, v3, 4 clamp
	s_delay_alu instid0(VALU_DEP_1) | instskip(NEXT) | instid1(VALU_DEP_1)
	v_dual_lshlrev_b32 v14, v3, v2 :: v_dual_lshlrev_b32 v3, 23, v3
	v_lshrrev_b32_e32 v14, 4, v14
	s_delay_alu instid0(VALU_DEP_1) | instskip(SKIP_1) | instid1(VALU_DEP_2)
	v_sub_nc_u32_e32 v3, v14, v3
	v_ashrrev_i32_e32 v14, 8, v15
	v_add_nc_u32_e32 v3, 0x3c000000, v3
	s_delay_alu instid0(VALU_DEP_1) | instskip(NEXT) | instid1(VALU_DEP_1)
	v_and_or_b32 v3, 0x7f800000, v14, v3
	v_cndmask_b32_e32 v2, 0, v3, vcc_lo
	s_delay_alu instid0(VALU_DEP_1)
	v_and_or_b32 v0, 0x80000000, v0, v2
.LBB25_950:                             ;   in Loop: Header=BB25_17 Depth=1
	s_or_b32 exec_lo, exec_lo, s45
                                        ; implicit-def: $vgpr2_vgpr3
.LBB25_951:                             ;   in Loop: Header=BB25_17 Depth=1
	s_and_not1_saveexec_b32 s44, s44
	s_cbranch_execz .LBB25_953
; %bb.952:                              ;   in Loop: Header=BB25_17 Depth=1
	flat_load_u8 v0, v[2:3]
	s_wait_loadcnt_dscnt 0x0
	v_lshlrev_b32_e32 v2, 25, v0
	v_lshlrev_b16 v0, 8, v0
	s_delay_alu instid0(VALU_DEP_1) | instskip(SKIP_1) | instid1(VALU_DEP_2)
	v_and_or_b32 v14, 0x7f00, v0, 0.5
	v_bfe_i32 v0, v0, 0, 16
	v_add_f32_e32 v14, -0.5, v14
	v_lshrrev_b32_e32 v3, 4, v2
	v_cmp_gt_u32_e32 vcc_lo, 0x8000000, v2
	s_delay_alu instid0(VALU_DEP_2) | instskip(NEXT) | instid1(VALU_DEP_1)
	v_or_b32_e32 v3, 0x70000000, v3
	v_mul_f32_e32 v3, 0x7800000, v3
	s_delay_alu instid0(VALU_DEP_1) | instskip(NEXT) | instid1(VALU_DEP_1)
	v_cndmask_b32_e32 v2, v3, v14, vcc_lo
	v_and_or_b32 v0, 0x80000000, v0, v2
.LBB25_953:                             ;   in Loop: Header=BB25_17 Depth=1
	s_or_b32 exec_lo, exec_lo, s44
	s_delay_alu instid0(SALU_CYCLE_1)
	s_or_b32 s44, s42, exec_lo
                                        ; implicit-def: $vgpr2_vgpr3
.LBB25_954:                             ;   in Loop: Header=BB25_17 Depth=1
	s_and_not1_saveexec_b32 s43, s43
	s_cbranch_execz .LBB25_964
; %bb.955:                              ;   in Loop: Header=BB25_17 Depth=1
	s_mov_b32 s45, s44
	s_mov_b32 s46, exec_lo
                                        ; implicit-def: $vgpr0
	v_cmpx_lt_i16_e32 14, v8
	s_xor_b32 s46, exec_lo, s46
	s_cbranch_execz .LBB25_959
; %bb.956:                              ;   in Loop: Header=BB25_17 Depth=1
	s_mov_b32 s45, s44
	s_mov_b32 s47, exec_lo
                                        ; implicit-def: $vgpr0
	v_cmpx_eq_u16_e32 15, v8
	s_cbranch_execz .LBB25_958
; %bb.957:                              ;   in Loop: Header=BB25_17 Depth=1
	flat_load_u16 v0, v[2:3]
	s_or_b32 s45, s44, exec_lo
	s_wait_loadcnt_dscnt 0x0
	v_lshlrev_b32_e32 v0, 16, v0
.LBB25_958:                             ;   in Loop: Header=BB25_17 Depth=1
	s_wait_xcnt 0x0
	s_or_b32 exec_lo, exec_lo, s47
	s_delay_alu instid0(SALU_CYCLE_1) | instskip(SKIP_1) | instid1(SALU_CYCLE_1)
	s_and_not1_b32 s47, s44, exec_lo
	s_and_b32 s45, s45, exec_lo
                                        ; implicit-def: $vgpr2_vgpr3
	s_or_b32 s45, s47, s45
.LBB25_959:                             ;   in Loop: Header=BB25_17 Depth=1
	s_and_not1_saveexec_b32 s46, s46
	s_cbranch_execz .LBB25_963
; %bb.960:                              ;   in Loop: Header=BB25_17 Depth=1
	s_mov_b32 s47, s45
	s_mov_b32 s56, exec_lo
                                        ; implicit-def: $vgpr0
	v_cmpx_eq_u16_e32 11, v8
	s_cbranch_execz .LBB25_962
; %bb.961:                              ;   in Loop: Header=BB25_17 Depth=1
	flat_load_u8 v0, v[2:3]
	s_or_b32 s47, s45, exec_lo
	s_wait_loadcnt_dscnt 0x0
	v_cmp_ne_u16_e32 vcc_lo, 0, v0
	v_cndmask_b32_e64 v0, 0, 1.0, vcc_lo
.LBB25_962:                             ;   in Loop: Header=BB25_17 Depth=1
	s_wait_xcnt 0x0
	s_or_b32 exec_lo, exec_lo, s56
	s_delay_alu instid0(SALU_CYCLE_1) | instskip(SKIP_1) | instid1(SALU_CYCLE_1)
	s_and_not1_b32 s45, s45, exec_lo
	s_and_b32 s47, s47, exec_lo
	s_or_b32 s45, s45, s47
.LBB25_963:                             ;   in Loop: Header=BB25_17 Depth=1
	s_or_b32 exec_lo, exec_lo, s46
	s_delay_alu instid0(SALU_CYCLE_1) | instskip(SKIP_1) | instid1(SALU_CYCLE_1)
	s_and_not1_b32 s44, s44, exec_lo
	s_and_b32 s45, s45, exec_lo
	s_or_b32 s44, s44, s45
.LBB25_964:                             ;   in Loop: Header=BB25_17 Depth=1
	s_or_b32 exec_lo, exec_lo, s43
	s_delay_alu instid0(SALU_CYCLE_1) | instskip(SKIP_1) | instid1(SALU_CYCLE_1)
	s_and_not1_b32 s42, s42, exec_lo
	s_and_b32 s43, s44, exec_lo
	s_or_b32 s42, s42, s43
.LBB25_965:                             ;   in Loop: Header=BB25_17 Depth=1
	s_or_b32 exec_lo, exec_lo, s29
	s_delay_alu instid0(SALU_CYCLE_1)
	s_and_b32 s43, s42, exec_lo
                                        ; implicit-def: $vgpr2_vgpr3
.LBB25_966:                             ;   in Loop: Header=BB25_17 Depth=1
	s_and_not1_saveexec_b32 s28, s28
	s_cbranch_execz .LBB25_1008
; %bb.967:                              ;   in Loop: Header=BB25_17 Depth=1
	s_mov_b32 s29, exec_lo
                                        ; implicit-def: $vgpr0
	v_cmpx_lt_i16_e32 4, v8
	s_xor_b32 s29, exec_lo, s29
	s_cbranch_execz .LBB25_989
; %bb.968:                              ;   in Loop: Header=BB25_17 Depth=1
	s_mov_b32 s42, exec_lo
                                        ; implicit-def: $vgpr0
	v_cmpx_lt_i16_e32 7, v8
	s_xor_b32 s42, exec_lo, s42
	;; [unrolled: 6-line block ×4, first 2 shown]
	s_cbranch_execz .LBB25_972
; %bb.971:                              ;   in Loop: Header=BB25_17 Depth=1
	flat_load_b64 v[2:3], v[2:3]
	s_wait_loadcnt_dscnt 0x0
	v_cvt_f32_f64_e32 v0, v[2:3]
                                        ; implicit-def: $vgpr2_vgpr3
.LBB25_972:                             ;   in Loop: Header=BB25_17 Depth=1
	s_wait_xcnt 0x0
	s_and_not1_saveexec_b32 s45, s45
	s_cbranch_execz .LBB25_974
; %bb.973:                              ;   in Loop: Header=BB25_17 Depth=1
	flat_load_b32 v0, v[2:3]
.LBB25_974:                             ;   in Loop: Header=BB25_17 Depth=1
	s_wait_xcnt 0x0
	s_or_b32 exec_lo, exec_lo, s45
                                        ; implicit-def: $vgpr2_vgpr3
.LBB25_975:                             ;   in Loop: Header=BB25_17 Depth=1
	s_and_not1_saveexec_b32 s44, s44
	s_cbranch_execz .LBB25_977
; %bb.976:                              ;   in Loop: Header=BB25_17 Depth=1
	s_wait_loadcnt_dscnt 0x0
	flat_load_b32 v0, v[2:3]
	s_wait_loadcnt_dscnt 0x0
	v_cvt_f32_f16_e32 v0, v0
.LBB25_977:                             ;   in Loop: Header=BB25_17 Depth=1
	s_wait_xcnt 0x0
	s_or_b32 exec_lo, exec_lo, s44
                                        ; implicit-def: $vgpr2_vgpr3
.LBB25_978:                             ;   in Loop: Header=BB25_17 Depth=1
	s_and_not1_saveexec_b32 s42, s42
	s_cbranch_execz .LBB25_988
; %bb.979:                              ;   in Loop: Header=BB25_17 Depth=1
	s_mov_b32 s44, exec_lo
                                        ; implicit-def: $vgpr0
	v_cmpx_lt_i16_e32 5, v8
	s_xor_b32 s44, exec_lo, s44
	s_cbranch_execz .LBB25_985
; %bb.980:                              ;   in Loop: Header=BB25_17 Depth=1
	s_mov_b32 s45, exec_lo
                                        ; implicit-def: $vgpr0
	v_cmpx_lt_i16_e32 6, v8
	s_xor_b32 s45, exec_lo, s45
	s_cbranch_execz .LBB25_982
; %bb.981:                              ;   in Loop: Header=BB25_17 Depth=1
	flat_load_b64 v[2:3], v[2:3]
	s_wait_loadcnt_dscnt 0x0
	v_cvt_f32_f64_e32 v0, v[2:3]
                                        ; implicit-def: $vgpr2_vgpr3
.LBB25_982:                             ;   in Loop: Header=BB25_17 Depth=1
	s_wait_xcnt 0x0
	s_and_not1_saveexec_b32 s45, s45
	s_cbranch_execz .LBB25_984
; %bb.983:                              ;   in Loop: Header=BB25_17 Depth=1
	s_wait_loadcnt_dscnt 0x0
	flat_load_b32 v0, v[2:3]
.LBB25_984:                             ;   in Loop: Header=BB25_17 Depth=1
	s_wait_xcnt 0x0
	s_or_b32 exec_lo, exec_lo, s45
                                        ; implicit-def: $vgpr2_vgpr3
.LBB25_985:                             ;   in Loop: Header=BB25_17 Depth=1
	s_and_not1_saveexec_b32 s44, s44
	s_cbranch_execz .LBB25_987
; %bb.986:                              ;   in Loop: Header=BB25_17 Depth=1
	s_wait_loadcnt_dscnt 0x0
	flat_load_u16 v0, v[2:3]
	s_wait_loadcnt_dscnt 0x0
	v_cvt_f32_f16_e32 v0, v0
.LBB25_987:                             ;   in Loop: Header=BB25_17 Depth=1
	s_wait_xcnt 0x0
	s_or_b32 exec_lo, exec_lo, s44
.LBB25_988:                             ;   in Loop: Header=BB25_17 Depth=1
	s_delay_alu instid0(SALU_CYCLE_1)
	s_or_b32 exec_lo, exec_lo, s42
                                        ; implicit-def: $vgpr2_vgpr3
.LBB25_989:                             ;   in Loop: Header=BB25_17 Depth=1
	s_and_not1_saveexec_b32 s29, s29
	s_cbranch_execz .LBB25_1007
; %bb.990:                              ;   in Loop: Header=BB25_17 Depth=1
	s_mov_b32 s42, exec_lo
                                        ; implicit-def: $vgpr0
	v_cmpx_lt_i16_e32 1, v8
	s_xor_b32 s42, exec_lo, s42
	s_cbranch_execz .LBB25_1000
; %bb.991:                              ;   in Loop: Header=BB25_17 Depth=1
	s_mov_b32 s44, exec_lo
                                        ; implicit-def: $vgpr0
	v_cmpx_lt_i16_e32 2, v8
	s_xor_b32 s44, exec_lo, s44
	;; [unrolled: 6-line block ×3, first 2 shown]
	s_cbranch_execz .LBB25_994
; %bb.993:                              ;   in Loop: Header=BB25_17 Depth=1
	flat_load_b64 v[2:3], v[2:3]
	s_wait_loadcnt_dscnt 0x0
	v_xor_b32_e32 v0, v2, v3
	v_cls_i32_e32 v14, v3
	s_delay_alu instid0(VALU_DEP_2) | instskip(NEXT) | instid1(VALU_DEP_1)
	v_ashrrev_i32_e32 v0, 31, v0
	v_add_nc_u32_e32 v0, 32, v0
	s_delay_alu instid0(VALU_DEP_1) | instskip(SKIP_1) | instid1(VALU_DEP_1)
	v_add_min_u32_e64 v0, v14, -1, v0
	s_wait_xcnt 0x0
	v_lshlrev_b64_e32 v[2:3], v0, v[2:3]
	v_sub_nc_u32_e32 v0, 32, v0
	s_delay_alu instid0(VALU_DEP_2) | instskip(NEXT) | instid1(VALU_DEP_1)
	v_min_u32_e32 v2, 1, v2
	v_or_b32_e32 v2, v3, v2
	s_delay_alu instid0(VALU_DEP_1) | instskip(NEXT) | instid1(VALU_DEP_1)
	v_cvt_f32_i32_e32 v2, v2
	v_ldexp_f32 v0, v2, v0
                                        ; implicit-def: $vgpr2_vgpr3
.LBB25_994:                             ;   in Loop: Header=BB25_17 Depth=1
	s_and_not1_saveexec_b32 s45, s45
	s_cbranch_execz .LBB25_996
; %bb.995:                              ;   in Loop: Header=BB25_17 Depth=1
	s_wait_loadcnt_dscnt 0x0
	flat_load_b32 v0, v[2:3]
	s_wait_loadcnt_dscnt 0x0
	v_cvt_f32_i32_e32 v0, v0
.LBB25_996:                             ;   in Loop: Header=BB25_17 Depth=1
	s_wait_xcnt 0x0
	s_or_b32 exec_lo, exec_lo, s45
                                        ; implicit-def: $vgpr2_vgpr3
.LBB25_997:                             ;   in Loop: Header=BB25_17 Depth=1
	s_and_not1_saveexec_b32 s44, s44
	s_cbranch_execz .LBB25_999
; %bb.998:                              ;   in Loop: Header=BB25_17 Depth=1
	s_wait_loadcnt_dscnt 0x0
	flat_load_i16 v0, v[2:3]
	s_wait_loadcnt_dscnt 0x0
	v_cvt_f32_i32_e32 v0, v0
.LBB25_999:                             ;   in Loop: Header=BB25_17 Depth=1
	s_wait_xcnt 0x0
	s_or_b32 exec_lo, exec_lo, s44
                                        ; implicit-def: $vgpr2_vgpr3
.LBB25_1000:                            ;   in Loop: Header=BB25_17 Depth=1
	s_and_not1_saveexec_b32 s42, s42
	s_cbranch_execz .LBB25_1006
; %bb.1001:                             ;   in Loop: Header=BB25_17 Depth=1
	s_mov_b32 s44, exec_lo
                                        ; implicit-def: $vgpr0
	v_cmpx_lt_i16_e32 0, v8
	s_xor_b32 s44, exec_lo, s44
	s_cbranch_execz .LBB25_1003
; %bb.1002:                             ;   in Loop: Header=BB25_17 Depth=1
	s_wait_loadcnt_dscnt 0x0
	flat_load_i8 v0, v[2:3]
                                        ; implicit-def: $vgpr2_vgpr3
	s_wait_loadcnt_dscnt 0x0
	v_cvt_f32_i32_e32 v0, v0
.LBB25_1003:                            ;   in Loop: Header=BB25_17 Depth=1
	s_wait_xcnt 0x0
	s_and_not1_saveexec_b32 s44, s44
	s_cbranch_execz .LBB25_1005
; %bb.1004:                             ;   in Loop: Header=BB25_17 Depth=1
	s_wait_loadcnt_dscnt 0x0
	flat_load_u8 v0, v[2:3]
	s_wait_loadcnt_dscnt 0x0
	v_cvt_f32_ubyte0_e32 v0, v0
.LBB25_1005:                            ;   in Loop: Header=BB25_17 Depth=1
	s_wait_xcnt 0x0
	s_or_b32 exec_lo, exec_lo, s44
.LBB25_1006:                            ;   in Loop: Header=BB25_17 Depth=1
	s_delay_alu instid0(SALU_CYCLE_1)
	s_or_b32 exec_lo, exec_lo, s42
.LBB25_1007:                            ;   in Loop: Header=BB25_17 Depth=1
	s_delay_alu instid0(SALU_CYCLE_1) | instskip(NEXT) | instid1(SALU_CYCLE_1)
	s_or_b32 exec_lo, exec_lo, s29
	s_or_b32 s43, s43, exec_lo
.LBB25_1008:                            ;   in Loop: Header=BB25_17 Depth=1
	s_or_b32 exec_lo, exec_lo, s28
	s_mov_b32 s28, -1
	s_mov_b32 s44, 0
	s_mov_b32 s29, 0
	s_and_saveexec_b32 s42, s43
	s_cbranch_execz .LBB25_1014
; %bb.1009:                             ;   in Loop: Header=BB25_17 Depth=1
	s_add_co_i32 s28, s33, s1
	s_mov_b32 s43, 0
	s_add_co_i32 s28, s28, 16
	s_mov_b32 s29, exec_lo
	s_wait_loadcnt_dscnt 0x0
	scratch_store_b32 off, v0, s28 offset:68
	s_wait_xcnt 0x0
	v_mul_lo_u32 v0, v13, v11
	v_and_b32_e32 v13, 0xff, v9
	s_delay_alu instid0(VALU_DEP_2) | instskip(NEXT) | instid1(VALU_DEP_2)
	v_add_nc_u64_e32 v[2:3], v[6:7], v[0:1]
                                        ; implicit-def: $vgpr0
	v_cmpx_lt_i16_e32 10, v13
	s_xor_b32 s29, exec_lo, s29
	s_cbranch_execnz .LBB25_2666
; %bb.1010:                             ;   in Loop: Header=BB25_17 Depth=1
	s_and_not1_saveexec_b32 s29, s29
	s_cbranch_execnz .LBB25_2725
.LBB25_1011:                            ;   in Loop: Header=BB25_17 Depth=1
	s_or_b32 exec_lo, exec_lo, s29
	s_mov_b32 s44, 0
	s_and_saveexec_b32 s29, s43
	s_cbranch_execz .LBB25_1013
.LBB25_1012:                            ;   in Loop: Header=BB25_17 Depth=1
	v_add_nc_u32_e32 v12, 0x200, v12
	s_mov_b32 s44, exec_lo
	s_wait_loadcnt_dscnt 0x0
	scratch_store_b32 off, v0, s28 offset:64
.LBB25_1013:                            ;   in Loop: Header=BB25_17 Depth=1
	s_wait_xcnt 0x0
	s_or_b32 exec_lo, exec_lo, s29
	s_delay_alu instid0(SALU_CYCLE_1)
	s_mov_b32 s29, exec_lo
	s_xor_b32 s28, exec_lo, -1
	s_and_b32 s44, s44, exec_lo
.LBB25_1014:                            ;   in Loop: Header=BB25_17 Depth=1
	s_or_b32 exec_lo, exec_lo, s42
	s_delay_alu instid0(SALU_CYCLE_1)
	s_or_not1_b32 s42, s44, exec_lo
.LBB25_1015:                            ;   in Loop: Header=BB25_17 Depth=1
	s_or_b32 exec_lo, exec_lo, s40
	s_and_saveexec_b32 s40, s42
	s_cbranch_execz .LBB25_8
; %bb.1016:                             ;   in Loop: Header=BB25_17 Depth=1
	s_mov_b32 s44, -1
	s_mov_b32 s45, -1
	s_mov_b32 s43, exec_lo
                                        ; implicit-def: $sgpr41
                                        ; implicit-def: $sgpr42
	v_cmpx_lt_i32_e64 v12, v211
	s_cbranch_execz .LBB25_1126
; %bb.1017:                             ;   in Loop: Header=BB25_17 Depth=1
	v_add_nc_u32_e32 v13, s60, v12
	s_mov_b32 s46, 0
	s_mov_b32 s41, exec_lo
	s_wait_loadcnt_dscnt 0x0
	s_delay_alu instid0(VALU_DEP_1) | instskip(NEXT) | instid1(VALU_DEP_1)
	v_mul_lo_u32 v0, v13, v10
	v_add_nc_u64_e32 v[2:3], v[4:5], v[0:1]
                                        ; implicit-def: $vgpr0
	v_cmpx_lt_i16_e32 10, v8
	s_xor_b32 s41, exec_lo, s41
	s_cbranch_execz .LBB25_1077
; %bb.1018:                             ;   in Loop: Header=BB25_17 Depth=1
	s_mov_b32 s45, 0
	s_mov_b32 s42, exec_lo
                                        ; implicit-def: $vgpr0
	v_cmpx_lt_i16_e32 25, v8
	s_xor_b32 s42, exec_lo, s42
	s_cbranch_execz .LBB25_1050
; %bb.1019:                             ;   in Loop: Header=BB25_17 Depth=1
	s_mov_b32 s46, exec_lo
                                        ; implicit-def: $vgpr0
	v_cmpx_lt_i16_e32 28, v8
	s_xor_b32 s46, exec_lo, s46
	s_cbranch_execz .LBB25_1035
; %bb.1020:                             ;   in Loop: Header=BB25_17 Depth=1
	s_mov_b32 s47, 0
	s_mov_b32 s45, exec_lo
                                        ; implicit-def: $vgpr0
	v_cmpx_lt_i16_e32 43, v8
	s_xor_b32 s45, exec_lo, s45
	s_cbranch_execz .LBB25_1030
; %bb.1021:                             ;   in Loop: Header=BB25_17 Depth=1
	s_mov_b32 s56, exec_lo
                                        ; implicit-def: $vgpr0
	v_cmpx_lt_i16_e32 45, v8
	s_xor_b32 s56, exec_lo, s56
	s_cbranch_execz .LBB25_1025
; %bb.1022:                             ;   in Loop: Header=BB25_17 Depth=1
	s_mov_b32 s57, exec_lo
                                        ; implicit-def: $vgpr0
	v_cmpx_eq_u16_e32 46, v8
	s_cbranch_execz .LBB25_1024
; %bb.1023:                             ;   in Loop: Header=BB25_17 Depth=1
	flat_load_b32 v0, v[2:3]
	s_mov_b32 s47, exec_lo
	s_wait_loadcnt_dscnt 0x0
	v_lshlrev_b32_e32 v0, 16, v0
.LBB25_1024:                            ;   in Loop: Header=BB25_17 Depth=1
	s_wait_xcnt 0x0
	s_or_b32 exec_lo, exec_lo, s57
	s_delay_alu instid0(SALU_CYCLE_1)
	s_and_b32 s47, s47, exec_lo
                                        ; implicit-def: $vgpr2_vgpr3
.LBB25_1025:                            ;   in Loop: Header=BB25_17 Depth=1
	s_and_not1_saveexec_b32 s56, s56
	s_cbranch_execz .LBB25_1029
; %bb.1026:                             ;   in Loop: Header=BB25_17 Depth=1
	s_mov_b32 s58, s47
	s_mov_b32 s57, exec_lo
                                        ; implicit-def: $vgpr0
	v_cmpx_eq_u16_e32 44, v8
	s_cbranch_execz .LBB25_1028
; %bb.1027:                             ;   in Loop: Header=BB25_17 Depth=1
	flat_load_u8 v0, v[2:3]
	s_or_b32 s58, s47, exec_lo
	s_wait_loadcnt_dscnt 0x0
	v_lshlrev_b32_e32 v2, 23, v0
	v_cmp_ne_u32_e32 vcc_lo, 0xff, v0
	s_delay_alu instid0(VALU_DEP_2) | instskip(SKIP_1) | instid1(VALU_DEP_2)
	v_cndmask_b32_e32 v2, 0x7f800001, v2, vcc_lo
	v_cmp_ne_u32_e32 vcc_lo, 0, v0
	v_cndmask_b32_e32 v0, 0x400000, v2, vcc_lo
.LBB25_1028:                            ;   in Loop: Header=BB25_17 Depth=1
	s_or_b32 exec_lo, exec_lo, s57
	s_delay_alu instid0(SALU_CYCLE_1) | instskip(SKIP_1) | instid1(SALU_CYCLE_1)
	s_and_not1_b32 s47, s47, exec_lo
	s_and_b32 s57, s58, exec_lo
	s_or_b32 s47, s47, s57
.LBB25_1029:                            ;   in Loop: Header=BB25_17 Depth=1
	s_or_b32 exec_lo, exec_lo, s56
	s_delay_alu instid0(SALU_CYCLE_1)
	s_and_b32 s47, s47, exec_lo
                                        ; implicit-def: $vgpr2_vgpr3
.LBB25_1030:                            ;   in Loop: Header=BB25_17 Depth=1
	s_and_not1_saveexec_b32 s45, s45
	s_cbranch_execz .LBB25_1034
; %bb.1031:                             ;   in Loop: Header=BB25_17 Depth=1
	s_mov_b32 s57, s47
	s_mov_b32 s56, exec_lo
                                        ; implicit-def: $vgpr0
	v_cmpx_eq_u16_e32 29, v8
	s_cbranch_execz .LBB25_1033
; %bb.1032:                             ;   in Loop: Header=BB25_17 Depth=1
	flat_load_b64 v[2:3], v[2:3]
	s_or_b32 s57, s47, exec_lo
	s_wait_loadcnt_dscnt 0x0
	v_clz_i32_u32_e32 v0, v3
	s_delay_alu instid0(VALU_DEP_1) | instskip(SKIP_1) | instid1(VALU_DEP_1)
	v_min_u32_e32 v0, 32, v0
	s_wait_xcnt 0x0
	v_lshlrev_b64_e32 v[2:3], v0, v[2:3]
	v_sub_nc_u32_e32 v0, 32, v0
	s_delay_alu instid0(VALU_DEP_2) | instskip(NEXT) | instid1(VALU_DEP_1)
	v_min_u32_e32 v2, 1, v2
	v_or_b32_e32 v2, v3, v2
	s_delay_alu instid0(VALU_DEP_1) | instskip(NEXT) | instid1(VALU_DEP_1)
	v_cvt_f32_u32_e32 v2, v2
	v_ldexp_f32 v0, v2, v0
.LBB25_1033:                            ;   in Loop: Header=BB25_17 Depth=1
	s_or_b32 exec_lo, exec_lo, s56
	s_delay_alu instid0(SALU_CYCLE_1) | instskip(SKIP_1) | instid1(SALU_CYCLE_1)
	s_and_not1_b32 s47, s47, exec_lo
	s_and_b32 s56, s57, exec_lo
	s_or_b32 s47, s47, s56
.LBB25_1034:                            ;   in Loop: Header=BB25_17 Depth=1
	s_or_b32 exec_lo, exec_lo, s45
	s_delay_alu instid0(SALU_CYCLE_1)
	s_and_b32 s45, s47, exec_lo
                                        ; implicit-def: $vgpr2_vgpr3
.LBB25_1035:                            ;   in Loop: Header=BB25_17 Depth=1
	s_and_not1_saveexec_b32 s46, s46
	s_cbranch_execz .LBB25_1049
; %bb.1036:                             ;   in Loop: Header=BB25_17 Depth=1
	s_mov_b32 s47, exec_lo
                                        ; implicit-def: $vgpr0
	v_cmpx_lt_i16_e32 26, v8
	s_xor_b32 s47, exec_lo, s47
	s_cbranch_execz .LBB25_1042
; %bb.1037:                             ;   in Loop: Header=BB25_17 Depth=1
	s_mov_b32 s56, exec_lo
                                        ; implicit-def: $vgpr0
	v_cmpx_lt_i16_e32 27, v8
	s_xor_b32 s56, exec_lo, s56
	s_cbranch_execz .LBB25_1039
; %bb.1038:                             ;   in Loop: Header=BB25_17 Depth=1
	flat_load_b32 v0, v[2:3]
                                        ; implicit-def: $vgpr2_vgpr3
	s_wait_loadcnt_dscnt 0x0
	v_cvt_f32_u32_e32 v0, v0
.LBB25_1039:                            ;   in Loop: Header=BB25_17 Depth=1
	s_wait_xcnt 0x0
	s_and_not1_saveexec_b32 s56, s56
	s_cbranch_execz .LBB25_1041
; %bb.1040:                             ;   in Loop: Header=BB25_17 Depth=1
	flat_load_u16 v0, v[2:3]
	s_wait_loadcnt_dscnt 0x0
	v_cvt_f32_u32_e32 v0, v0
.LBB25_1041:                            ;   in Loop: Header=BB25_17 Depth=1
	s_wait_xcnt 0x0
	s_or_b32 exec_lo, exec_lo, s56
                                        ; implicit-def: $vgpr2_vgpr3
.LBB25_1042:                            ;   in Loop: Header=BB25_17 Depth=1
	s_and_not1_saveexec_b32 s47, s47
	s_cbranch_execz .LBB25_1048
; %bb.1043:                             ;   in Loop: Header=BB25_17 Depth=1
	flat_load_u8 v2, v[2:3]
	s_mov_b32 s56, 0
	s_mov_b32 s57, exec_lo
	s_wait_loadcnt_dscnt 0x0
	v_cmpx_lt_i16_e32 0x7f, v2
	s_xor_b32 s57, exec_lo, s57
	s_cbranch_execnz .LBB25_3126
; %bb.1044:                             ;   in Loop: Header=BB25_17 Depth=1
	s_or_saveexec_b32 s57, s57
	v_mov_b32_e32 v0, 0x7f800001
	s_xor_b32 exec_lo, exec_lo, s57
	s_cbranch_execnz .LBB25_3129
.LBB25_1045:                            ;   in Loop: Header=BB25_17 Depth=1
	s_or_b32 exec_lo, exec_lo, s57
	s_and_saveexec_b32 s57, s56
	s_cbranch_execz .LBB25_1047
.LBB25_1046:                            ;   in Loop: Header=BB25_17 Depth=1
	v_and_b32_e32 v0, 0xffff, v2
	s_delay_alu instid0(VALU_DEP_1) | instskip(SKIP_1) | instid1(VALU_DEP_2)
	v_and_b32_e32 v3, 7, v0
	v_bfe_u32 v16, v0, 3, 4
	v_clz_i32_u32_e32 v14, v3
	s_delay_alu instid0(VALU_DEP_2) | instskip(NEXT) | instid1(VALU_DEP_2)
	v_cmp_eq_u32_e32 vcc_lo, 0, v16
	v_min_u32_e32 v14, 32, v14
	s_delay_alu instid0(VALU_DEP_1) | instskip(NEXT) | instid1(VALU_DEP_1)
	v_subrev_nc_u32_e32 v15, 28, v14
	v_dual_lshlrev_b32 v0, v15, v0 :: v_dual_sub_nc_u32 v14, 29, v14
	s_delay_alu instid0(VALU_DEP_1) | instskip(NEXT) | instid1(VALU_DEP_1)
	v_dual_lshlrev_b32 v2, 24, v2 :: v_dual_bitop2_b32 v0, 7, v0 bitop3:0x40
	v_dual_cndmask_b32 v0, v3, v0, vcc_lo :: v_dual_cndmask_b32 v14, v16, v14, vcc_lo
	s_delay_alu instid0(VALU_DEP_2) | instskip(NEXT) | instid1(VALU_DEP_2)
	v_and_b32_e32 v2, 0x80000000, v2
	v_lshlrev_b32_e32 v0, 20, v0
	s_delay_alu instid0(VALU_DEP_3) | instskip(NEXT) | instid1(VALU_DEP_1)
	v_lshl_add_u32 v3, v14, 23, 0x3b800000
	v_or3_b32 v0, v2, v3, v0
.LBB25_1047:                            ;   in Loop: Header=BB25_17 Depth=1
	s_or_b32 exec_lo, exec_lo, s57
.LBB25_1048:                            ;   in Loop: Header=BB25_17 Depth=1
	s_delay_alu instid0(SALU_CYCLE_1) | instskip(NEXT) | instid1(SALU_CYCLE_1)
	s_or_b32 exec_lo, exec_lo, s47
	s_or_b32 s45, s45, exec_lo
.LBB25_1049:                            ;   in Loop: Header=BB25_17 Depth=1
	s_or_b32 exec_lo, exec_lo, s46
	s_delay_alu instid0(SALU_CYCLE_1)
	s_and_b32 s45, s45, exec_lo
                                        ; implicit-def: $vgpr2_vgpr3
.LBB25_1050:                            ;   in Loop: Header=BB25_17 Depth=1
	s_and_not1_saveexec_b32 s42, s42
	s_cbranch_execz .LBB25_1076
; %bb.1051:                             ;   in Loop: Header=BB25_17 Depth=1
	s_mov_b32 s47, s45
	s_mov_b32 s46, exec_lo
                                        ; implicit-def: $vgpr0
	v_cmpx_lt_i16_e32 22, v8
	s_xor_b32 s46, exec_lo, s46
	s_cbranch_execz .LBB25_1065
; %bb.1052:                             ;   in Loop: Header=BB25_17 Depth=1
	s_mov_b32 s47, exec_lo
                                        ; implicit-def: $vgpr0
	v_cmpx_lt_i16_e32 23, v8
	s_xor_b32 s47, exec_lo, s47
	s_cbranch_execz .LBB25_1062
; %bb.1053:                             ;   in Loop: Header=BB25_17 Depth=1
	;; [unrolled: 6-line block ×3, first 2 shown]
	flat_load_u8 v2, v[2:3]
	s_mov_b32 s57, 0
	s_mov_b32 s58, exec_lo
	s_wait_loadcnt_dscnt 0x0
	v_cmpx_lt_i16_e32 0x7f, v2
	s_xor_b32 s58, exec_lo, s58
	s_cbranch_execnz .LBB25_3238
; %bb.1055:                             ;   in Loop: Header=BB25_17 Depth=1
	s_or_saveexec_b32 s58, s58
	v_mov_b32_e32 v0, 0x7f800001
	s_xor_b32 exec_lo, exec_lo, s58
	s_cbranch_execnz .LBB25_3241
.LBB25_1056:                            ;   in Loop: Header=BB25_17 Depth=1
	s_or_b32 exec_lo, exec_lo, s58
	s_and_saveexec_b32 s58, s57
	s_cbranch_execz .LBB25_1058
.LBB25_1057:                            ;   in Loop: Header=BB25_17 Depth=1
	v_and_b32_e32 v0, 0xffff, v2
	s_delay_alu instid0(VALU_DEP_1) | instskip(SKIP_1) | instid1(VALU_DEP_2)
	v_and_b32_e32 v3, 3, v0
	v_bfe_u32 v16, v0, 2, 5
	v_clz_i32_u32_e32 v14, v3
	s_delay_alu instid0(VALU_DEP_2) | instskip(NEXT) | instid1(VALU_DEP_2)
	v_cmp_eq_u32_e32 vcc_lo, 0, v16
	v_min_u32_e32 v14, 32, v14
	s_delay_alu instid0(VALU_DEP_1) | instskip(NEXT) | instid1(VALU_DEP_1)
	v_subrev_nc_u32_e32 v15, 29, v14
	v_dual_lshlrev_b32 v0, v15, v0 :: v_dual_sub_nc_u32 v14, 30, v14
	s_delay_alu instid0(VALU_DEP_1) | instskip(NEXT) | instid1(VALU_DEP_1)
	v_dual_lshlrev_b32 v2, 24, v2 :: v_dual_bitop2_b32 v0, 3, v0 bitop3:0x40
	v_dual_cndmask_b32 v0, v3, v0, vcc_lo :: v_dual_cndmask_b32 v14, v16, v14, vcc_lo
	s_delay_alu instid0(VALU_DEP_2) | instskip(NEXT) | instid1(VALU_DEP_2)
	v_and_b32_e32 v2, 0x80000000, v2
	v_lshlrev_b32_e32 v0, 21, v0
	s_delay_alu instid0(VALU_DEP_3) | instskip(NEXT) | instid1(VALU_DEP_1)
	v_lshl_add_u32 v3, v14, 23, 0x37800000
	v_or3_b32 v0, v2, v3, v0
.LBB25_1058:                            ;   in Loop: Header=BB25_17 Depth=1
	s_or_b32 exec_lo, exec_lo, s58
                                        ; implicit-def: $vgpr2_vgpr3
.LBB25_1059:                            ;   in Loop: Header=BB25_17 Depth=1
	s_and_not1_saveexec_b32 s56, s56
	s_cbranch_execz .LBB25_1061
; %bb.1060:                             ;   in Loop: Header=BB25_17 Depth=1
	flat_load_u8 v0, v[2:3]
	s_wait_loadcnt_dscnt 0x0
	v_lshlrev_b32_e32 v0, 24, v0
	s_wait_xcnt 0x0
	s_delay_alu instid0(VALU_DEP_1) | instskip(NEXT) | instid1(VALU_DEP_1)
	v_and_b32_e32 v2, 0x7f000000, v0
	v_clz_i32_u32_e32 v3, v2
	v_cmp_ne_u32_e32 vcc_lo, 0, v2
	v_add_nc_u32_e32 v15, 0x1000000, v2
	s_delay_alu instid0(VALU_DEP_3) | instskip(NEXT) | instid1(VALU_DEP_1)
	v_min_u32_e32 v3, 32, v3
	v_sub_nc_u32_e64 v3, v3, 4 clamp
	s_delay_alu instid0(VALU_DEP_1) | instskip(NEXT) | instid1(VALU_DEP_1)
	v_dual_lshlrev_b32 v14, v3, v2 :: v_dual_lshlrev_b32 v3, 23, v3
	v_lshrrev_b32_e32 v14, 4, v14
	s_delay_alu instid0(VALU_DEP_1) | instskip(SKIP_1) | instid1(VALU_DEP_2)
	v_sub_nc_u32_e32 v3, v14, v3
	v_ashrrev_i32_e32 v14, 8, v15
	v_add_nc_u32_e32 v3, 0x3c000000, v3
	s_delay_alu instid0(VALU_DEP_1) | instskip(NEXT) | instid1(VALU_DEP_1)
	v_and_or_b32 v3, 0x7f800000, v14, v3
	v_cndmask_b32_e32 v2, 0, v3, vcc_lo
	s_delay_alu instid0(VALU_DEP_1)
	v_and_or_b32 v0, 0x80000000, v0, v2
.LBB25_1061:                            ;   in Loop: Header=BB25_17 Depth=1
	s_or_b32 exec_lo, exec_lo, s56
                                        ; implicit-def: $vgpr2_vgpr3
.LBB25_1062:                            ;   in Loop: Header=BB25_17 Depth=1
	s_and_not1_saveexec_b32 s47, s47
	s_cbranch_execz .LBB25_1064
; %bb.1063:                             ;   in Loop: Header=BB25_17 Depth=1
	flat_load_u8 v0, v[2:3]
	s_wait_loadcnt_dscnt 0x0
	v_lshlrev_b32_e32 v2, 25, v0
	v_lshlrev_b16 v0, 8, v0
	s_delay_alu instid0(VALU_DEP_1) | instskip(SKIP_1) | instid1(VALU_DEP_2)
	v_and_or_b32 v14, 0x7f00, v0, 0.5
	v_bfe_i32 v0, v0, 0, 16
	v_add_f32_e32 v14, -0.5, v14
	v_lshrrev_b32_e32 v3, 4, v2
	v_cmp_gt_u32_e32 vcc_lo, 0x8000000, v2
	s_delay_alu instid0(VALU_DEP_2) | instskip(NEXT) | instid1(VALU_DEP_1)
	v_or_b32_e32 v3, 0x70000000, v3
	v_mul_f32_e32 v3, 0x7800000, v3
	s_delay_alu instid0(VALU_DEP_1) | instskip(NEXT) | instid1(VALU_DEP_1)
	v_cndmask_b32_e32 v2, v3, v14, vcc_lo
	v_and_or_b32 v0, 0x80000000, v0, v2
.LBB25_1064:                            ;   in Loop: Header=BB25_17 Depth=1
	s_or_b32 exec_lo, exec_lo, s47
	s_delay_alu instid0(SALU_CYCLE_1)
	s_or_b32 s47, s45, exec_lo
                                        ; implicit-def: $vgpr2_vgpr3
.LBB25_1065:                            ;   in Loop: Header=BB25_17 Depth=1
	s_and_not1_saveexec_b32 s46, s46
	s_cbranch_execz .LBB25_1075
; %bb.1066:                             ;   in Loop: Header=BB25_17 Depth=1
	s_mov_b32 s56, s47
	s_mov_b32 s57, exec_lo
                                        ; implicit-def: $vgpr0
	v_cmpx_lt_i16_e32 14, v8
	s_xor_b32 s57, exec_lo, s57
	s_cbranch_execz .LBB25_1070
; %bb.1067:                             ;   in Loop: Header=BB25_17 Depth=1
	s_mov_b32 s56, s47
	s_mov_b32 s58, exec_lo
                                        ; implicit-def: $vgpr0
	v_cmpx_eq_u16_e32 15, v8
	s_cbranch_execz .LBB25_1069
; %bb.1068:                             ;   in Loop: Header=BB25_17 Depth=1
	flat_load_u16 v0, v[2:3]
	s_or_b32 s56, s47, exec_lo
	s_wait_loadcnt_dscnt 0x0
	v_lshlrev_b32_e32 v0, 16, v0
.LBB25_1069:                            ;   in Loop: Header=BB25_17 Depth=1
	s_wait_xcnt 0x0
	s_or_b32 exec_lo, exec_lo, s58
	s_delay_alu instid0(SALU_CYCLE_1) | instskip(SKIP_1) | instid1(SALU_CYCLE_1)
	s_and_not1_b32 s58, s47, exec_lo
	s_and_b32 s56, s56, exec_lo
                                        ; implicit-def: $vgpr2_vgpr3
	s_or_b32 s56, s58, s56
.LBB25_1070:                            ;   in Loop: Header=BB25_17 Depth=1
	s_and_not1_saveexec_b32 s57, s57
	s_cbranch_execz .LBB25_1074
; %bb.1071:                             ;   in Loop: Header=BB25_17 Depth=1
	s_mov_b32 s58, s56
	s_mov_b32 s59, exec_lo
                                        ; implicit-def: $vgpr0
	v_cmpx_eq_u16_e32 11, v8
	s_cbranch_execz .LBB25_1073
; %bb.1072:                             ;   in Loop: Header=BB25_17 Depth=1
	flat_load_u8 v0, v[2:3]
	s_or_b32 s58, s56, exec_lo
	s_wait_loadcnt_dscnt 0x0
	v_cmp_ne_u16_e32 vcc_lo, 0, v0
	v_cndmask_b32_e64 v0, 0, 1.0, vcc_lo
.LBB25_1073:                            ;   in Loop: Header=BB25_17 Depth=1
	s_wait_xcnt 0x0
	s_or_b32 exec_lo, exec_lo, s59
	s_delay_alu instid0(SALU_CYCLE_1) | instskip(SKIP_1) | instid1(SALU_CYCLE_1)
	s_and_not1_b32 s56, s56, exec_lo
	s_and_b32 s58, s58, exec_lo
	s_or_b32 s56, s56, s58
.LBB25_1074:                            ;   in Loop: Header=BB25_17 Depth=1
	s_or_b32 exec_lo, exec_lo, s57
	s_delay_alu instid0(SALU_CYCLE_1) | instskip(SKIP_1) | instid1(SALU_CYCLE_1)
	s_and_not1_b32 s47, s47, exec_lo
	s_and_b32 s56, s56, exec_lo
	s_or_b32 s47, s47, s56
.LBB25_1075:                            ;   in Loop: Header=BB25_17 Depth=1
	s_or_b32 exec_lo, exec_lo, s46
	s_delay_alu instid0(SALU_CYCLE_1) | instskip(SKIP_1) | instid1(SALU_CYCLE_1)
	s_and_not1_b32 s45, s45, exec_lo
	s_and_b32 s46, s47, exec_lo
	s_or_b32 s45, s45, s46
.LBB25_1076:                            ;   in Loop: Header=BB25_17 Depth=1
	s_or_b32 exec_lo, exec_lo, s42
	s_delay_alu instid0(SALU_CYCLE_1)
	s_and_b32 s46, s45, exec_lo
                                        ; implicit-def: $vgpr2_vgpr3
.LBB25_1077:                            ;   in Loop: Header=BB25_17 Depth=1
	s_and_not1_saveexec_b32 s41, s41
	s_cbranch_execz .LBB25_1119
; %bb.1078:                             ;   in Loop: Header=BB25_17 Depth=1
	s_mov_b32 s42, exec_lo
                                        ; implicit-def: $vgpr0
	v_cmpx_lt_i16_e32 4, v8
	s_xor_b32 s42, exec_lo, s42
	s_cbranch_execz .LBB25_1100
; %bb.1079:                             ;   in Loop: Header=BB25_17 Depth=1
	s_mov_b32 s45, exec_lo
                                        ; implicit-def: $vgpr0
	v_cmpx_lt_i16_e32 7, v8
	s_xor_b32 s45, exec_lo, s45
	;; [unrolled: 6-line block ×4, first 2 shown]
	s_cbranch_execz .LBB25_1083
; %bb.1082:                             ;   in Loop: Header=BB25_17 Depth=1
	flat_load_b64 v[2:3], v[2:3]
	s_wait_loadcnt_dscnt 0x0
	v_cvt_f32_f64_e32 v0, v[2:3]
                                        ; implicit-def: $vgpr2_vgpr3
.LBB25_1083:                            ;   in Loop: Header=BB25_17 Depth=1
	s_wait_xcnt 0x0
	s_and_not1_saveexec_b32 s56, s56
	s_cbranch_execz .LBB25_1085
; %bb.1084:                             ;   in Loop: Header=BB25_17 Depth=1
	flat_load_b32 v0, v[2:3]
.LBB25_1085:                            ;   in Loop: Header=BB25_17 Depth=1
	s_wait_xcnt 0x0
	s_or_b32 exec_lo, exec_lo, s56
                                        ; implicit-def: $vgpr2_vgpr3
.LBB25_1086:                            ;   in Loop: Header=BB25_17 Depth=1
	s_and_not1_saveexec_b32 s47, s47
	s_cbranch_execz .LBB25_1088
; %bb.1087:                             ;   in Loop: Header=BB25_17 Depth=1
	s_wait_loadcnt_dscnt 0x0
	flat_load_b32 v0, v[2:3]
	s_wait_loadcnt_dscnt 0x0
	v_cvt_f32_f16_e32 v0, v0
.LBB25_1088:                            ;   in Loop: Header=BB25_17 Depth=1
	s_wait_xcnt 0x0
	s_or_b32 exec_lo, exec_lo, s47
                                        ; implicit-def: $vgpr2_vgpr3
.LBB25_1089:                            ;   in Loop: Header=BB25_17 Depth=1
	s_and_not1_saveexec_b32 s45, s45
	s_cbranch_execz .LBB25_1099
; %bb.1090:                             ;   in Loop: Header=BB25_17 Depth=1
	s_mov_b32 s47, exec_lo
                                        ; implicit-def: $vgpr0
	v_cmpx_lt_i16_e32 5, v8
	s_xor_b32 s47, exec_lo, s47
	s_cbranch_execz .LBB25_1096
; %bb.1091:                             ;   in Loop: Header=BB25_17 Depth=1
	s_mov_b32 s56, exec_lo
                                        ; implicit-def: $vgpr0
	v_cmpx_lt_i16_e32 6, v8
	s_xor_b32 s56, exec_lo, s56
	s_cbranch_execz .LBB25_1093
; %bb.1092:                             ;   in Loop: Header=BB25_17 Depth=1
	flat_load_b64 v[2:3], v[2:3]
	s_wait_loadcnt_dscnt 0x0
	v_cvt_f32_f64_e32 v0, v[2:3]
                                        ; implicit-def: $vgpr2_vgpr3
.LBB25_1093:                            ;   in Loop: Header=BB25_17 Depth=1
	s_wait_xcnt 0x0
	s_and_not1_saveexec_b32 s56, s56
	s_cbranch_execz .LBB25_1095
; %bb.1094:                             ;   in Loop: Header=BB25_17 Depth=1
	s_wait_loadcnt_dscnt 0x0
	flat_load_b32 v0, v[2:3]
.LBB25_1095:                            ;   in Loop: Header=BB25_17 Depth=1
	s_wait_xcnt 0x0
	s_or_b32 exec_lo, exec_lo, s56
                                        ; implicit-def: $vgpr2_vgpr3
.LBB25_1096:                            ;   in Loop: Header=BB25_17 Depth=1
	s_and_not1_saveexec_b32 s47, s47
	s_cbranch_execz .LBB25_1098
; %bb.1097:                             ;   in Loop: Header=BB25_17 Depth=1
	s_wait_loadcnt_dscnt 0x0
	flat_load_u16 v0, v[2:3]
	s_wait_loadcnt_dscnt 0x0
	v_cvt_f32_f16_e32 v0, v0
.LBB25_1098:                            ;   in Loop: Header=BB25_17 Depth=1
	s_wait_xcnt 0x0
	s_or_b32 exec_lo, exec_lo, s47
.LBB25_1099:                            ;   in Loop: Header=BB25_17 Depth=1
	s_delay_alu instid0(SALU_CYCLE_1)
	s_or_b32 exec_lo, exec_lo, s45
                                        ; implicit-def: $vgpr2_vgpr3
.LBB25_1100:                            ;   in Loop: Header=BB25_17 Depth=1
	s_and_not1_saveexec_b32 s42, s42
	s_cbranch_execz .LBB25_1118
; %bb.1101:                             ;   in Loop: Header=BB25_17 Depth=1
	s_mov_b32 s45, exec_lo
                                        ; implicit-def: $vgpr0
	v_cmpx_lt_i16_e32 1, v8
	s_xor_b32 s45, exec_lo, s45
	s_cbranch_execz .LBB25_1111
; %bb.1102:                             ;   in Loop: Header=BB25_17 Depth=1
	s_mov_b32 s47, exec_lo
                                        ; implicit-def: $vgpr0
	v_cmpx_lt_i16_e32 2, v8
	s_xor_b32 s47, exec_lo, s47
	;; [unrolled: 6-line block ×3, first 2 shown]
	s_cbranch_execz .LBB25_1105
; %bb.1104:                             ;   in Loop: Header=BB25_17 Depth=1
	flat_load_b64 v[2:3], v[2:3]
	s_wait_loadcnt_dscnt 0x0
	v_xor_b32_e32 v0, v2, v3
	v_cls_i32_e32 v14, v3
	s_delay_alu instid0(VALU_DEP_2) | instskip(NEXT) | instid1(VALU_DEP_1)
	v_ashrrev_i32_e32 v0, 31, v0
	v_add_nc_u32_e32 v0, 32, v0
	s_delay_alu instid0(VALU_DEP_1) | instskip(SKIP_1) | instid1(VALU_DEP_1)
	v_add_min_u32_e64 v0, v14, -1, v0
	s_wait_xcnt 0x0
	v_lshlrev_b64_e32 v[2:3], v0, v[2:3]
	v_sub_nc_u32_e32 v0, 32, v0
	s_delay_alu instid0(VALU_DEP_2) | instskip(NEXT) | instid1(VALU_DEP_1)
	v_min_u32_e32 v2, 1, v2
	v_or_b32_e32 v2, v3, v2
	s_delay_alu instid0(VALU_DEP_1) | instskip(NEXT) | instid1(VALU_DEP_1)
	v_cvt_f32_i32_e32 v2, v2
	v_ldexp_f32 v0, v2, v0
                                        ; implicit-def: $vgpr2_vgpr3
.LBB25_1105:                            ;   in Loop: Header=BB25_17 Depth=1
	s_and_not1_saveexec_b32 s56, s56
	s_cbranch_execz .LBB25_1107
; %bb.1106:                             ;   in Loop: Header=BB25_17 Depth=1
	s_wait_loadcnt_dscnt 0x0
	flat_load_b32 v0, v[2:3]
	s_wait_loadcnt_dscnt 0x0
	v_cvt_f32_i32_e32 v0, v0
.LBB25_1107:                            ;   in Loop: Header=BB25_17 Depth=1
	s_wait_xcnt 0x0
	s_or_b32 exec_lo, exec_lo, s56
                                        ; implicit-def: $vgpr2_vgpr3
.LBB25_1108:                            ;   in Loop: Header=BB25_17 Depth=1
	s_and_not1_saveexec_b32 s47, s47
	s_cbranch_execz .LBB25_1110
; %bb.1109:                             ;   in Loop: Header=BB25_17 Depth=1
	s_wait_loadcnt_dscnt 0x0
	flat_load_i16 v0, v[2:3]
	s_wait_loadcnt_dscnt 0x0
	v_cvt_f32_i32_e32 v0, v0
.LBB25_1110:                            ;   in Loop: Header=BB25_17 Depth=1
	s_wait_xcnt 0x0
	s_or_b32 exec_lo, exec_lo, s47
                                        ; implicit-def: $vgpr2_vgpr3
.LBB25_1111:                            ;   in Loop: Header=BB25_17 Depth=1
	s_and_not1_saveexec_b32 s45, s45
	s_cbranch_execz .LBB25_1117
; %bb.1112:                             ;   in Loop: Header=BB25_17 Depth=1
	s_mov_b32 s47, exec_lo
                                        ; implicit-def: $vgpr0
	v_cmpx_lt_i16_e32 0, v8
	s_xor_b32 s47, exec_lo, s47
	s_cbranch_execz .LBB25_1114
; %bb.1113:                             ;   in Loop: Header=BB25_17 Depth=1
	s_wait_loadcnt_dscnt 0x0
	flat_load_i8 v0, v[2:3]
                                        ; implicit-def: $vgpr2_vgpr3
	s_wait_loadcnt_dscnt 0x0
	v_cvt_f32_i32_e32 v0, v0
.LBB25_1114:                            ;   in Loop: Header=BB25_17 Depth=1
	s_wait_xcnt 0x0
	s_and_not1_saveexec_b32 s47, s47
	s_cbranch_execz .LBB25_1116
; %bb.1115:                             ;   in Loop: Header=BB25_17 Depth=1
	s_wait_loadcnt_dscnt 0x0
	flat_load_u8 v0, v[2:3]
	s_wait_loadcnt_dscnt 0x0
	v_cvt_f32_ubyte0_e32 v0, v0
.LBB25_1116:                            ;   in Loop: Header=BB25_17 Depth=1
	s_wait_xcnt 0x0
	s_or_b32 exec_lo, exec_lo, s47
.LBB25_1117:                            ;   in Loop: Header=BB25_17 Depth=1
	s_delay_alu instid0(SALU_CYCLE_1)
	s_or_b32 exec_lo, exec_lo, s45
.LBB25_1118:                            ;   in Loop: Header=BB25_17 Depth=1
	s_delay_alu instid0(SALU_CYCLE_1) | instskip(NEXT) | instid1(SALU_CYCLE_1)
	s_or_b32 exec_lo, exec_lo, s42
	s_or_b32 s46, s46, exec_lo
.LBB25_1119:                            ;   in Loop: Header=BB25_17 Depth=1
	s_or_b32 exec_lo, exec_lo, s41
	s_mov_b32 s41, -1
	s_mov_b32 s47, 0
	s_mov_b32 s42, 0
	s_and_saveexec_b32 s45, s46
	s_cbranch_execz .LBB25_1125
; %bb.1120:                             ;   in Loop: Header=BB25_17 Depth=1
	s_add_co_i32 s41, s33, s1
	s_mov_b32 s46, 0
	s_add_co_i32 s41, s41, 16
	s_mov_b32 s42, exec_lo
	s_wait_loadcnt_dscnt 0x0
	scratch_store_b32 off, v0, s41 offset:76
	s_wait_xcnt 0x0
	v_mul_lo_u32 v0, v13, v11
	v_and_b32_e32 v13, 0xff, v9
	s_delay_alu instid0(VALU_DEP_2) | instskip(NEXT) | instid1(VALU_DEP_2)
	v_add_nc_u64_e32 v[2:3], v[6:7], v[0:1]
                                        ; implicit-def: $vgpr0
	v_cmpx_lt_i16_e32 10, v13
	s_xor_b32 s42, exec_lo, s42
	s_cbranch_execnz .LBB25_2782
; %bb.1121:                             ;   in Loop: Header=BB25_17 Depth=1
	s_and_not1_saveexec_b32 s42, s42
	s_cbranch_execnz .LBB25_2841
.LBB25_1122:                            ;   in Loop: Header=BB25_17 Depth=1
	s_or_b32 exec_lo, exec_lo, s42
	s_mov_b32 s47, 0
	s_and_saveexec_b32 s42, s46
	s_cbranch_execz .LBB25_1124
.LBB25_1123:                            ;   in Loop: Header=BB25_17 Depth=1
	v_add_nc_u32_e32 v12, 0x200, v12
	s_mov_b32 s47, exec_lo
	s_wait_loadcnt_dscnt 0x0
	scratch_store_b32 off, v0, s41 offset:72
.LBB25_1124:                            ;   in Loop: Header=BB25_17 Depth=1
	s_wait_xcnt 0x0
	s_or_b32 exec_lo, exec_lo, s42
	s_delay_alu instid0(SALU_CYCLE_1)
	s_mov_b32 s42, exec_lo
	s_xor_b32 s41, exec_lo, -1
	s_and_b32 s47, s47, exec_lo
.LBB25_1125:                            ;   in Loop: Header=BB25_17 Depth=1
	s_or_b32 exec_lo, exec_lo, s45
	s_delay_alu instid0(SALU_CYCLE_1)
	s_or_not1_b32 s45, s47, exec_lo
.LBB25_1126:                            ;   in Loop: Header=BB25_17 Depth=1
	s_or_b32 exec_lo, exec_lo, s43
	s_and_saveexec_b32 s43, s45
	s_cbranch_execz .LBB25_7
; %bb.1127:                             ;   in Loop: Header=BB25_17 Depth=1
	s_mov_b32 s47, -1
	s_mov_b32 s56, -1
	s_mov_b32 s46, exec_lo
                                        ; implicit-def: $sgpr44
                                        ; implicit-def: $sgpr45
	v_cmpx_lt_i32_e64 v12, v211
	s_cbranch_execz .LBB25_1237
; %bb.1128:                             ;   in Loop: Header=BB25_17 Depth=1
	v_add_nc_u32_e32 v13, s60, v12
	s_mov_b32 s57, 0
	s_mov_b32 s44, exec_lo
	s_wait_loadcnt_dscnt 0x0
	s_delay_alu instid0(VALU_DEP_1) | instskip(NEXT) | instid1(VALU_DEP_1)
	v_mul_lo_u32 v0, v13, v10
	v_add_nc_u64_e32 v[2:3], v[4:5], v[0:1]
                                        ; implicit-def: $vgpr0
	v_cmpx_lt_i16_e32 10, v8
	s_xor_b32 s44, exec_lo, s44
	s_cbranch_execz .LBB25_1188
; %bb.1129:                             ;   in Loop: Header=BB25_17 Depth=1
	s_mov_b32 s56, 0
	s_mov_b32 s45, exec_lo
                                        ; implicit-def: $vgpr0
	v_cmpx_lt_i16_e32 25, v8
	s_xor_b32 s45, exec_lo, s45
	s_cbranch_execz .LBB25_1161
; %bb.1130:                             ;   in Loop: Header=BB25_17 Depth=1
	s_mov_b32 s57, exec_lo
                                        ; implicit-def: $vgpr0
	v_cmpx_lt_i16_e32 28, v8
	s_xor_b32 s57, exec_lo, s57
	s_cbranch_execz .LBB25_1146
; %bb.1131:                             ;   in Loop: Header=BB25_17 Depth=1
	s_mov_b32 s58, 0
	s_mov_b32 s56, exec_lo
                                        ; implicit-def: $vgpr0
	v_cmpx_lt_i16_e32 43, v8
	s_xor_b32 s56, exec_lo, s56
	s_cbranch_execz .LBB25_1141
; %bb.1132:                             ;   in Loop: Header=BB25_17 Depth=1
	s_mov_b32 s59, exec_lo
                                        ; implicit-def: $vgpr0
	v_cmpx_lt_i16_e32 45, v8
	s_xor_b32 s59, exec_lo, s59
	s_cbranch_execz .LBB25_1136
; %bb.1133:                             ;   in Loop: Header=BB25_17 Depth=1
	s_mov_b32 s61, exec_lo
                                        ; implicit-def: $vgpr0
	v_cmpx_eq_u16_e32 46, v8
	s_cbranch_execz .LBB25_1135
; %bb.1134:                             ;   in Loop: Header=BB25_17 Depth=1
	flat_load_b32 v0, v[2:3]
	s_mov_b32 s58, exec_lo
	s_wait_loadcnt_dscnt 0x0
	v_lshlrev_b32_e32 v0, 16, v0
.LBB25_1135:                            ;   in Loop: Header=BB25_17 Depth=1
	s_wait_xcnt 0x0
	s_or_b32 exec_lo, exec_lo, s61
	s_delay_alu instid0(SALU_CYCLE_1)
	s_and_b32 s58, s58, exec_lo
                                        ; implicit-def: $vgpr2_vgpr3
.LBB25_1136:                            ;   in Loop: Header=BB25_17 Depth=1
	s_and_not1_saveexec_b32 s59, s59
	s_cbranch_execz .LBB25_1140
; %bb.1137:                             ;   in Loop: Header=BB25_17 Depth=1
	s_mov_b32 s62, s58
	s_mov_b32 s61, exec_lo
                                        ; implicit-def: $vgpr0
	v_cmpx_eq_u16_e32 44, v8
	s_cbranch_execz .LBB25_1139
; %bb.1138:                             ;   in Loop: Header=BB25_17 Depth=1
	flat_load_u8 v0, v[2:3]
	s_or_b32 s62, s58, exec_lo
	s_wait_loadcnt_dscnt 0x0
	v_lshlrev_b32_e32 v2, 23, v0
	v_cmp_ne_u32_e32 vcc_lo, 0xff, v0
	s_delay_alu instid0(VALU_DEP_2) | instskip(SKIP_1) | instid1(VALU_DEP_2)
	v_cndmask_b32_e32 v2, 0x7f800001, v2, vcc_lo
	v_cmp_ne_u32_e32 vcc_lo, 0, v0
	v_cndmask_b32_e32 v0, 0x400000, v2, vcc_lo
.LBB25_1139:                            ;   in Loop: Header=BB25_17 Depth=1
	s_or_b32 exec_lo, exec_lo, s61
	s_delay_alu instid0(SALU_CYCLE_1) | instskip(SKIP_1) | instid1(SALU_CYCLE_1)
	s_and_not1_b32 s58, s58, exec_lo
	s_and_b32 s61, s62, exec_lo
	s_or_b32 s58, s58, s61
.LBB25_1140:                            ;   in Loop: Header=BB25_17 Depth=1
	s_or_b32 exec_lo, exec_lo, s59
	s_delay_alu instid0(SALU_CYCLE_1)
	s_and_b32 s58, s58, exec_lo
                                        ; implicit-def: $vgpr2_vgpr3
.LBB25_1141:                            ;   in Loop: Header=BB25_17 Depth=1
	s_and_not1_saveexec_b32 s56, s56
	s_cbranch_execz .LBB25_1145
; %bb.1142:                             ;   in Loop: Header=BB25_17 Depth=1
	s_mov_b32 s61, s58
	s_mov_b32 s59, exec_lo
                                        ; implicit-def: $vgpr0
	v_cmpx_eq_u16_e32 29, v8
	s_cbranch_execz .LBB25_1144
; %bb.1143:                             ;   in Loop: Header=BB25_17 Depth=1
	flat_load_b64 v[2:3], v[2:3]
	s_or_b32 s61, s58, exec_lo
	s_wait_loadcnt_dscnt 0x0
	v_clz_i32_u32_e32 v0, v3
	s_delay_alu instid0(VALU_DEP_1) | instskip(SKIP_1) | instid1(VALU_DEP_1)
	v_min_u32_e32 v0, 32, v0
	s_wait_xcnt 0x0
	v_lshlrev_b64_e32 v[2:3], v0, v[2:3]
	v_sub_nc_u32_e32 v0, 32, v0
	s_delay_alu instid0(VALU_DEP_2) | instskip(NEXT) | instid1(VALU_DEP_1)
	v_min_u32_e32 v2, 1, v2
	v_or_b32_e32 v2, v3, v2
	s_delay_alu instid0(VALU_DEP_1) | instskip(NEXT) | instid1(VALU_DEP_1)
	v_cvt_f32_u32_e32 v2, v2
	v_ldexp_f32 v0, v2, v0
.LBB25_1144:                            ;   in Loop: Header=BB25_17 Depth=1
	s_or_b32 exec_lo, exec_lo, s59
	s_delay_alu instid0(SALU_CYCLE_1) | instskip(SKIP_1) | instid1(SALU_CYCLE_1)
	s_and_not1_b32 s58, s58, exec_lo
	s_and_b32 s59, s61, exec_lo
	s_or_b32 s58, s58, s59
.LBB25_1145:                            ;   in Loop: Header=BB25_17 Depth=1
	s_or_b32 exec_lo, exec_lo, s56
	s_delay_alu instid0(SALU_CYCLE_1)
	s_and_b32 s56, s58, exec_lo
                                        ; implicit-def: $vgpr2_vgpr3
.LBB25_1146:                            ;   in Loop: Header=BB25_17 Depth=1
	s_and_not1_saveexec_b32 s57, s57
	s_cbranch_execz .LBB25_1160
; %bb.1147:                             ;   in Loop: Header=BB25_17 Depth=1
	s_mov_b32 s58, exec_lo
                                        ; implicit-def: $vgpr0
	v_cmpx_lt_i16_e32 26, v8
	s_xor_b32 s58, exec_lo, s58
	s_cbranch_execz .LBB25_1153
; %bb.1148:                             ;   in Loop: Header=BB25_17 Depth=1
	s_mov_b32 s59, exec_lo
                                        ; implicit-def: $vgpr0
	v_cmpx_lt_i16_e32 27, v8
	s_xor_b32 s59, exec_lo, s59
	s_cbranch_execz .LBB25_1150
; %bb.1149:                             ;   in Loop: Header=BB25_17 Depth=1
	flat_load_b32 v0, v[2:3]
                                        ; implicit-def: $vgpr2_vgpr3
	s_wait_loadcnt_dscnt 0x0
	v_cvt_f32_u32_e32 v0, v0
.LBB25_1150:                            ;   in Loop: Header=BB25_17 Depth=1
	s_wait_xcnt 0x0
	s_and_not1_saveexec_b32 s59, s59
	s_cbranch_execz .LBB25_1152
; %bb.1151:                             ;   in Loop: Header=BB25_17 Depth=1
	flat_load_u16 v0, v[2:3]
	s_wait_loadcnt_dscnt 0x0
	v_cvt_f32_u32_e32 v0, v0
.LBB25_1152:                            ;   in Loop: Header=BB25_17 Depth=1
	s_wait_xcnt 0x0
	s_or_b32 exec_lo, exec_lo, s59
                                        ; implicit-def: $vgpr2_vgpr3
.LBB25_1153:                            ;   in Loop: Header=BB25_17 Depth=1
	s_and_not1_saveexec_b32 s58, s58
	s_cbranch_execz .LBB25_1159
; %bb.1154:                             ;   in Loop: Header=BB25_17 Depth=1
	flat_load_u8 v2, v[2:3]
	s_mov_b32 s59, 0
	s_mov_b32 s61, exec_lo
	s_wait_loadcnt_dscnt 0x0
	v_cmpx_lt_i16_e32 0x7f, v2
	s_xor_b32 s61, exec_lo, s61
	s_cbranch_execnz .LBB25_3242
; %bb.1155:                             ;   in Loop: Header=BB25_17 Depth=1
	s_or_saveexec_b32 s61, s61
	v_mov_b32_e32 v0, 0x7f800001
	s_xor_b32 exec_lo, exec_lo, s61
	s_cbranch_execnz .LBB25_3245
.LBB25_1156:                            ;   in Loop: Header=BB25_17 Depth=1
	s_or_b32 exec_lo, exec_lo, s61
	s_and_saveexec_b32 s61, s59
	s_cbranch_execz .LBB25_1158
.LBB25_1157:                            ;   in Loop: Header=BB25_17 Depth=1
	v_and_b32_e32 v0, 0xffff, v2
	s_delay_alu instid0(VALU_DEP_1) | instskip(SKIP_1) | instid1(VALU_DEP_2)
	v_and_b32_e32 v3, 7, v0
	v_bfe_u32 v16, v0, 3, 4
	v_clz_i32_u32_e32 v14, v3
	s_delay_alu instid0(VALU_DEP_2) | instskip(NEXT) | instid1(VALU_DEP_2)
	v_cmp_eq_u32_e32 vcc_lo, 0, v16
	v_min_u32_e32 v14, 32, v14
	s_delay_alu instid0(VALU_DEP_1) | instskip(NEXT) | instid1(VALU_DEP_1)
	v_subrev_nc_u32_e32 v15, 28, v14
	v_dual_lshlrev_b32 v0, v15, v0 :: v_dual_sub_nc_u32 v14, 29, v14
	s_delay_alu instid0(VALU_DEP_1) | instskip(NEXT) | instid1(VALU_DEP_1)
	v_dual_lshlrev_b32 v2, 24, v2 :: v_dual_bitop2_b32 v0, 7, v0 bitop3:0x40
	v_dual_cndmask_b32 v0, v3, v0, vcc_lo :: v_dual_cndmask_b32 v14, v16, v14, vcc_lo
	s_delay_alu instid0(VALU_DEP_2) | instskip(NEXT) | instid1(VALU_DEP_2)
	v_and_b32_e32 v2, 0x80000000, v2
	v_lshlrev_b32_e32 v0, 20, v0
	s_delay_alu instid0(VALU_DEP_3) | instskip(NEXT) | instid1(VALU_DEP_1)
	v_lshl_add_u32 v3, v14, 23, 0x3b800000
	v_or3_b32 v0, v2, v3, v0
.LBB25_1158:                            ;   in Loop: Header=BB25_17 Depth=1
	s_or_b32 exec_lo, exec_lo, s61
.LBB25_1159:                            ;   in Loop: Header=BB25_17 Depth=1
	s_delay_alu instid0(SALU_CYCLE_1) | instskip(NEXT) | instid1(SALU_CYCLE_1)
	s_or_b32 exec_lo, exec_lo, s58
	s_or_b32 s56, s56, exec_lo
.LBB25_1160:                            ;   in Loop: Header=BB25_17 Depth=1
	s_or_b32 exec_lo, exec_lo, s57
	s_delay_alu instid0(SALU_CYCLE_1)
	s_and_b32 s56, s56, exec_lo
                                        ; implicit-def: $vgpr2_vgpr3
.LBB25_1161:                            ;   in Loop: Header=BB25_17 Depth=1
	s_and_not1_saveexec_b32 s45, s45
	s_cbranch_execz .LBB25_1187
; %bb.1162:                             ;   in Loop: Header=BB25_17 Depth=1
	s_mov_b32 s58, s56
	s_mov_b32 s57, exec_lo
                                        ; implicit-def: $vgpr0
	v_cmpx_lt_i16_e32 22, v8
	s_xor_b32 s57, exec_lo, s57
	s_cbranch_execz .LBB25_1176
; %bb.1163:                             ;   in Loop: Header=BB25_17 Depth=1
	s_mov_b32 s58, exec_lo
                                        ; implicit-def: $vgpr0
	v_cmpx_lt_i16_e32 23, v8
	s_xor_b32 s58, exec_lo, s58
	s_cbranch_execz .LBB25_1173
; %bb.1164:                             ;   in Loop: Header=BB25_17 Depth=1
	;; [unrolled: 6-line block ×3, first 2 shown]
	flat_load_u8 v2, v[2:3]
	s_mov_b32 s61, 0
	s_mov_b32 s62, exec_lo
	s_wait_loadcnt_dscnt 0x0
	v_cmpx_lt_i16_e32 0x7f, v2
	s_xor_b32 s62, exec_lo, s62
	s_cbranch_execnz .LBB25_3354
; %bb.1166:                             ;   in Loop: Header=BB25_17 Depth=1
	s_or_saveexec_b32 s62, s62
	v_mov_b32_e32 v0, 0x7f800001
	s_xor_b32 exec_lo, exec_lo, s62
	s_cbranch_execnz .LBB25_3357
.LBB25_1167:                            ;   in Loop: Header=BB25_17 Depth=1
	s_or_b32 exec_lo, exec_lo, s62
	s_and_saveexec_b32 s62, s61
	s_cbranch_execz .LBB25_1169
.LBB25_1168:                            ;   in Loop: Header=BB25_17 Depth=1
	v_and_b32_e32 v0, 0xffff, v2
	s_delay_alu instid0(VALU_DEP_1) | instskip(SKIP_1) | instid1(VALU_DEP_2)
	v_and_b32_e32 v3, 3, v0
	v_bfe_u32 v16, v0, 2, 5
	v_clz_i32_u32_e32 v14, v3
	s_delay_alu instid0(VALU_DEP_2) | instskip(NEXT) | instid1(VALU_DEP_2)
	v_cmp_eq_u32_e32 vcc_lo, 0, v16
	v_min_u32_e32 v14, 32, v14
	s_delay_alu instid0(VALU_DEP_1) | instskip(NEXT) | instid1(VALU_DEP_1)
	v_subrev_nc_u32_e32 v15, 29, v14
	v_dual_lshlrev_b32 v0, v15, v0 :: v_dual_sub_nc_u32 v14, 30, v14
	s_delay_alu instid0(VALU_DEP_1) | instskip(NEXT) | instid1(VALU_DEP_1)
	v_dual_lshlrev_b32 v2, 24, v2 :: v_dual_bitop2_b32 v0, 3, v0 bitop3:0x40
	v_dual_cndmask_b32 v0, v3, v0, vcc_lo :: v_dual_cndmask_b32 v14, v16, v14, vcc_lo
	s_delay_alu instid0(VALU_DEP_2) | instskip(NEXT) | instid1(VALU_DEP_2)
	v_and_b32_e32 v2, 0x80000000, v2
	v_lshlrev_b32_e32 v0, 21, v0
	s_delay_alu instid0(VALU_DEP_3) | instskip(NEXT) | instid1(VALU_DEP_1)
	v_lshl_add_u32 v3, v14, 23, 0x37800000
	v_or3_b32 v0, v2, v3, v0
.LBB25_1169:                            ;   in Loop: Header=BB25_17 Depth=1
	s_or_b32 exec_lo, exec_lo, s62
                                        ; implicit-def: $vgpr2_vgpr3
.LBB25_1170:                            ;   in Loop: Header=BB25_17 Depth=1
	s_and_not1_saveexec_b32 s59, s59
	s_cbranch_execz .LBB25_1172
; %bb.1171:                             ;   in Loop: Header=BB25_17 Depth=1
	flat_load_u8 v0, v[2:3]
	s_wait_loadcnt_dscnt 0x0
	v_lshlrev_b32_e32 v0, 24, v0
	s_wait_xcnt 0x0
	s_delay_alu instid0(VALU_DEP_1) | instskip(NEXT) | instid1(VALU_DEP_1)
	v_and_b32_e32 v2, 0x7f000000, v0
	v_clz_i32_u32_e32 v3, v2
	v_cmp_ne_u32_e32 vcc_lo, 0, v2
	v_add_nc_u32_e32 v15, 0x1000000, v2
	s_delay_alu instid0(VALU_DEP_3) | instskip(NEXT) | instid1(VALU_DEP_1)
	v_min_u32_e32 v3, 32, v3
	v_sub_nc_u32_e64 v3, v3, 4 clamp
	s_delay_alu instid0(VALU_DEP_1) | instskip(NEXT) | instid1(VALU_DEP_1)
	v_dual_lshlrev_b32 v14, v3, v2 :: v_dual_lshlrev_b32 v3, 23, v3
	v_lshrrev_b32_e32 v14, 4, v14
	s_delay_alu instid0(VALU_DEP_1) | instskip(SKIP_1) | instid1(VALU_DEP_2)
	v_sub_nc_u32_e32 v3, v14, v3
	v_ashrrev_i32_e32 v14, 8, v15
	v_add_nc_u32_e32 v3, 0x3c000000, v3
	s_delay_alu instid0(VALU_DEP_1) | instskip(NEXT) | instid1(VALU_DEP_1)
	v_and_or_b32 v3, 0x7f800000, v14, v3
	v_cndmask_b32_e32 v2, 0, v3, vcc_lo
	s_delay_alu instid0(VALU_DEP_1)
	v_and_or_b32 v0, 0x80000000, v0, v2
.LBB25_1172:                            ;   in Loop: Header=BB25_17 Depth=1
	s_or_b32 exec_lo, exec_lo, s59
                                        ; implicit-def: $vgpr2_vgpr3
.LBB25_1173:                            ;   in Loop: Header=BB25_17 Depth=1
	s_and_not1_saveexec_b32 s58, s58
	s_cbranch_execz .LBB25_1175
; %bb.1174:                             ;   in Loop: Header=BB25_17 Depth=1
	flat_load_u8 v0, v[2:3]
	s_wait_loadcnt_dscnt 0x0
	v_lshlrev_b32_e32 v2, 25, v0
	v_lshlrev_b16 v0, 8, v0
	s_delay_alu instid0(VALU_DEP_1) | instskip(SKIP_1) | instid1(VALU_DEP_2)
	v_and_or_b32 v14, 0x7f00, v0, 0.5
	v_bfe_i32 v0, v0, 0, 16
	v_add_f32_e32 v14, -0.5, v14
	v_lshrrev_b32_e32 v3, 4, v2
	v_cmp_gt_u32_e32 vcc_lo, 0x8000000, v2
	s_delay_alu instid0(VALU_DEP_2) | instskip(NEXT) | instid1(VALU_DEP_1)
	v_or_b32_e32 v3, 0x70000000, v3
	v_mul_f32_e32 v3, 0x7800000, v3
	s_delay_alu instid0(VALU_DEP_1) | instskip(NEXT) | instid1(VALU_DEP_1)
	v_cndmask_b32_e32 v2, v3, v14, vcc_lo
	v_and_or_b32 v0, 0x80000000, v0, v2
.LBB25_1175:                            ;   in Loop: Header=BB25_17 Depth=1
	s_or_b32 exec_lo, exec_lo, s58
	s_delay_alu instid0(SALU_CYCLE_1)
	s_or_b32 s58, s56, exec_lo
                                        ; implicit-def: $vgpr2_vgpr3
.LBB25_1176:                            ;   in Loop: Header=BB25_17 Depth=1
	s_and_not1_saveexec_b32 s57, s57
	s_cbranch_execz .LBB25_1186
; %bb.1177:                             ;   in Loop: Header=BB25_17 Depth=1
	s_mov_b32 s59, s58
	s_mov_b32 s61, exec_lo
                                        ; implicit-def: $vgpr0
	v_cmpx_lt_i16_e32 14, v8
	s_xor_b32 s61, exec_lo, s61
	s_cbranch_execz .LBB25_1181
; %bb.1178:                             ;   in Loop: Header=BB25_17 Depth=1
	s_mov_b32 s59, s58
	s_mov_b32 s62, exec_lo
                                        ; implicit-def: $vgpr0
	v_cmpx_eq_u16_e32 15, v8
	s_cbranch_execz .LBB25_1180
; %bb.1179:                             ;   in Loop: Header=BB25_17 Depth=1
	flat_load_u16 v0, v[2:3]
	s_or_b32 s59, s58, exec_lo
	s_wait_loadcnt_dscnt 0x0
	v_lshlrev_b32_e32 v0, 16, v0
.LBB25_1180:                            ;   in Loop: Header=BB25_17 Depth=1
	s_wait_xcnt 0x0
	s_or_b32 exec_lo, exec_lo, s62
	s_delay_alu instid0(SALU_CYCLE_1) | instskip(SKIP_1) | instid1(SALU_CYCLE_1)
	s_and_not1_b32 s62, s58, exec_lo
	s_and_b32 s59, s59, exec_lo
                                        ; implicit-def: $vgpr2_vgpr3
	s_or_b32 s59, s62, s59
.LBB25_1181:                            ;   in Loop: Header=BB25_17 Depth=1
	s_and_not1_saveexec_b32 s61, s61
	s_cbranch_execz .LBB25_1185
; %bb.1182:                             ;   in Loop: Header=BB25_17 Depth=1
	s_mov_b32 s62, s59
	s_mov_b32 s63, exec_lo
                                        ; implicit-def: $vgpr0
	v_cmpx_eq_u16_e32 11, v8
	s_cbranch_execz .LBB25_1184
; %bb.1183:                             ;   in Loop: Header=BB25_17 Depth=1
	flat_load_u8 v0, v[2:3]
	s_or_b32 s62, s59, exec_lo
	s_wait_loadcnt_dscnt 0x0
	v_cmp_ne_u16_e32 vcc_lo, 0, v0
	v_cndmask_b32_e64 v0, 0, 1.0, vcc_lo
.LBB25_1184:                            ;   in Loop: Header=BB25_17 Depth=1
	s_wait_xcnt 0x0
	s_or_b32 exec_lo, exec_lo, s63
	s_delay_alu instid0(SALU_CYCLE_1) | instskip(SKIP_1) | instid1(SALU_CYCLE_1)
	s_and_not1_b32 s59, s59, exec_lo
	s_and_b32 s62, s62, exec_lo
	s_or_b32 s59, s59, s62
.LBB25_1185:                            ;   in Loop: Header=BB25_17 Depth=1
	s_or_b32 exec_lo, exec_lo, s61
	s_delay_alu instid0(SALU_CYCLE_1) | instskip(SKIP_1) | instid1(SALU_CYCLE_1)
	s_and_not1_b32 s58, s58, exec_lo
	s_and_b32 s59, s59, exec_lo
	s_or_b32 s58, s58, s59
.LBB25_1186:                            ;   in Loop: Header=BB25_17 Depth=1
	s_or_b32 exec_lo, exec_lo, s57
	s_delay_alu instid0(SALU_CYCLE_1) | instskip(SKIP_1) | instid1(SALU_CYCLE_1)
	s_and_not1_b32 s56, s56, exec_lo
	s_and_b32 s57, s58, exec_lo
	s_or_b32 s56, s56, s57
.LBB25_1187:                            ;   in Loop: Header=BB25_17 Depth=1
	s_or_b32 exec_lo, exec_lo, s45
	s_delay_alu instid0(SALU_CYCLE_1)
	s_and_b32 s57, s56, exec_lo
                                        ; implicit-def: $vgpr2_vgpr3
.LBB25_1188:                            ;   in Loop: Header=BB25_17 Depth=1
	s_and_not1_saveexec_b32 s44, s44
	s_cbranch_execz .LBB25_1230
; %bb.1189:                             ;   in Loop: Header=BB25_17 Depth=1
	s_mov_b32 s45, exec_lo
                                        ; implicit-def: $vgpr0
	v_cmpx_lt_i16_e32 4, v8
	s_xor_b32 s45, exec_lo, s45
	s_cbranch_execz .LBB25_1211
; %bb.1190:                             ;   in Loop: Header=BB25_17 Depth=1
	s_mov_b32 s56, exec_lo
                                        ; implicit-def: $vgpr0
	v_cmpx_lt_i16_e32 7, v8
	s_xor_b32 s56, exec_lo, s56
	;; [unrolled: 6-line block ×4, first 2 shown]
	s_cbranch_execz .LBB25_1194
; %bb.1193:                             ;   in Loop: Header=BB25_17 Depth=1
	flat_load_b64 v[2:3], v[2:3]
	s_wait_loadcnt_dscnt 0x0
	v_cvt_f32_f64_e32 v0, v[2:3]
                                        ; implicit-def: $vgpr2_vgpr3
.LBB25_1194:                            ;   in Loop: Header=BB25_17 Depth=1
	s_wait_xcnt 0x0
	s_and_not1_saveexec_b32 s59, s59
	s_cbranch_execz .LBB25_1196
; %bb.1195:                             ;   in Loop: Header=BB25_17 Depth=1
	flat_load_b32 v0, v[2:3]
.LBB25_1196:                            ;   in Loop: Header=BB25_17 Depth=1
	s_wait_xcnt 0x0
	s_or_b32 exec_lo, exec_lo, s59
                                        ; implicit-def: $vgpr2_vgpr3
.LBB25_1197:                            ;   in Loop: Header=BB25_17 Depth=1
	s_and_not1_saveexec_b32 s58, s58
	s_cbranch_execz .LBB25_1199
; %bb.1198:                             ;   in Loop: Header=BB25_17 Depth=1
	s_wait_loadcnt_dscnt 0x0
	flat_load_b32 v0, v[2:3]
	s_wait_loadcnt_dscnt 0x0
	v_cvt_f32_f16_e32 v0, v0
.LBB25_1199:                            ;   in Loop: Header=BB25_17 Depth=1
	s_wait_xcnt 0x0
	s_or_b32 exec_lo, exec_lo, s58
                                        ; implicit-def: $vgpr2_vgpr3
.LBB25_1200:                            ;   in Loop: Header=BB25_17 Depth=1
	s_and_not1_saveexec_b32 s56, s56
	s_cbranch_execz .LBB25_1210
; %bb.1201:                             ;   in Loop: Header=BB25_17 Depth=1
	s_mov_b32 s58, exec_lo
                                        ; implicit-def: $vgpr0
	v_cmpx_lt_i16_e32 5, v8
	s_xor_b32 s58, exec_lo, s58
	s_cbranch_execz .LBB25_1207
; %bb.1202:                             ;   in Loop: Header=BB25_17 Depth=1
	s_mov_b32 s59, exec_lo
                                        ; implicit-def: $vgpr0
	v_cmpx_lt_i16_e32 6, v8
	s_xor_b32 s59, exec_lo, s59
	s_cbranch_execz .LBB25_1204
; %bb.1203:                             ;   in Loop: Header=BB25_17 Depth=1
	flat_load_b64 v[2:3], v[2:3]
	s_wait_loadcnt_dscnt 0x0
	v_cvt_f32_f64_e32 v0, v[2:3]
                                        ; implicit-def: $vgpr2_vgpr3
.LBB25_1204:                            ;   in Loop: Header=BB25_17 Depth=1
	s_wait_xcnt 0x0
	s_and_not1_saveexec_b32 s59, s59
	s_cbranch_execz .LBB25_1206
; %bb.1205:                             ;   in Loop: Header=BB25_17 Depth=1
	s_wait_loadcnt_dscnt 0x0
	flat_load_b32 v0, v[2:3]
.LBB25_1206:                            ;   in Loop: Header=BB25_17 Depth=1
	s_wait_xcnt 0x0
	s_or_b32 exec_lo, exec_lo, s59
                                        ; implicit-def: $vgpr2_vgpr3
.LBB25_1207:                            ;   in Loop: Header=BB25_17 Depth=1
	s_and_not1_saveexec_b32 s58, s58
	s_cbranch_execz .LBB25_1209
; %bb.1208:                             ;   in Loop: Header=BB25_17 Depth=1
	s_wait_loadcnt_dscnt 0x0
	flat_load_u16 v0, v[2:3]
	s_wait_loadcnt_dscnt 0x0
	v_cvt_f32_f16_e32 v0, v0
.LBB25_1209:                            ;   in Loop: Header=BB25_17 Depth=1
	s_wait_xcnt 0x0
	s_or_b32 exec_lo, exec_lo, s58
.LBB25_1210:                            ;   in Loop: Header=BB25_17 Depth=1
	s_delay_alu instid0(SALU_CYCLE_1)
	s_or_b32 exec_lo, exec_lo, s56
                                        ; implicit-def: $vgpr2_vgpr3
.LBB25_1211:                            ;   in Loop: Header=BB25_17 Depth=1
	s_and_not1_saveexec_b32 s45, s45
	s_cbranch_execz .LBB25_1229
; %bb.1212:                             ;   in Loop: Header=BB25_17 Depth=1
	s_mov_b32 s56, exec_lo
                                        ; implicit-def: $vgpr0
	v_cmpx_lt_i16_e32 1, v8
	s_xor_b32 s56, exec_lo, s56
	s_cbranch_execz .LBB25_1222
; %bb.1213:                             ;   in Loop: Header=BB25_17 Depth=1
	s_mov_b32 s58, exec_lo
                                        ; implicit-def: $vgpr0
	v_cmpx_lt_i16_e32 2, v8
	s_xor_b32 s58, exec_lo, s58
	;; [unrolled: 6-line block ×3, first 2 shown]
	s_cbranch_execz .LBB25_1216
; %bb.1215:                             ;   in Loop: Header=BB25_17 Depth=1
	flat_load_b64 v[2:3], v[2:3]
	s_wait_loadcnt_dscnt 0x0
	v_xor_b32_e32 v0, v2, v3
	v_cls_i32_e32 v14, v3
	s_delay_alu instid0(VALU_DEP_2) | instskip(NEXT) | instid1(VALU_DEP_1)
	v_ashrrev_i32_e32 v0, 31, v0
	v_add_nc_u32_e32 v0, 32, v0
	s_delay_alu instid0(VALU_DEP_1) | instskip(SKIP_1) | instid1(VALU_DEP_1)
	v_add_min_u32_e64 v0, v14, -1, v0
	s_wait_xcnt 0x0
	v_lshlrev_b64_e32 v[2:3], v0, v[2:3]
	v_sub_nc_u32_e32 v0, 32, v0
	s_delay_alu instid0(VALU_DEP_2) | instskip(NEXT) | instid1(VALU_DEP_1)
	v_min_u32_e32 v2, 1, v2
	v_or_b32_e32 v2, v3, v2
	s_delay_alu instid0(VALU_DEP_1) | instskip(NEXT) | instid1(VALU_DEP_1)
	v_cvt_f32_i32_e32 v2, v2
	v_ldexp_f32 v0, v2, v0
                                        ; implicit-def: $vgpr2_vgpr3
.LBB25_1216:                            ;   in Loop: Header=BB25_17 Depth=1
	s_and_not1_saveexec_b32 s59, s59
	s_cbranch_execz .LBB25_1218
; %bb.1217:                             ;   in Loop: Header=BB25_17 Depth=1
	s_wait_loadcnt_dscnt 0x0
	flat_load_b32 v0, v[2:3]
	s_wait_loadcnt_dscnt 0x0
	v_cvt_f32_i32_e32 v0, v0
.LBB25_1218:                            ;   in Loop: Header=BB25_17 Depth=1
	s_wait_xcnt 0x0
	s_or_b32 exec_lo, exec_lo, s59
                                        ; implicit-def: $vgpr2_vgpr3
.LBB25_1219:                            ;   in Loop: Header=BB25_17 Depth=1
	s_and_not1_saveexec_b32 s58, s58
	s_cbranch_execz .LBB25_1221
; %bb.1220:                             ;   in Loop: Header=BB25_17 Depth=1
	s_wait_loadcnt_dscnt 0x0
	flat_load_i16 v0, v[2:3]
	s_wait_loadcnt_dscnt 0x0
	v_cvt_f32_i32_e32 v0, v0
.LBB25_1221:                            ;   in Loop: Header=BB25_17 Depth=1
	s_wait_xcnt 0x0
	s_or_b32 exec_lo, exec_lo, s58
                                        ; implicit-def: $vgpr2_vgpr3
.LBB25_1222:                            ;   in Loop: Header=BB25_17 Depth=1
	s_and_not1_saveexec_b32 s56, s56
	s_cbranch_execz .LBB25_1228
; %bb.1223:                             ;   in Loop: Header=BB25_17 Depth=1
	s_mov_b32 s58, exec_lo
                                        ; implicit-def: $vgpr0
	v_cmpx_lt_i16_e32 0, v8
	s_xor_b32 s58, exec_lo, s58
	s_cbranch_execz .LBB25_1225
; %bb.1224:                             ;   in Loop: Header=BB25_17 Depth=1
	s_wait_loadcnt_dscnt 0x0
	flat_load_i8 v0, v[2:3]
                                        ; implicit-def: $vgpr2_vgpr3
	s_wait_loadcnt_dscnt 0x0
	v_cvt_f32_i32_e32 v0, v0
.LBB25_1225:                            ;   in Loop: Header=BB25_17 Depth=1
	s_wait_xcnt 0x0
	s_and_not1_saveexec_b32 s58, s58
	s_cbranch_execz .LBB25_1227
; %bb.1226:                             ;   in Loop: Header=BB25_17 Depth=1
	s_wait_loadcnt_dscnt 0x0
	flat_load_u8 v0, v[2:3]
	s_wait_loadcnt_dscnt 0x0
	v_cvt_f32_ubyte0_e32 v0, v0
.LBB25_1227:                            ;   in Loop: Header=BB25_17 Depth=1
	s_wait_xcnt 0x0
	s_or_b32 exec_lo, exec_lo, s58
.LBB25_1228:                            ;   in Loop: Header=BB25_17 Depth=1
	s_delay_alu instid0(SALU_CYCLE_1)
	s_or_b32 exec_lo, exec_lo, s56
.LBB25_1229:                            ;   in Loop: Header=BB25_17 Depth=1
	s_delay_alu instid0(SALU_CYCLE_1) | instskip(NEXT) | instid1(SALU_CYCLE_1)
	s_or_b32 exec_lo, exec_lo, s45
	s_or_b32 s57, s57, exec_lo
.LBB25_1230:                            ;   in Loop: Header=BB25_17 Depth=1
	s_or_b32 exec_lo, exec_lo, s44
	s_mov_b32 s44, -1
	s_mov_b32 s58, 0
	s_mov_b32 s45, 0
	s_and_saveexec_b32 s56, s57
	s_cbranch_execz .LBB25_1236
; %bb.1231:                             ;   in Loop: Header=BB25_17 Depth=1
	s_add_co_i32 s44, s33, s1
	s_mov_b32 s57, 0
	s_add_co_i32 s44, s44, 16
	s_mov_b32 s45, exec_lo
	s_wait_loadcnt_dscnt 0x0
	scratch_store_b32 off, v0, s44 offset:84
	s_wait_xcnt 0x0
	v_mul_lo_u32 v0, v13, v11
	v_and_b32_e32 v13, 0xff, v9
	s_delay_alu instid0(VALU_DEP_2) | instskip(NEXT) | instid1(VALU_DEP_2)
	v_add_nc_u64_e32 v[2:3], v[6:7], v[0:1]
                                        ; implicit-def: $vgpr0
	v_cmpx_lt_i16_e32 10, v13
	s_xor_b32 s45, exec_lo, s45
	s_cbranch_execnz .LBB25_2898
; %bb.1232:                             ;   in Loop: Header=BB25_17 Depth=1
	s_and_not1_saveexec_b32 s45, s45
	s_cbranch_execnz .LBB25_2957
.LBB25_1233:                            ;   in Loop: Header=BB25_17 Depth=1
	s_or_b32 exec_lo, exec_lo, s45
	s_mov_b32 s58, 0
	s_and_saveexec_b32 s45, s57
	s_cbranch_execz .LBB25_1235
.LBB25_1234:                            ;   in Loop: Header=BB25_17 Depth=1
	v_add_nc_u32_e32 v12, 0x200, v12
	s_mov_b32 s58, exec_lo
	s_wait_loadcnt_dscnt 0x0
	scratch_store_b32 off, v0, s44 offset:80
.LBB25_1235:                            ;   in Loop: Header=BB25_17 Depth=1
	s_wait_xcnt 0x0
	s_or_b32 exec_lo, exec_lo, s45
	s_delay_alu instid0(SALU_CYCLE_1)
	s_mov_b32 s45, exec_lo
	s_xor_b32 s44, exec_lo, -1
	s_and_b32 s58, s58, exec_lo
.LBB25_1236:                            ;   in Loop: Header=BB25_17 Depth=1
	s_or_b32 exec_lo, exec_lo, s56
	s_delay_alu instid0(SALU_CYCLE_1)
	s_or_not1_b32 s56, s58, exec_lo
.LBB25_1237:                            ;   in Loop: Header=BB25_17 Depth=1
	s_or_b32 exec_lo, exec_lo, s46
	s_and_saveexec_b32 s46, s56
	s_cbranch_execz .LBB25_6
; %bb.1238:                             ;   in Loop: Header=BB25_17 Depth=1
	s_mov_b32 s58, -1
	s_mov_b32 s59, -1
	s_mov_b32 s57, exec_lo
                                        ; implicit-def: $sgpr47
                                        ; implicit-def: $sgpr56
	v_cmpx_lt_i32_e64 v12, v211
	s_cbranch_execz .LBB25_1348
; %bb.1239:                             ;   in Loop: Header=BB25_17 Depth=1
	v_add_nc_u32_e32 v13, s60, v12
	s_mov_b32 s61, 0
	s_mov_b32 s47, exec_lo
	s_wait_loadcnt_dscnt 0x0
	s_delay_alu instid0(VALU_DEP_1) | instskip(NEXT) | instid1(VALU_DEP_1)
	v_mul_lo_u32 v0, v13, v10
	v_add_nc_u64_e32 v[2:3], v[4:5], v[0:1]
                                        ; implicit-def: $vgpr0
	v_cmpx_lt_i16_e32 10, v8
	s_xor_b32 s47, exec_lo, s47
	s_cbranch_execz .LBB25_1299
; %bb.1240:                             ;   in Loop: Header=BB25_17 Depth=1
	s_mov_b32 s59, 0
	s_mov_b32 s56, exec_lo
                                        ; implicit-def: $vgpr0
	v_cmpx_lt_i16_e32 25, v8
	s_xor_b32 s56, exec_lo, s56
	s_cbranch_execz .LBB25_1272
; %bb.1241:                             ;   in Loop: Header=BB25_17 Depth=1
	s_mov_b32 s61, exec_lo
                                        ; implicit-def: $vgpr0
	v_cmpx_lt_i16_e32 28, v8
	s_xor_b32 s61, exec_lo, s61
	s_cbranch_execz .LBB25_1257
; %bb.1242:                             ;   in Loop: Header=BB25_17 Depth=1
	s_mov_b32 s62, 0
	s_mov_b32 s59, exec_lo
                                        ; implicit-def: $vgpr0
	v_cmpx_lt_i16_e32 43, v8
	s_xor_b32 s59, exec_lo, s59
	s_cbranch_execz .LBB25_1252
; %bb.1243:                             ;   in Loop: Header=BB25_17 Depth=1
	s_mov_b32 s63, exec_lo
                                        ; implicit-def: $vgpr0
	v_cmpx_lt_i16_e32 45, v8
	s_xor_b32 s63, exec_lo, s63
	s_cbranch_execz .LBB25_1247
; %bb.1244:                             ;   in Loop: Header=BB25_17 Depth=1
	s_mov_b32 s72, exec_lo
                                        ; implicit-def: $vgpr0
	v_cmpx_eq_u16_e32 46, v8
	s_cbranch_execz .LBB25_1246
; %bb.1245:                             ;   in Loop: Header=BB25_17 Depth=1
	flat_load_b32 v0, v[2:3]
	s_mov_b32 s62, exec_lo
	s_wait_loadcnt_dscnt 0x0
	v_lshlrev_b32_e32 v0, 16, v0
.LBB25_1246:                            ;   in Loop: Header=BB25_17 Depth=1
	s_wait_xcnt 0x0
	s_or_b32 exec_lo, exec_lo, s72
	s_delay_alu instid0(SALU_CYCLE_1)
	s_and_b32 s62, s62, exec_lo
                                        ; implicit-def: $vgpr2_vgpr3
.LBB25_1247:                            ;   in Loop: Header=BB25_17 Depth=1
	s_and_not1_saveexec_b32 s63, s63
	s_cbranch_execz .LBB25_1251
; %bb.1248:                             ;   in Loop: Header=BB25_17 Depth=1
	s_mov_b32 s73, s62
	s_mov_b32 s72, exec_lo
                                        ; implicit-def: $vgpr0
	v_cmpx_eq_u16_e32 44, v8
	s_cbranch_execz .LBB25_1250
; %bb.1249:                             ;   in Loop: Header=BB25_17 Depth=1
	flat_load_u8 v0, v[2:3]
	s_or_b32 s73, s62, exec_lo
	s_wait_loadcnt_dscnt 0x0
	v_lshlrev_b32_e32 v2, 23, v0
	v_cmp_ne_u32_e32 vcc_lo, 0xff, v0
	s_delay_alu instid0(VALU_DEP_2) | instskip(SKIP_1) | instid1(VALU_DEP_2)
	v_cndmask_b32_e32 v2, 0x7f800001, v2, vcc_lo
	v_cmp_ne_u32_e32 vcc_lo, 0, v0
	v_cndmask_b32_e32 v0, 0x400000, v2, vcc_lo
.LBB25_1250:                            ;   in Loop: Header=BB25_17 Depth=1
	s_or_b32 exec_lo, exec_lo, s72
	s_delay_alu instid0(SALU_CYCLE_1) | instskip(SKIP_1) | instid1(SALU_CYCLE_1)
	s_and_not1_b32 s62, s62, exec_lo
	s_and_b32 s72, s73, exec_lo
	s_or_b32 s62, s62, s72
.LBB25_1251:                            ;   in Loop: Header=BB25_17 Depth=1
	s_or_b32 exec_lo, exec_lo, s63
	s_delay_alu instid0(SALU_CYCLE_1)
	s_and_b32 s62, s62, exec_lo
                                        ; implicit-def: $vgpr2_vgpr3
.LBB25_1252:                            ;   in Loop: Header=BB25_17 Depth=1
	s_and_not1_saveexec_b32 s59, s59
	s_cbranch_execz .LBB25_1256
; %bb.1253:                             ;   in Loop: Header=BB25_17 Depth=1
	s_mov_b32 s72, s62
	s_mov_b32 s63, exec_lo
                                        ; implicit-def: $vgpr0
	v_cmpx_eq_u16_e32 29, v8
	s_cbranch_execz .LBB25_1255
; %bb.1254:                             ;   in Loop: Header=BB25_17 Depth=1
	flat_load_b64 v[2:3], v[2:3]
	s_or_b32 s72, s62, exec_lo
	s_wait_loadcnt_dscnt 0x0
	v_clz_i32_u32_e32 v0, v3
	s_delay_alu instid0(VALU_DEP_1) | instskip(SKIP_1) | instid1(VALU_DEP_1)
	v_min_u32_e32 v0, 32, v0
	s_wait_xcnt 0x0
	v_lshlrev_b64_e32 v[2:3], v0, v[2:3]
	v_sub_nc_u32_e32 v0, 32, v0
	s_delay_alu instid0(VALU_DEP_2) | instskip(NEXT) | instid1(VALU_DEP_1)
	v_min_u32_e32 v2, 1, v2
	v_or_b32_e32 v2, v3, v2
	s_delay_alu instid0(VALU_DEP_1) | instskip(NEXT) | instid1(VALU_DEP_1)
	v_cvt_f32_u32_e32 v2, v2
	v_ldexp_f32 v0, v2, v0
.LBB25_1255:                            ;   in Loop: Header=BB25_17 Depth=1
	s_or_b32 exec_lo, exec_lo, s63
	s_delay_alu instid0(SALU_CYCLE_1) | instskip(SKIP_1) | instid1(SALU_CYCLE_1)
	s_and_not1_b32 s62, s62, exec_lo
	s_and_b32 s63, s72, exec_lo
	s_or_b32 s62, s62, s63
.LBB25_1256:                            ;   in Loop: Header=BB25_17 Depth=1
	s_or_b32 exec_lo, exec_lo, s59
	s_delay_alu instid0(SALU_CYCLE_1)
	s_and_b32 s59, s62, exec_lo
                                        ; implicit-def: $vgpr2_vgpr3
.LBB25_1257:                            ;   in Loop: Header=BB25_17 Depth=1
	s_and_not1_saveexec_b32 s61, s61
	s_cbranch_execz .LBB25_1271
; %bb.1258:                             ;   in Loop: Header=BB25_17 Depth=1
	s_mov_b32 s62, exec_lo
                                        ; implicit-def: $vgpr0
	v_cmpx_lt_i16_e32 26, v8
	s_xor_b32 s62, exec_lo, s62
	s_cbranch_execz .LBB25_1264
; %bb.1259:                             ;   in Loop: Header=BB25_17 Depth=1
	s_mov_b32 s63, exec_lo
                                        ; implicit-def: $vgpr0
	v_cmpx_lt_i16_e32 27, v8
	s_xor_b32 s63, exec_lo, s63
	s_cbranch_execz .LBB25_1261
; %bb.1260:                             ;   in Loop: Header=BB25_17 Depth=1
	flat_load_b32 v0, v[2:3]
                                        ; implicit-def: $vgpr2_vgpr3
	s_wait_loadcnt_dscnt 0x0
	v_cvt_f32_u32_e32 v0, v0
.LBB25_1261:                            ;   in Loop: Header=BB25_17 Depth=1
	s_wait_xcnt 0x0
	s_and_not1_saveexec_b32 s63, s63
	s_cbranch_execz .LBB25_1263
; %bb.1262:                             ;   in Loop: Header=BB25_17 Depth=1
	flat_load_u16 v0, v[2:3]
	s_wait_loadcnt_dscnt 0x0
	v_cvt_f32_u32_e32 v0, v0
.LBB25_1263:                            ;   in Loop: Header=BB25_17 Depth=1
	s_wait_xcnt 0x0
	s_or_b32 exec_lo, exec_lo, s63
                                        ; implicit-def: $vgpr2_vgpr3
.LBB25_1264:                            ;   in Loop: Header=BB25_17 Depth=1
	s_and_not1_saveexec_b32 s62, s62
	s_cbranch_execz .LBB25_1270
; %bb.1265:                             ;   in Loop: Header=BB25_17 Depth=1
	flat_load_u8 v2, v[2:3]
	s_mov_b32 s63, 0
	s_mov_b32 s72, exec_lo
	s_wait_loadcnt_dscnt 0x0
	v_cmpx_lt_i16_e32 0x7f, v2
	s_xor_b32 s72, exec_lo, s72
	s_cbranch_execnz .LBB25_3358
; %bb.1266:                             ;   in Loop: Header=BB25_17 Depth=1
	s_or_saveexec_b32 s72, s72
	v_mov_b32_e32 v0, 0x7f800001
	s_xor_b32 exec_lo, exec_lo, s72
	s_cbranch_execnz .LBB25_3361
.LBB25_1267:                            ;   in Loop: Header=BB25_17 Depth=1
	s_or_b32 exec_lo, exec_lo, s72
	s_and_saveexec_b32 s72, s63
	s_cbranch_execz .LBB25_1269
.LBB25_1268:                            ;   in Loop: Header=BB25_17 Depth=1
	v_and_b32_e32 v0, 0xffff, v2
	s_delay_alu instid0(VALU_DEP_1) | instskip(SKIP_1) | instid1(VALU_DEP_2)
	v_and_b32_e32 v3, 7, v0
	v_bfe_u32 v16, v0, 3, 4
	v_clz_i32_u32_e32 v14, v3
	s_delay_alu instid0(VALU_DEP_2) | instskip(NEXT) | instid1(VALU_DEP_2)
	v_cmp_eq_u32_e32 vcc_lo, 0, v16
	v_min_u32_e32 v14, 32, v14
	s_delay_alu instid0(VALU_DEP_1) | instskip(NEXT) | instid1(VALU_DEP_1)
	v_subrev_nc_u32_e32 v15, 28, v14
	v_dual_lshlrev_b32 v0, v15, v0 :: v_dual_sub_nc_u32 v14, 29, v14
	s_delay_alu instid0(VALU_DEP_1) | instskip(NEXT) | instid1(VALU_DEP_1)
	v_dual_lshlrev_b32 v2, 24, v2 :: v_dual_bitop2_b32 v0, 7, v0 bitop3:0x40
	v_dual_cndmask_b32 v0, v3, v0, vcc_lo :: v_dual_cndmask_b32 v14, v16, v14, vcc_lo
	s_delay_alu instid0(VALU_DEP_2) | instskip(NEXT) | instid1(VALU_DEP_2)
	v_and_b32_e32 v2, 0x80000000, v2
	v_lshlrev_b32_e32 v0, 20, v0
	s_delay_alu instid0(VALU_DEP_3) | instskip(NEXT) | instid1(VALU_DEP_1)
	v_lshl_add_u32 v3, v14, 23, 0x3b800000
	v_or3_b32 v0, v2, v3, v0
.LBB25_1269:                            ;   in Loop: Header=BB25_17 Depth=1
	s_or_b32 exec_lo, exec_lo, s72
.LBB25_1270:                            ;   in Loop: Header=BB25_17 Depth=1
	s_delay_alu instid0(SALU_CYCLE_1) | instskip(NEXT) | instid1(SALU_CYCLE_1)
	s_or_b32 exec_lo, exec_lo, s62
	s_or_b32 s59, s59, exec_lo
.LBB25_1271:                            ;   in Loop: Header=BB25_17 Depth=1
	s_or_b32 exec_lo, exec_lo, s61
	s_delay_alu instid0(SALU_CYCLE_1)
	s_and_b32 s59, s59, exec_lo
                                        ; implicit-def: $vgpr2_vgpr3
.LBB25_1272:                            ;   in Loop: Header=BB25_17 Depth=1
	s_and_not1_saveexec_b32 s56, s56
	s_cbranch_execz .LBB25_1298
; %bb.1273:                             ;   in Loop: Header=BB25_17 Depth=1
	s_mov_b32 s62, s59
	s_mov_b32 s61, exec_lo
                                        ; implicit-def: $vgpr0
	v_cmpx_lt_i16_e32 22, v8
	s_xor_b32 s61, exec_lo, s61
	s_cbranch_execz .LBB25_1287
; %bb.1274:                             ;   in Loop: Header=BB25_17 Depth=1
	s_mov_b32 s62, exec_lo
                                        ; implicit-def: $vgpr0
	v_cmpx_lt_i16_e32 23, v8
	s_xor_b32 s62, exec_lo, s62
	s_cbranch_execz .LBB25_1284
; %bb.1275:                             ;   in Loop: Header=BB25_17 Depth=1
	;; [unrolled: 6-line block ×3, first 2 shown]
	flat_load_u8 v2, v[2:3]
	s_mov_b32 s72, 0
	s_mov_b32 s73, exec_lo
	s_wait_loadcnt_dscnt 0x0
	v_cmpx_lt_i16_e32 0x7f, v2
	s_xor_b32 s73, exec_lo, s73
	s_cbranch_execnz .LBB25_3470
; %bb.1277:                             ;   in Loop: Header=BB25_17 Depth=1
	s_or_saveexec_b32 s73, s73
	v_mov_b32_e32 v0, 0x7f800001
	s_xor_b32 exec_lo, exec_lo, s73
	s_cbranch_execnz .LBB25_3473
.LBB25_1278:                            ;   in Loop: Header=BB25_17 Depth=1
	s_or_b32 exec_lo, exec_lo, s73
	s_and_saveexec_b32 s73, s72
	s_cbranch_execz .LBB25_1280
.LBB25_1279:                            ;   in Loop: Header=BB25_17 Depth=1
	v_and_b32_e32 v0, 0xffff, v2
	s_delay_alu instid0(VALU_DEP_1) | instskip(SKIP_1) | instid1(VALU_DEP_2)
	v_and_b32_e32 v3, 3, v0
	v_bfe_u32 v16, v0, 2, 5
	v_clz_i32_u32_e32 v14, v3
	s_delay_alu instid0(VALU_DEP_2) | instskip(NEXT) | instid1(VALU_DEP_2)
	v_cmp_eq_u32_e32 vcc_lo, 0, v16
	v_min_u32_e32 v14, 32, v14
	s_delay_alu instid0(VALU_DEP_1) | instskip(NEXT) | instid1(VALU_DEP_1)
	v_subrev_nc_u32_e32 v15, 29, v14
	v_dual_lshlrev_b32 v0, v15, v0 :: v_dual_sub_nc_u32 v14, 30, v14
	s_delay_alu instid0(VALU_DEP_1) | instskip(NEXT) | instid1(VALU_DEP_1)
	v_dual_lshlrev_b32 v2, 24, v2 :: v_dual_bitop2_b32 v0, 3, v0 bitop3:0x40
	v_dual_cndmask_b32 v0, v3, v0, vcc_lo :: v_dual_cndmask_b32 v14, v16, v14, vcc_lo
	s_delay_alu instid0(VALU_DEP_2) | instskip(NEXT) | instid1(VALU_DEP_2)
	v_and_b32_e32 v2, 0x80000000, v2
	v_lshlrev_b32_e32 v0, 21, v0
	s_delay_alu instid0(VALU_DEP_3) | instskip(NEXT) | instid1(VALU_DEP_1)
	v_lshl_add_u32 v3, v14, 23, 0x37800000
	v_or3_b32 v0, v2, v3, v0
.LBB25_1280:                            ;   in Loop: Header=BB25_17 Depth=1
	s_or_b32 exec_lo, exec_lo, s73
                                        ; implicit-def: $vgpr2_vgpr3
.LBB25_1281:                            ;   in Loop: Header=BB25_17 Depth=1
	s_and_not1_saveexec_b32 s63, s63
	s_cbranch_execz .LBB25_1283
; %bb.1282:                             ;   in Loop: Header=BB25_17 Depth=1
	flat_load_u8 v0, v[2:3]
	s_wait_loadcnt_dscnt 0x0
	v_lshlrev_b32_e32 v0, 24, v0
	s_wait_xcnt 0x0
	s_delay_alu instid0(VALU_DEP_1) | instskip(NEXT) | instid1(VALU_DEP_1)
	v_and_b32_e32 v2, 0x7f000000, v0
	v_clz_i32_u32_e32 v3, v2
	v_cmp_ne_u32_e32 vcc_lo, 0, v2
	v_add_nc_u32_e32 v15, 0x1000000, v2
	s_delay_alu instid0(VALU_DEP_3) | instskip(NEXT) | instid1(VALU_DEP_1)
	v_min_u32_e32 v3, 32, v3
	v_sub_nc_u32_e64 v3, v3, 4 clamp
	s_delay_alu instid0(VALU_DEP_1) | instskip(NEXT) | instid1(VALU_DEP_1)
	v_dual_lshlrev_b32 v14, v3, v2 :: v_dual_lshlrev_b32 v3, 23, v3
	v_lshrrev_b32_e32 v14, 4, v14
	s_delay_alu instid0(VALU_DEP_1) | instskip(SKIP_1) | instid1(VALU_DEP_2)
	v_sub_nc_u32_e32 v3, v14, v3
	v_ashrrev_i32_e32 v14, 8, v15
	v_add_nc_u32_e32 v3, 0x3c000000, v3
	s_delay_alu instid0(VALU_DEP_1) | instskip(NEXT) | instid1(VALU_DEP_1)
	v_and_or_b32 v3, 0x7f800000, v14, v3
	v_cndmask_b32_e32 v2, 0, v3, vcc_lo
	s_delay_alu instid0(VALU_DEP_1)
	v_and_or_b32 v0, 0x80000000, v0, v2
.LBB25_1283:                            ;   in Loop: Header=BB25_17 Depth=1
	s_or_b32 exec_lo, exec_lo, s63
                                        ; implicit-def: $vgpr2_vgpr3
.LBB25_1284:                            ;   in Loop: Header=BB25_17 Depth=1
	s_and_not1_saveexec_b32 s62, s62
	s_cbranch_execz .LBB25_1286
; %bb.1285:                             ;   in Loop: Header=BB25_17 Depth=1
	flat_load_u8 v0, v[2:3]
	s_wait_loadcnt_dscnt 0x0
	v_lshlrev_b32_e32 v2, 25, v0
	v_lshlrev_b16 v0, 8, v0
	s_delay_alu instid0(VALU_DEP_1) | instskip(SKIP_1) | instid1(VALU_DEP_2)
	v_and_or_b32 v14, 0x7f00, v0, 0.5
	v_bfe_i32 v0, v0, 0, 16
	v_add_f32_e32 v14, -0.5, v14
	v_lshrrev_b32_e32 v3, 4, v2
	v_cmp_gt_u32_e32 vcc_lo, 0x8000000, v2
	s_delay_alu instid0(VALU_DEP_2) | instskip(NEXT) | instid1(VALU_DEP_1)
	v_or_b32_e32 v3, 0x70000000, v3
	v_mul_f32_e32 v3, 0x7800000, v3
	s_delay_alu instid0(VALU_DEP_1) | instskip(NEXT) | instid1(VALU_DEP_1)
	v_cndmask_b32_e32 v2, v3, v14, vcc_lo
	v_and_or_b32 v0, 0x80000000, v0, v2
.LBB25_1286:                            ;   in Loop: Header=BB25_17 Depth=1
	s_or_b32 exec_lo, exec_lo, s62
	s_delay_alu instid0(SALU_CYCLE_1)
	s_or_b32 s62, s59, exec_lo
                                        ; implicit-def: $vgpr2_vgpr3
.LBB25_1287:                            ;   in Loop: Header=BB25_17 Depth=1
	s_and_not1_saveexec_b32 s61, s61
	s_cbranch_execz .LBB25_1297
; %bb.1288:                             ;   in Loop: Header=BB25_17 Depth=1
	s_mov_b32 s63, s62
	s_mov_b32 s72, exec_lo
                                        ; implicit-def: $vgpr0
	v_cmpx_lt_i16_e32 14, v8
	s_xor_b32 s72, exec_lo, s72
	s_cbranch_execz .LBB25_1292
; %bb.1289:                             ;   in Loop: Header=BB25_17 Depth=1
	s_mov_b32 s63, s62
	s_mov_b32 s73, exec_lo
                                        ; implicit-def: $vgpr0
	v_cmpx_eq_u16_e32 15, v8
	s_cbranch_execz .LBB25_1291
; %bb.1290:                             ;   in Loop: Header=BB25_17 Depth=1
	flat_load_u16 v0, v[2:3]
	s_or_b32 s63, s62, exec_lo
	s_wait_loadcnt_dscnt 0x0
	v_lshlrev_b32_e32 v0, 16, v0
.LBB25_1291:                            ;   in Loop: Header=BB25_17 Depth=1
	s_wait_xcnt 0x0
	s_or_b32 exec_lo, exec_lo, s73
	s_delay_alu instid0(SALU_CYCLE_1) | instskip(SKIP_1) | instid1(SALU_CYCLE_1)
	s_and_not1_b32 s73, s62, exec_lo
	s_and_b32 s63, s63, exec_lo
                                        ; implicit-def: $vgpr2_vgpr3
	s_or_b32 s63, s73, s63
.LBB25_1292:                            ;   in Loop: Header=BB25_17 Depth=1
	s_and_not1_saveexec_b32 s72, s72
	s_cbranch_execz .LBB25_1296
; %bb.1293:                             ;   in Loop: Header=BB25_17 Depth=1
	s_mov_b32 s73, s63
	s_mov_b32 s74, exec_lo
                                        ; implicit-def: $vgpr0
	v_cmpx_eq_u16_e32 11, v8
	s_cbranch_execz .LBB25_1295
; %bb.1294:                             ;   in Loop: Header=BB25_17 Depth=1
	flat_load_u8 v0, v[2:3]
	s_or_b32 s73, s63, exec_lo
	s_wait_loadcnt_dscnt 0x0
	v_cmp_ne_u16_e32 vcc_lo, 0, v0
	v_cndmask_b32_e64 v0, 0, 1.0, vcc_lo
.LBB25_1295:                            ;   in Loop: Header=BB25_17 Depth=1
	s_wait_xcnt 0x0
	s_or_b32 exec_lo, exec_lo, s74
	s_delay_alu instid0(SALU_CYCLE_1) | instskip(SKIP_1) | instid1(SALU_CYCLE_1)
	s_and_not1_b32 s63, s63, exec_lo
	s_and_b32 s73, s73, exec_lo
	s_or_b32 s63, s63, s73
.LBB25_1296:                            ;   in Loop: Header=BB25_17 Depth=1
	s_or_b32 exec_lo, exec_lo, s72
	s_delay_alu instid0(SALU_CYCLE_1) | instskip(SKIP_1) | instid1(SALU_CYCLE_1)
	s_and_not1_b32 s62, s62, exec_lo
	s_and_b32 s63, s63, exec_lo
	s_or_b32 s62, s62, s63
.LBB25_1297:                            ;   in Loop: Header=BB25_17 Depth=1
	s_or_b32 exec_lo, exec_lo, s61
	s_delay_alu instid0(SALU_CYCLE_1) | instskip(SKIP_1) | instid1(SALU_CYCLE_1)
	s_and_not1_b32 s59, s59, exec_lo
	s_and_b32 s61, s62, exec_lo
	s_or_b32 s59, s59, s61
.LBB25_1298:                            ;   in Loop: Header=BB25_17 Depth=1
	s_or_b32 exec_lo, exec_lo, s56
	s_delay_alu instid0(SALU_CYCLE_1)
	s_and_b32 s61, s59, exec_lo
                                        ; implicit-def: $vgpr2_vgpr3
.LBB25_1299:                            ;   in Loop: Header=BB25_17 Depth=1
	s_and_not1_saveexec_b32 s47, s47
	s_cbranch_execz .LBB25_1341
; %bb.1300:                             ;   in Loop: Header=BB25_17 Depth=1
	s_mov_b32 s56, exec_lo
                                        ; implicit-def: $vgpr0
	v_cmpx_lt_i16_e32 4, v8
	s_xor_b32 s56, exec_lo, s56
	s_cbranch_execz .LBB25_1322
; %bb.1301:                             ;   in Loop: Header=BB25_17 Depth=1
	s_mov_b32 s59, exec_lo
                                        ; implicit-def: $vgpr0
	v_cmpx_lt_i16_e32 7, v8
	s_xor_b32 s59, exec_lo, s59
	s_cbranch_execz .LBB25_1311
; %bb.1302:                             ;   in Loop: Header=BB25_17 Depth=1
	s_mov_b32 s62, exec_lo
                                        ; implicit-def: $vgpr0
	v_cmpx_lt_i16_e32 8, v8
	s_xor_b32 s62, exec_lo, s62
	s_cbranch_execz .LBB25_1308
; %bb.1303:                             ;   in Loop: Header=BB25_17 Depth=1
	s_mov_b32 s63, exec_lo
                                        ; implicit-def: $vgpr0
	v_cmpx_lt_i16_e32 9, v8
	s_xor_b32 s63, exec_lo, s63
	s_cbranch_execz .LBB25_1305
; %bb.1304:                             ;   in Loop: Header=BB25_17 Depth=1
	flat_load_b64 v[2:3], v[2:3]
	s_wait_loadcnt_dscnt 0x0
	v_cvt_f32_f64_e32 v0, v[2:3]
                                        ; implicit-def: $vgpr2_vgpr3
.LBB25_1305:                            ;   in Loop: Header=BB25_17 Depth=1
	s_wait_xcnt 0x0
	s_and_not1_saveexec_b32 s63, s63
	s_cbranch_execz .LBB25_1307
; %bb.1306:                             ;   in Loop: Header=BB25_17 Depth=1
	flat_load_b32 v0, v[2:3]
.LBB25_1307:                            ;   in Loop: Header=BB25_17 Depth=1
	s_wait_xcnt 0x0
	s_or_b32 exec_lo, exec_lo, s63
                                        ; implicit-def: $vgpr2_vgpr3
.LBB25_1308:                            ;   in Loop: Header=BB25_17 Depth=1
	s_and_not1_saveexec_b32 s62, s62
	s_cbranch_execz .LBB25_1310
; %bb.1309:                             ;   in Loop: Header=BB25_17 Depth=1
	s_wait_loadcnt_dscnt 0x0
	flat_load_b32 v0, v[2:3]
	s_wait_loadcnt_dscnt 0x0
	v_cvt_f32_f16_e32 v0, v0
.LBB25_1310:                            ;   in Loop: Header=BB25_17 Depth=1
	s_wait_xcnt 0x0
	s_or_b32 exec_lo, exec_lo, s62
                                        ; implicit-def: $vgpr2_vgpr3
.LBB25_1311:                            ;   in Loop: Header=BB25_17 Depth=1
	s_and_not1_saveexec_b32 s59, s59
	s_cbranch_execz .LBB25_1321
; %bb.1312:                             ;   in Loop: Header=BB25_17 Depth=1
	s_mov_b32 s62, exec_lo
                                        ; implicit-def: $vgpr0
	v_cmpx_lt_i16_e32 5, v8
	s_xor_b32 s62, exec_lo, s62
	s_cbranch_execz .LBB25_1318
; %bb.1313:                             ;   in Loop: Header=BB25_17 Depth=1
	s_mov_b32 s63, exec_lo
                                        ; implicit-def: $vgpr0
	v_cmpx_lt_i16_e32 6, v8
	s_xor_b32 s63, exec_lo, s63
	s_cbranch_execz .LBB25_1315
; %bb.1314:                             ;   in Loop: Header=BB25_17 Depth=1
	flat_load_b64 v[2:3], v[2:3]
	s_wait_loadcnt_dscnt 0x0
	v_cvt_f32_f64_e32 v0, v[2:3]
                                        ; implicit-def: $vgpr2_vgpr3
.LBB25_1315:                            ;   in Loop: Header=BB25_17 Depth=1
	s_wait_xcnt 0x0
	s_and_not1_saveexec_b32 s63, s63
	s_cbranch_execz .LBB25_1317
; %bb.1316:                             ;   in Loop: Header=BB25_17 Depth=1
	s_wait_loadcnt_dscnt 0x0
	flat_load_b32 v0, v[2:3]
.LBB25_1317:                            ;   in Loop: Header=BB25_17 Depth=1
	s_wait_xcnt 0x0
	s_or_b32 exec_lo, exec_lo, s63
                                        ; implicit-def: $vgpr2_vgpr3
.LBB25_1318:                            ;   in Loop: Header=BB25_17 Depth=1
	s_and_not1_saveexec_b32 s62, s62
	s_cbranch_execz .LBB25_1320
; %bb.1319:                             ;   in Loop: Header=BB25_17 Depth=1
	s_wait_loadcnt_dscnt 0x0
	flat_load_u16 v0, v[2:3]
	s_wait_loadcnt_dscnt 0x0
	v_cvt_f32_f16_e32 v0, v0
.LBB25_1320:                            ;   in Loop: Header=BB25_17 Depth=1
	s_wait_xcnt 0x0
	s_or_b32 exec_lo, exec_lo, s62
.LBB25_1321:                            ;   in Loop: Header=BB25_17 Depth=1
	s_delay_alu instid0(SALU_CYCLE_1)
	s_or_b32 exec_lo, exec_lo, s59
                                        ; implicit-def: $vgpr2_vgpr3
.LBB25_1322:                            ;   in Loop: Header=BB25_17 Depth=1
	s_and_not1_saveexec_b32 s56, s56
	s_cbranch_execz .LBB25_1340
; %bb.1323:                             ;   in Loop: Header=BB25_17 Depth=1
	s_mov_b32 s59, exec_lo
                                        ; implicit-def: $vgpr0
	v_cmpx_lt_i16_e32 1, v8
	s_xor_b32 s59, exec_lo, s59
	s_cbranch_execz .LBB25_1333
; %bb.1324:                             ;   in Loop: Header=BB25_17 Depth=1
	s_mov_b32 s62, exec_lo
                                        ; implicit-def: $vgpr0
	v_cmpx_lt_i16_e32 2, v8
	s_xor_b32 s62, exec_lo, s62
	s_cbranch_execz .LBB25_1330
; %bb.1325:                             ;   in Loop: Header=BB25_17 Depth=1
	s_mov_b32 s63, exec_lo
                                        ; implicit-def: $vgpr0
	v_cmpx_lt_i16_e32 3, v8
	s_xor_b32 s63, exec_lo, s63
	s_cbranch_execz .LBB25_1327
; %bb.1326:                             ;   in Loop: Header=BB25_17 Depth=1
	flat_load_b64 v[2:3], v[2:3]
	s_wait_loadcnt_dscnt 0x0
	v_xor_b32_e32 v0, v2, v3
	v_cls_i32_e32 v14, v3
	s_delay_alu instid0(VALU_DEP_2) | instskip(NEXT) | instid1(VALU_DEP_1)
	v_ashrrev_i32_e32 v0, 31, v0
	v_add_nc_u32_e32 v0, 32, v0
	s_delay_alu instid0(VALU_DEP_1) | instskip(SKIP_1) | instid1(VALU_DEP_1)
	v_add_min_u32_e64 v0, v14, -1, v0
	s_wait_xcnt 0x0
	v_lshlrev_b64_e32 v[2:3], v0, v[2:3]
	v_sub_nc_u32_e32 v0, 32, v0
	s_delay_alu instid0(VALU_DEP_2) | instskip(NEXT) | instid1(VALU_DEP_1)
	v_min_u32_e32 v2, 1, v2
	v_or_b32_e32 v2, v3, v2
	s_delay_alu instid0(VALU_DEP_1) | instskip(NEXT) | instid1(VALU_DEP_1)
	v_cvt_f32_i32_e32 v2, v2
	v_ldexp_f32 v0, v2, v0
                                        ; implicit-def: $vgpr2_vgpr3
.LBB25_1327:                            ;   in Loop: Header=BB25_17 Depth=1
	s_and_not1_saveexec_b32 s63, s63
	s_cbranch_execz .LBB25_1329
; %bb.1328:                             ;   in Loop: Header=BB25_17 Depth=1
	s_wait_loadcnt_dscnt 0x0
	flat_load_b32 v0, v[2:3]
	s_wait_loadcnt_dscnt 0x0
	v_cvt_f32_i32_e32 v0, v0
.LBB25_1329:                            ;   in Loop: Header=BB25_17 Depth=1
	s_wait_xcnt 0x0
	s_or_b32 exec_lo, exec_lo, s63
                                        ; implicit-def: $vgpr2_vgpr3
.LBB25_1330:                            ;   in Loop: Header=BB25_17 Depth=1
	s_and_not1_saveexec_b32 s62, s62
	s_cbranch_execz .LBB25_1332
; %bb.1331:                             ;   in Loop: Header=BB25_17 Depth=1
	s_wait_loadcnt_dscnt 0x0
	flat_load_i16 v0, v[2:3]
	s_wait_loadcnt_dscnt 0x0
	v_cvt_f32_i32_e32 v0, v0
.LBB25_1332:                            ;   in Loop: Header=BB25_17 Depth=1
	s_wait_xcnt 0x0
	s_or_b32 exec_lo, exec_lo, s62
                                        ; implicit-def: $vgpr2_vgpr3
.LBB25_1333:                            ;   in Loop: Header=BB25_17 Depth=1
	s_and_not1_saveexec_b32 s59, s59
	s_cbranch_execz .LBB25_1339
; %bb.1334:                             ;   in Loop: Header=BB25_17 Depth=1
	s_mov_b32 s62, exec_lo
                                        ; implicit-def: $vgpr0
	v_cmpx_lt_i16_e32 0, v8
	s_xor_b32 s62, exec_lo, s62
	s_cbranch_execz .LBB25_1336
; %bb.1335:                             ;   in Loop: Header=BB25_17 Depth=1
	s_wait_loadcnt_dscnt 0x0
	flat_load_i8 v0, v[2:3]
                                        ; implicit-def: $vgpr2_vgpr3
	s_wait_loadcnt_dscnt 0x0
	v_cvt_f32_i32_e32 v0, v0
.LBB25_1336:                            ;   in Loop: Header=BB25_17 Depth=1
	s_wait_xcnt 0x0
	s_and_not1_saveexec_b32 s62, s62
	s_cbranch_execz .LBB25_1338
; %bb.1337:                             ;   in Loop: Header=BB25_17 Depth=1
	s_wait_loadcnt_dscnt 0x0
	flat_load_u8 v0, v[2:3]
	s_wait_loadcnt_dscnt 0x0
	v_cvt_f32_ubyte0_e32 v0, v0
.LBB25_1338:                            ;   in Loop: Header=BB25_17 Depth=1
	s_wait_xcnt 0x0
	s_or_b32 exec_lo, exec_lo, s62
.LBB25_1339:                            ;   in Loop: Header=BB25_17 Depth=1
	s_delay_alu instid0(SALU_CYCLE_1)
	s_or_b32 exec_lo, exec_lo, s59
.LBB25_1340:                            ;   in Loop: Header=BB25_17 Depth=1
	s_delay_alu instid0(SALU_CYCLE_1) | instskip(NEXT) | instid1(SALU_CYCLE_1)
	s_or_b32 exec_lo, exec_lo, s56
	s_or_b32 s61, s61, exec_lo
.LBB25_1341:                            ;   in Loop: Header=BB25_17 Depth=1
	s_or_b32 exec_lo, exec_lo, s47
	s_mov_b32 s47, -1
	s_mov_b32 s62, 0
	s_mov_b32 s56, 0
	s_and_saveexec_b32 s59, s61
	s_cbranch_execz .LBB25_1347
; %bb.1342:                             ;   in Loop: Header=BB25_17 Depth=1
	s_add_co_i32 s47, s33, s1
	s_mov_b32 s61, 0
	s_add_co_i32 s47, s47, 16
	s_mov_b32 s56, exec_lo
	s_wait_loadcnt_dscnt 0x0
	scratch_store_b32 off, v0, s47 offset:92
	s_wait_xcnt 0x0
	v_mul_lo_u32 v0, v13, v11
	v_and_b32_e32 v13, 0xff, v9
	s_delay_alu instid0(VALU_DEP_2) | instskip(NEXT) | instid1(VALU_DEP_2)
	v_add_nc_u64_e32 v[2:3], v[6:7], v[0:1]
                                        ; implicit-def: $vgpr0
	v_cmpx_lt_i16_e32 10, v13
	s_xor_b32 s56, exec_lo, s56
	s_cbranch_execnz .LBB25_3014
; %bb.1343:                             ;   in Loop: Header=BB25_17 Depth=1
	s_and_not1_saveexec_b32 s56, s56
	s_cbranch_execnz .LBB25_3073
.LBB25_1344:                            ;   in Loop: Header=BB25_17 Depth=1
	s_or_b32 exec_lo, exec_lo, s56
	s_mov_b32 s62, 0
	s_and_saveexec_b32 s56, s61
	s_cbranch_execz .LBB25_1346
.LBB25_1345:                            ;   in Loop: Header=BB25_17 Depth=1
	v_add_nc_u32_e32 v12, 0x200, v12
	s_mov_b32 s62, exec_lo
	s_wait_loadcnt_dscnt 0x0
	scratch_store_b32 off, v0, s47 offset:88
.LBB25_1346:                            ;   in Loop: Header=BB25_17 Depth=1
	s_wait_xcnt 0x0
	s_or_b32 exec_lo, exec_lo, s56
	s_delay_alu instid0(SALU_CYCLE_1)
	s_mov_b32 s56, exec_lo
	s_xor_b32 s47, exec_lo, -1
	s_and_b32 s62, s62, exec_lo
.LBB25_1347:                            ;   in Loop: Header=BB25_17 Depth=1
	s_or_b32 exec_lo, exec_lo, s59
	s_delay_alu instid0(SALU_CYCLE_1)
	s_or_not1_b32 s59, s62, exec_lo
.LBB25_1348:                            ;   in Loop: Header=BB25_17 Depth=1
	s_or_b32 exec_lo, exec_lo, s57
	s_and_saveexec_b32 s57, s59
	s_cbranch_execz .LBB25_5
; %bb.1349:                             ;   in Loop: Header=BB25_17 Depth=1
	s_mov_b32 s62, -1
	s_mov_b32 s63, -1
	s_mov_b32 s61, exec_lo
                                        ; implicit-def: $sgpr58
                                        ; implicit-def: $sgpr59
	v_cmpx_lt_i32_e64 v12, v211
	s_cbranch_execz .LBB25_1459
; %bb.1350:                             ;   in Loop: Header=BB25_17 Depth=1
	v_add_nc_u32_e32 v13, s60, v12
	s_mov_b32 s72, 0
	s_mov_b32 s58, exec_lo
	s_wait_loadcnt_dscnt 0x0
	s_delay_alu instid0(VALU_DEP_1) | instskip(NEXT) | instid1(VALU_DEP_1)
	v_mul_lo_u32 v0, v13, v10
	v_add_nc_u64_e32 v[2:3], v[4:5], v[0:1]
                                        ; implicit-def: $vgpr0
	v_cmpx_lt_i16_e32 10, v8
	s_xor_b32 s58, exec_lo, s58
	s_cbranch_execz .LBB25_1410
; %bb.1351:                             ;   in Loop: Header=BB25_17 Depth=1
	s_mov_b32 s63, 0
	s_mov_b32 s59, exec_lo
                                        ; implicit-def: $vgpr0
	v_cmpx_lt_i16_e32 25, v8
	s_xor_b32 s59, exec_lo, s59
	s_cbranch_execz .LBB25_1383
; %bb.1352:                             ;   in Loop: Header=BB25_17 Depth=1
	s_mov_b32 s72, exec_lo
                                        ; implicit-def: $vgpr0
	v_cmpx_lt_i16_e32 28, v8
	s_xor_b32 s72, exec_lo, s72
	s_cbranch_execz .LBB25_1368
; %bb.1353:                             ;   in Loop: Header=BB25_17 Depth=1
	s_mov_b32 s73, 0
	s_mov_b32 s63, exec_lo
                                        ; implicit-def: $vgpr0
	v_cmpx_lt_i16_e32 43, v8
	s_xor_b32 s63, exec_lo, s63
	s_cbranch_execz .LBB25_1363
; %bb.1354:                             ;   in Loop: Header=BB25_17 Depth=1
	s_mov_b32 s74, exec_lo
                                        ; implicit-def: $vgpr0
	v_cmpx_lt_i16_e32 45, v8
	s_xor_b32 s74, exec_lo, s74
	s_cbranch_execz .LBB25_1358
; %bb.1355:                             ;   in Loop: Header=BB25_17 Depth=1
	s_mov_b32 s75, exec_lo
                                        ; implicit-def: $vgpr0
	v_cmpx_eq_u16_e32 46, v8
	s_cbranch_execz .LBB25_1357
; %bb.1356:                             ;   in Loop: Header=BB25_17 Depth=1
	flat_load_b32 v0, v[2:3]
	s_mov_b32 s73, exec_lo
	s_wait_loadcnt_dscnt 0x0
	v_lshlrev_b32_e32 v0, 16, v0
.LBB25_1357:                            ;   in Loop: Header=BB25_17 Depth=1
	s_wait_xcnt 0x0
	s_or_b32 exec_lo, exec_lo, s75
	s_delay_alu instid0(SALU_CYCLE_1)
	s_and_b32 s73, s73, exec_lo
                                        ; implicit-def: $vgpr2_vgpr3
.LBB25_1358:                            ;   in Loop: Header=BB25_17 Depth=1
	s_and_not1_saveexec_b32 s74, s74
	s_cbranch_execz .LBB25_1362
; %bb.1359:                             ;   in Loop: Header=BB25_17 Depth=1
	s_mov_b32 s76, s73
	s_mov_b32 s75, exec_lo
                                        ; implicit-def: $vgpr0
	v_cmpx_eq_u16_e32 44, v8
	s_cbranch_execz .LBB25_1361
; %bb.1360:                             ;   in Loop: Header=BB25_17 Depth=1
	flat_load_u8 v0, v[2:3]
	s_or_b32 s76, s73, exec_lo
	s_wait_loadcnt_dscnt 0x0
	v_lshlrev_b32_e32 v2, 23, v0
	v_cmp_ne_u32_e32 vcc_lo, 0xff, v0
	s_delay_alu instid0(VALU_DEP_2) | instskip(SKIP_1) | instid1(VALU_DEP_2)
	v_cndmask_b32_e32 v2, 0x7f800001, v2, vcc_lo
	v_cmp_ne_u32_e32 vcc_lo, 0, v0
	v_cndmask_b32_e32 v0, 0x400000, v2, vcc_lo
.LBB25_1361:                            ;   in Loop: Header=BB25_17 Depth=1
	s_or_b32 exec_lo, exec_lo, s75
	s_delay_alu instid0(SALU_CYCLE_1) | instskip(SKIP_1) | instid1(SALU_CYCLE_1)
	s_and_not1_b32 s73, s73, exec_lo
	s_and_b32 s75, s76, exec_lo
	s_or_b32 s73, s73, s75
.LBB25_1362:                            ;   in Loop: Header=BB25_17 Depth=1
	s_or_b32 exec_lo, exec_lo, s74
	s_delay_alu instid0(SALU_CYCLE_1)
	s_and_b32 s73, s73, exec_lo
                                        ; implicit-def: $vgpr2_vgpr3
.LBB25_1363:                            ;   in Loop: Header=BB25_17 Depth=1
	s_and_not1_saveexec_b32 s63, s63
	s_cbranch_execz .LBB25_1367
; %bb.1364:                             ;   in Loop: Header=BB25_17 Depth=1
	s_mov_b32 s75, s73
	s_mov_b32 s74, exec_lo
                                        ; implicit-def: $vgpr0
	v_cmpx_eq_u16_e32 29, v8
	s_cbranch_execz .LBB25_1366
; %bb.1365:                             ;   in Loop: Header=BB25_17 Depth=1
	flat_load_b64 v[2:3], v[2:3]
	s_or_b32 s75, s73, exec_lo
	s_wait_loadcnt_dscnt 0x0
	v_clz_i32_u32_e32 v0, v3
	s_delay_alu instid0(VALU_DEP_1) | instskip(SKIP_1) | instid1(VALU_DEP_1)
	v_min_u32_e32 v0, 32, v0
	s_wait_xcnt 0x0
	v_lshlrev_b64_e32 v[2:3], v0, v[2:3]
	v_sub_nc_u32_e32 v0, 32, v0
	s_delay_alu instid0(VALU_DEP_2) | instskip(NEXT) | instid1(VALU_DEP_1)
	v_min_u32_e32 v2, 1, v2
	v_or_b32_e32 v2, v3, v2
	s_delay_alu instid0(VALU_DEP_1) | instskip(NEXT) | instid1(VALU_DEP_1)
	v_cvt_f32_u32_e32 v2, v2
	v_ldexp_f32 v0, v2, v0
.LBB25_1366:                            ;   in Loop: Header=BB25_17 Depth=1
	s_or_b32 exec_lo, exec_lo, s74
	s_delay_alu instid0(SALU_CYCLE_1) | instskip(SKIP_1) | instid1(SALU_CYCLE_1)
	s_and_not1_b32 s73, s73, exec_lo
	s_and_b32 s74, s75, exec_lo
	s_or_b32 s73, s73, s74
.LBB25_1367:                            ;   in Loop: Header=BB25_17 Depth=1
	s_or_b32 exec_lo, exec_lo, s63
	s_delay_alu instid0(SALU_CYCLE_1)
	s_and_b32 s63, s73, exec_lo
                                        ; implicit-def: $vgpr2_vgpr3
.LBB25_1368:                            ;   in Loop: Header=BB25_17 Depth=1
	s_and_not1_saveexec_b32 s72, s72
	s_cbranch_execz .LBB25_1382
; %bb.1369:                             ;   in Loop: Header=BB25_17 Depth=1
	s_mov_b32 s73, exec_lo
                                        ; implicit-def: $vgpr0
	v_cmpx_lt_i16_e32 26, v8
	s_xor_b32 s73, exec_lo, s73
	s_cbranch_execz .LBB25_1375
; %bb.1370:                             ;   in Loop: Header=BB25_17 Depth=1
	s_mov_b32 s74, exec_lo
                                        ; implicit-def: $vgpr0
	v_cmpx_lt_i16_e32 27, v8
	s_xor_b32 s74, exec_lo, s74
	s_cbranch_execz .LBB25_1372
; %bb.1371:                             ;   in Loop: Header=BB25_17 Depth=1
	flat_load_b32 v0, v[2:3]
                                        ; implicit-def: $vgpr2_vgpr3
	s_wait_loadcnt_dscnt 0x0
	v_cvt_f32_u32_e32 v0, v0
.LBB25_1372:                            ;   in Loop: Header=BB25_17 Depth=1
	s_wait_xcnt 0x0
	s_and_not1_saveexec_b32 s74, s74
	s_cbranch_execz .LBB25_1374
; %bb.1373:                             ;   in Loop: Header=BB25_17 Depth=1
	flat_load_u16 v0, v[2:3]
	s_wait_loadcnt_dscnt 0x0
	v_cvt_f32_u32_e32 v0, v0
.LBB25_1374:                            ;   in Loop: Header=BB25_17 Depth=1
	s_wait_xcnt 0x0
	s_or_b32 exec_lo, exec_lo, s74
                                        ; implicit-def: $vgpr2_vgpr3
.LBB25_1375:                            ;   in Loop: Header=BB25_17 Depth=1
	s_and_not1_saveexec_b32 s73, s73
	s_cbranch_execz .LBB25_1381
; %bb.1376:                             ;   in Loop: Header=BB25_17 Depth=1
	flat_load_u8 v2, v[2:3]
	s_mov_b32 s74, 0
	s_mov_b32 s75, exec_lo
	s_wait_loadcnt_dscnt 0x0
	v_cmpx_lt_i16_e32 0x7f, v2
	s_xor_b32 s75, exec_lo, s75
	s_cbranch_execnz .LBB25_3474
; %bb.1377:                             ;   in Loop: Header=BB25_17 Depth=1
	s_or_saveexec_b32 s75, s75
	v_mov_b32_e32 v0, 0x7f800001
	s_xor_b32 exec_lo, exec_lo, s75
	s_cbranch_execnz .LBB25_3477
.LBB25_1378:                            ;   in Loop: Header=BB25_17 Depth=1
	s_or_b32 exec_lo, exec_lo, s75
	s_and_saveexec_b32 s75, s74
	s_cbranch_execz .LBB25_1380
.LBB25_1379:                            ;   in Loop: Header=BB25_17 Depth=1
	v_and_b32_e32 v0, 0xffff, v2
	s_delay_alu instid0(VALU_DEP_1) | instskip(SKIP_1) | instid1(VALU_DEP_2)
	v_and_b32_e32 v3, 7, v0
	v_bfe_u32 v16, v0, 3, 4
	v_clz_i32_u32_e32 v14, v3
	s_delay_alu instid0(VALU_DEP_2) | instskip(NEXT) | instid1(VALU_DEP_2)
	v_cmp_eq_u32_e32 vcc_lo, 0, v16
	v_min_u32_e32 v14, 32, v14
	s_delay_alu instid0(VALU_DEP_1) | instskip(NEXT) | instid1(VALU_DEP_1)
	v_subrev_nc_u32_e32 v15, 28, v14
	v_dual_lshlrev_b32 v0, v15, v0 :: v_dual_sub_nc_u32 v14, 29, v14
	s_delay_alu instid0(VALU_DEP_1) | instskip(NEXT) | instid1(VALU_DEP_1)
	v_dual_lshlrev_b32 v2, 24, v2 :: v_dual_bitop2_b32 v0, 7, v0 bitop3:0x40
	v_dual_cndmask_b32 v0, v3, v0, vcc_lo :: v_dual_cndmask_b32 v14, v16, v14, vcc_lo
	s_delay_alu instid0(VALU_DEP_2) | instskip(NEXT) | instid1(VALU_DEP_2)
	v_and_b32_e32 v2, 0x80000000, v2
	v_lshlrev_b32_e32 v0, 20, v0
	s_delay_alu instid0(VALU_DEP_3) | instskip(NEXT) | instid1(VALU_DEP_1)
	v_lshl_add_u32 v3, v14, 23, 0x3b800000
	v_or3_b32 v0, v2, v3, v0
.LBB25_1380:                            ;   in Loop: Header=BB25_17 Depth=1
	s_or_b32 exec_lo, exec_lo, s75
.LBB25_1381:                            ;   in Loop: Header=BB25_17 Depth=1
	s_delay_alu instid0(SALU_CYCLE_1) | instskip(NEXT) | instid1(SALU_CYCLE_1)
	s_or_b32 exec_lo, exec_lo, s73
	s_or_b32 s63, s63, exec_lo
.LBB25_1382:                            ;   in Loop: Header=BB25_17 Depth=1
	s_or_b32 exec_lo, exec_lo, s72
	s_delay_alu instid0(SALU_CYCLE_1)
	s_and_b32 s63, s63, exec_lo
                                        ; implicit-def: $vgpr2_vgpr3
.LBB25_1383:                            ;   in Loop: Header=BB25_17 Depth=1
	s_and_not1_saveexec_b32 s59, s59
	s_cbranch_execz .LBB25_1409
; %bb.1384:                             ;   in Loop: Header=BB25_17 Depth=1
	s_mov_b32 s73, s63
	s_mov_b32 s72, exec_lo
                                        ; implicit-def: $vgpr0
	v_cmpx_lt_i16_e32 22, v8
	s_xor_b32 s72, exec_lo, s72
	s_cbranch_execz .LBB25_1398
; %bb.1385:                             ;   in Loop: Header=BB25_17 Depth=1
	s_mov_b32 s73, exec_lo
                                        ; implicit-def: $vgpr0
	v_cmpx_lt_i16_e32 23, v8
	s_xor_b32 s73, exec_lo, s73
	s_cbranch_execz .LBB25_1395
; %bb.1386:                             ;   in Loop: Header=BB25_17 Depth=1
	;; [unrolled: 6-line block ×3, first 2 shown]
	flat_load_u8 v2, v[2:3]
	s_mov_b32 s75, 0
	s_mov_b32 s76, exec_lo
	s_wait_loadcnt_dscnt 0x0
	v_cmpx_lt_i16_e32 0x7f, v2
	s_xor_b32 s76, exec_lo, s76
	s_cbranch_execnz .LBB25_3586
; %bb.1388:                             ;   in Loop: Header=BB25_17 Depth=1
	s_or_saveexec_b32 s76, s76
	v_mov_b32_e32 v0, 0x7f800001
	s_xor_b32 exec_lo, exec_lo, s76
	s_cbranch_execnz .LBB25_3589
.LBB25_1389:                            ;   in Loop: Header=BB25_17 Depth=1
	s_or_b32 exec_lo, exec_lo, s76
	s_and_saveexec_b32 s76, s75
	s_cbranch_execz .LBB25_1391
.LBB25_1390:                            ;   in Loop: Header=BB25_17 Depth=1
	v_and_b32_e32 v0, 0xffff, v2
	s_delay_alu instid0(VALU_DEP_1) | instskip(SKIP_1) | instid1(VALU_DEP_2)
	v_and_b32_e32 v3, 3, v0
	v_bfe_u32 v16, v0, 2, 5
	v_clz_i32_u32_e32 v14, v3
	s_delay_alu instid0(VALU_DEP_2) | instskip(NEXT) | instid1(VALU_DEP_2)
	v_cmp_eq_u32_e32 vcc_lo, 0, v16
	v_min_u32_e32 v14, 32, v14
	s_delay_alu instid0(VALU_DEP_1) | instskip(NEXT) | instid1(VALU_DEP_1)
	v_subrev_nc_u32_e32 v15, 29, v14
	v_dual_lshlrev_b32 v0, v15, v0 :: v_dual_sub_nc_u32 v14, 30, v14
	s_delay_alu instid0(VALU_DEP_1) | instskip(NEXT) | instid1(VALU_DEP_1)
	v_dual_lshlrev_b32 v2, 24, v2 :: v_dual_bitop2_b32 v0, 3, v0 bitop3:0x40
	v_dual_cndmask_b32 v0, v3, v0, vcc_lo :: v_dual_cndmask_b32 v14, v16, v14, vcc_lo
	s_delay_alu instid0(VALU_DEP_2) | instskip(NEXT) | instid1(VALU_DEP_2)
	v_and_b32_e32 v2, 0x80000000, v2
	v_lshlrev_b32_e32 v0, 21, v0
	s_delay_alu instid0(VALU_DEP_3) | instskip(NEXT) | instid1(VALU_DEP_1)
	v_lshl_add_u32 v3, v14, 23, 0x37800000
	v_or3_b32 v0, v2, v3, v0
.LBB25_1391:                            ;   in Loop: Header=BB25_17 Depth=1
	s_or_b32 exec_lo, exec_lo, s76
                                        ; implicit-def: $vgpr2_vgpr3
.LBB25_1392:                            ;   in Loop: Header=BB25_17 Depth=1
	s_and_not1_saveexec_b32 s74, s74
	s_cbranch_execz .LBB25_1394
; %bb.1393:                             ;   in Loop: Header=BB25_17 Depth=1
	flat_load_u8 v0, v[2:3]
	s_wait_loadcnt_dscnt 0x0
	v_lshlrev_b32_e32 v0, 24, v0
	s_wait_xcnt 0x0
	s_delay_alu instid0(VALU_DEP_1) | instskip(NEXT) | instid1(VALU_DEP_1)
	v_and_b32_e32 v2, 0x7f000000, v0
	v_clz_i32_u32_e32 v3, v2
	v_cmp_ne_u32_e32 vcc_lo, 0, v2
	v_add_nc_u32_e32 v15, 0x1000000, v2
	s_delay_alu instid0(VALU_DEP_3) | instskip(NEXT) | instid1(VALU_DEP_1)
	v_min_u32_e32 v3, 32, v3
	v_sub_nc_u32_e64 v3, v3, 4 clamp
	s_delay_alu instid0(VALU_DEP_1) | instskip(NEXT) | instid1(VALU_DEP_1)
	v_dual_lshlrev_b32 v14, v3, v2 :: v_dual_lshlrev_b32 v3, 23, v3
	v_lshrrev_b32_e32 v14, 4, v14
	s_delay_alu instid0(VALU_DEP_1) | instskip(SKIP_1) | instid1(VALU_DEP_2)
	v_sub_nc_u32_e32 v3, v14, v3
	v_ashrrev_i32_e32 v14, 8, v15
	v_add_nc_u32_e32 v3, 0x3c000000, v3
	s_delay_alu instid0(VALU_DEP_1) | instskip(NEXT) | instid1(VALU_DEP_1)
	v_and_or_b32 v3, 0x7f800000, v14, v3
	v_cndmask_b32_e32 v2, 0, v3, vcc_lo
	s_delay_alu instid0(VALU_DEP_1)
	v_and_or_b32 v0, 0x80000000, v0, v2
.LBB25_1394:                            ;   in Loop: Header=BB25_17 Depth=1
	s_or_b32 exec_lo, exec_lo, s74
                                        ; implicit-def: $vgpr2_vgpr3
.LBB25_1395:                            ;   in Loop: Header=BB25_17 Depth=1
	s_and_not1_saveexec_b32 s73, s73
	s_cbranch_execz .LBB25_1397
; %bb.1396:                             ;   in Loop: Header=BB25_17 Depth=1
	flat_load_u8 v0, v[2:3]
	s_wait_loadcnt_dscnt 0x0
	v_lshlrev_b32_e32 v2, 25, v0
	v_lshlrev_b16 v0, 8, v0
	s_delay_alu instid0(VALU_DEP_1) | instskip(SKIP_1) | instid1(VALU_DEP_2)
	v_and_or_b32 v14, 0x7f00, v0, 0.5
	v_bfe_i32 v0, v0, 0, 16
	v_add_f32_e32 v14, -0.5, v14
	v_lshrrev_b32_e32 v3, 4, v2
	v_cmp_gt_u32_e32 vcc_lo, 0x8000000, v2
	s_delay_alu instid0(VALU_DEP_2) | instskip(NEXT) | instid1(VALU_DEP_1)
	v_or_b32_e32 v3, 0x70000000, v3
	v_mul_f32_e32 v3, 0x7800000, v3
	s_delay_alu instid0(VALU_DEP_1) | instskip(NEXT) | instid1(VALU_DEP_1)
	v_cndmask_b32_e32 v2, v3, v14, vcc_lo
	v_and_or_b32 v0, 0x80000000, v0, v2
.LBB25_1397:                            ;   in Loop: Header=BB25_17 Depth=1
	s_or_b32 exec_lo, exec_lo, s73
	s_delay_alu instid0(SALU_CYCLE_1)
	s_or_b32 s73, s63, exec_lo
                                        ; implicit-def: $vgpr2_vgpr3
.LBB25_1398:                            ;   in Loop: Header=BB25_17 Depth=1
	s_and_not1_saveexec_b32 s72, s72
	s_cbranch_execz .LBB25_1408
; %bb.1399:                             ;   in Loop: Header=BB25_17 Depth=1
	s_mov_b32 s74, s73
	s_mov_b32 s75, exec_lo
                                        ; implicit-def: $vgpr0
	v_cmpx_lt_i16_e32 14, v8
	s_xor_b32 s75, exec_lo, s75
	s_cbranch_execz .LBB25_1403
; %bb.1400:                             ;   in Loop: Header=BB25_17 Depth=1
	s_mov_b32 s74, s73
	s_mov_b32 s76, exec_lo
                                        ; implicit-def: $vgpr0
	v_cmpx_eq_u16_e32 15, v8
	s_cbranch_execz .LBB25_1402
; %bb.1401:                             ;   in Loop: Header=BB25_17 Depth=1
	flat_load_u16 v0, v[2:3]
	s_or_b32 s74, s73, exec_lo
	s_wait_loadcnt_dscnt 0x0
	v_lshlrev_b32_e32 v0, 16, v0
.LBB25_1402:                            ;   in Loop: Header=BB25_17 Depth=1
	s_wait_xcnt 0x0
	s_or_b32 exec_lo, exec_lo, s76
	s_delay_alu instid0(SALU_CYCLE_1) | instskip(SKIP_1) | instid1(SALU_CYCLE_1)
	s_and_not1_b32 s76, s73, exec_lo
	s_and_b32 s74, s74, exec_lo
                                        ; implicit-def: $vgpr2_vgpr3
	s_or_b32 s74, s76, s74
.LBB25_1403:                            ;   in Loop: Header=BB25_17 Depth=1
	s_and_not1_saveexec_b32 s75, s75
	s_cbranch_execz .LBB25_1407
; %bb.1404:                             ;   in Loop: Header=BB25_17 Depth=1
	s_mov_b32 s76, s74
	s_mov_b32 s77, exec_lo
                                        ; implicit-def: $vgpr0
	v_cmpx_eq_u16_e32 11, v8
	s_cbranch_execz .LBB25_1406
; %bb.1405:                             ;   in Loop: Header=BB25_17 Depth=1
	flat_load_u8 v0, v[2:3]
	s_or_b32 s76, s74, exec_lo
	s_wait_loadcnt_dscnt 0x0
	v_cmp_ne_u16_e32 vcc_lo, 0, v0
	v_cndmask_b32_e64 v0, 0, 1.0, vcc_lo
.LBB25_1406:                            ;   in Loop: Header=BB25_17 Depth=1
	s_wait_xcnt 0x0
	s_or_b32 exec_lo, exec_lo, s77
	s_delay_alu instid0(SALU_CYCLE_1) | instskip(SKIP_1) | instid1(SALU_CYCLE_1)
	s_and_not1_b32 s74, s74, exec_lo
	s_and_b32 s76, s76, exec_lo
	s_or_b32 s74, s74, s76
.LBB25_1407:                            ;   in Loop: Header=BB25_17 Depth=1
	s_or_b32 exec_lo, exec_lo, s75
	s_delay_alu instid0(SALU_CYCLE_1) | instskip(SKIP_1) | instid1(SALU_CYCLE_1)
	s_and_not1_b32 s73, s73, exec_lo
	s_and_b32 s74, s74, exec_lo
	s_or_b32 s73, s73, s74
.LBB25_1408:                            ;   in Loop: Header=BB25_17 Depth=1
	s_or_b32 exec_lo, exec_lo, s72
	s_delay_alu instid0(SALU_CYCLE_1) | instskip(SKIP_1) | instid1(SALU_CYCLE_1)
	s_and_not1_b32 s63, s63, exec_lo
	s_and_b32 s72, s73, exec_lo
	s_or_b32 s63, s63, s72
.LBB25_1409:                            ;   in Loop: Header=BB25_17 Depth=1
	s_or_b32 exec_lo, exec_lo, s59
	s_delay_alu instid0(SALU_CYCLE_1)
	s_and_b32 s72, s63, exec_lo
                                        ; implicit-def: $vgpr2_vgpr3
.LBB25_1410:                            ;   in Loop: Header=BB25_17 Depth=1
	s_and_not1_saveexec_b32 s58, s58
	s_cbranch_execz .LBB25_1452
; %bb.1411:                             ;   in Loop: Header=BB25_17 Depth=1
	s_mov_b32 s59, exec_lo
                                        ; implicit-def: $vgpr0
	v_cmpx_lt_i16_e32 4, v8
	s_xor_b32 s59, exec_lo, s59
	s_cbranch_execz .LBB25_1433
; %bb.1412:                             ;   in Loop: Header=BB25_17 Depth=1
	s_mov_b32 s63, exec_lo
                                        ; implicit-def: $vgpr0
	v_cmpx_lt_i16_e32 7, v8
	s_xor_b32 s63, exec_lo, s63
	;; [unrolled: 6-line block ×4, first 2 shown]
	s_cbranch_execz .LBB25_1416
; %bb.1415:                             ;   in Loop: Header=BB25_17 Depth=1
	flat_load_b64 v[2:3], v[2:3]
	s_wait_loadcnt_dscnt 0x0
	v_cvt_f32_f64_e32 v0, v[2:3]
                                        ; implicit-def: $vgpr2_vgpr3
.LBB25_1416:                            ;   in Loop: Header=BB25_17 Depth=1
	s_wait_xcnt 0x0
	s_and_not1_saveexec_b32 s74, s74
	s_cbranch_execz .LBB25_1418
; %bb.1417:                             ;   in Loop: Header=BB25_17 Depth=1
	flat_load_b32 v0, v[2:3]
.LBB25_1418:                            ;   in Loop: Header=BB25_17 Depth=1
	s_wait_xcnt 0x0
	s_or_b32 exec_lo, exec_lo, s74
                                        ; implicit-def: $vgpr2_vgpr3
.LBB25_1419:                            ;   in Loop: Header=BB25_17 Depth=1
	s_and_not1_saveexec_b32 s73, s73
	s_cbranch_execz .LBB25_1421
; %bb.1420:                             ;   in Loop: Header=BB25_17 Depth=1
	s_wait_loadcnt_dscnt 0x0
	flat_load_b32 v0, v[2:3]
	s_wait_loadcnt_dscnt 0x0
	v_cvt_f32_f16_e32 v0, v0
.LBB25_1421:                            ;   in Loop: Header=BB25_17 Depth=1
	s_wait_xcnt 0x0
	s_or_b32 exec_lo, exec_lo, s73
                                        ; implicit-def: $vgpr2_vgpr3
.LBB25_1422:                            ;   in Loop: Header=BB25_17 Depth=1
	s_and_not1_saveexec_b32 s63, s63
	s_cbranch_execz .LBB25_1432
; %bb.1423:                             ;   in Loop: Header=BB25_17 Depth=1
	s_mov_b32 s73, exec_lo
                                        ; implicit-def: $vgpr0
	v_cmpx_lt_i16_e32 5, v8
	s_xor_b32 s73, exec_lo, s73
	s_cbranch_execz .LBB25_1429
; %bb.1424:                             ;   in Loop: Header=BB25_17 Depth=1
	s_mov_b32 s74, exec_lo
                                        ; implicit-def: $vgpr0
	v_cmpx_lt_i16_e32 6, v8
	s_xor_b32 s74, exec_lo, s74
	s_cbranch_execz .LBB25_1426
; %bb.1425:                             ;   in Loop: Header=BB25_17 Depth=1
	flat_load_b64 v[2:3], v[2:3]
	s_wait_loadcnt_dscnt 0x0
	v_cvt_f32_f64_e32 v0, v[2:3]
                                        ; implicit-def: $vgpr2_vgpr3
.LBB25_1426:                            ;   in Loop: Header=BB25_17 Depth=1
	s_wait_xcnt 0x0
	s_and_not1_saveexec_b32 s74, s74
	s_cbranch_execz .LBB25_1428
; %bb.1427:                             ;   in Loop: Header=BB25_17 Depth=1
	s_wait_loadcnt_dscnt 0x0
	flat_load_b32 v0, v[2:3]
.LBB25_1428:                            ;   in Loop: Header=BB25_17 Depth=1
	s_wait_xcnt 0x0
	s_or_b32 exec_lo, exec_lo, s74
                                        ; implicit-def: $vgpr2_vgpr3
.LBB25_1429:                            ;   in Loop: Header=BB25_17 Depth=1
	s_and_not1_saveexec_b32 s73, s73
	s_cbranch_execz .LBB25_1431
; %bb.1430:                             ;   in Loop: Header=BB25_17 Depth=1
	s_wait_loadcnt_dscnt 0x0
	flat_load_u16 v0, v[2:3]
	s_wait_loadcnt_dscnt 0x0
	v_cvt_f32_f16_e32 v0, v0
.LBB25_1431:                            ;   in Loop: Header=BB25_17 Depth=1
	s_wait_xcnt 0x0
	s_or_b32 exec_lo, exec_lo, s73
.LBB25_1432:                            ;   in Loop: Header=BB25_17 Depth=1
	s_delay_alu instid0(SALU_CYCLE_1)
	s_or_b32 exec_lo, exec_lo, s63
                                        ; implicit-def: $vgpr2_vgpr3
.LBB25_1433:                            ;   in Loop: Header=BB25_17 Depth=1
	s_and_not1_saveexec_b32 s59, s59
	s_cbranch_execz .LBB25_1451
; %bb.1434:                             ;   in Loop: Header=BB25_17 Depth=1
	s_mov_b32 s63, exec_lo
                                        ; implicit-def: $vgpr0
	v_cmpx_lt_i16_e32 1, v8
	s_xor_b32 s63, exec_lo, s63
	s_cbranch_execz .LBB25_1444
; %bb.1435:                             ;   in Loop: Header=BB25_17 Depth=1
	s_mov_b32 s73, exec_lo
                                        ; implicit-def: $vgpr0
	v_cmpx_lt_i16_e32 2, v8
	s_xor_b32 s73, exec_lo, s73
	;; [unrolled: 6-line block ×3, first 2 shown]
	s_cbranch_execz .LBB25_1438
; %bb.1437:                             ;   in Loop: Header=BB25_17 Depth=1
	flat_load_b64 v[2:3], v[2:3]
	s_wait_loadcnt_dscnt 0x0
	v_xor_b32_e32 v0, v2, v3
	v_cls_i32_e32 v14, v3
	s_delay_alu instid0(VALU_DEP_2) | instskip(NEXT) | instid1(VALU_DEP_1)
	v_ashrrev_i32_e32 v0, 31, v0
	v_add_nc_u32_e32 v0, 32, v0
	s_delay_alu instid0(VALU_DEP_1) | instskip(SKIP_1) | instid1(VALU_DEP_1)
	v_add_min_u32_e64 v0, v14, -1, v0
	s_wait_xcnt 0x0
	v_lshlrev_b64_e32 v[2:3], v0, v[2:3]
	v_sub_nc_u32_e32 v0, 32, v0
	s_delay_alu instid0(VALU_DEP_2) | instskip(NEXT) | instid1(VALU_DEP_1)
	v_min_u32_e32 v2, 1, v2
	v_or_b32_e32 v2, v3, v2
	s_delay_alu instid0(VALU_DEP_1) | instskip(NEXT) | instid1(VALU_DEP_1)
	v_cvt_f32_i32_e32 v2, v2
	v_ldexp_f32 v0, v2, v0
                                        ; implicit-def: $vgpr2_vgpr3
.LBB25_1438:                            ;   in Loop: Header=BB25_17 Depth=1
	s_and_not1_saveexec_b32 s74, s74
	s_cbranch_execz .LBB25_1440
; %bb.1439:                             ;   in Loop: Header=BB25_17 Depth=1
	s_wait_loadcnt_dscnt 0x0
	flat_load_b32 v0, v[2:3]
	s_wait_loadcnt_dscnt 0x0
	v_cvt_f32_i32_e32 v0, v0
.LBB25_1440:                            ;   in Loop: Header=BB25_17 Depth=1
	s_wait_xcnt 0x0
	s_or_b32 exec_lo, exec_lo, s74
                                        ; implicit-def: $vgpr2_vgpr3
.LBB25_1441:                            ;   in Loop: Header=BB25_17 Depth=1
	s_and_not1_saveexec_b32 s73, s73
	s_cbranch_execz .LBB25_1443
; %bb.1442:                             ;   in Loop: Header=BB25_17 Depth=1
	s_wait_loadcnt_dscnt 0x0
	flat_load_i16 v0, v[2:3]
	s_wait_loadcnt_dscnt 0x0
	v_cvt_f32_i32_e32 v0, v0
.LBB25_1443:                            ;   in Loop: Header=BB25_17 Depth=1
	s_wait_xcnt 0x0
	s_or_b32 exec_lo, exec_lo, s73
                                        ; implicit-def: $vgpr2_vgpr3
.LBB25_1444:                            ;   in Loop: Header=BB25_17 Depth=1
	s_and_not1_saveexec_b32 s63, s63
	s_cbranch_execz .LBB25_1450
; %bb.1445:                             ;   in Loop: Header=BB25_17 Depth=1
	s_mov_b32 s73, exec_lo
                                        ; implicit-def: $vgpr0
	v_cmpx_lt_i16_e32 0, v8
	s_xor_b32 s73, exec_lo, s73
	s_cbranch_execz .LBB25_1447
; %bb.1446:                             ;   in Loop: Header=BB25_17 Depth=1
	s_wait_loadcnt_dscnt 0x0
	flat_load_i8 v0, v[2:3]
                                        ; implicit-def: $vgpr2_vgpr3
	s_wait_loadcnt_dscnt 0x0
	v_cvt_f32_i32_e32 v0, v0
.LBB25_1447:                            ;   in Loop: Header=BB25_17 Depth=1
	s_wait_xcnt 0x0
	s_and_not1_saveexec_b32 s73, s73
	s_cbranch_execz .LBB25_1449
; %bb.1448:                             ;   in Loop: Header=BB25_17 Depth=1
	s_wait_loadcnt_dscnt 0x0
	flat_load_u8 v0, v[2:3]
	s_wait_loadcnt_dscnt 0x0
	v_cvt_f32_ubyte0_e32 v0, v0
.LBB25_1449:                            ;   in Loop: Header=BB25_17 Depth=1
	s_wait_xcnt 0x0
	s_or_b32 exec_lo, exec_lo, s73
.LBB25_1450:                            ;   in Loop: Header=BB25_17 Depth=1
	s_delay_alu instid0(SALU_CYCLE_1)
	s_or_b32 exec_lo, exec_lo, s63
.LBB25_1451:                            ;   in Loop: Header=BB25_17 Depth=1
	s_delay_alu instid0(SALU_CYCLE_1) | instskip(NEXT) | instid1(SALU_CYCLE_1)
	s_or_b32 exec_lo, exec_lo, s59
	s_or_b32 s72, s72, exec_lo
.LBB25_1452:                            ;   in Loop: Header=BB25_17 Depth=1
	s_or_b32 exec_lo, exec_lo, s58
	s_mov_b32 s58, -1
	s_mov_b32 s73, 0
	s_mov_b32 s59, 0
	s_and_saveexec_b32 s63, s72
	s_cbranch_execz .LBB25_1458
; %bb.1453:                             ;   in Loop: Header=BB25_17 Depth=1
	s_add_co_i32 s58, s33, s1
	s_mov_b32 s72, 0
	s_add_co_i32 s58, s58, 16
	s_mov_b32 s59, exec_lo
	s_wait_loadcnt_dscnt 0x0
	scratch_store_b32 off, v0, s58 offset:100
	s_wait_xcnt 0x0
	v_mul_lo_u32 v0, v13, v11
	v_and_b32_e32 v13, 0xff, v9
	s_delay_alu instid0(VALU_DEP_2) | instskip(NEXT) | instid1(VALU_DEP_2)
	v_add_nc_u64_e32 v[2:3], v[6:7], v[0:1]
                                        ; implicit-def: $vgpr0
	v_cmpx_lt_i16_e32 10, v13
	s_xor_b32 s59, exec_lo, s59
	s_cbranch_execnz .LBB25_3130
; %bb.1454:                             ;   in Loop: Header=BB25_17 Depth=1
	s_and_not1_saveexec_b32 s59, s59
	s_cbranch_execnz .LBB25_3189
.LBB25_1455:                            ;   in Loop: Header=BB25_17 Depth=1
	s_or_b32 exec_lo, exec_lo, s59
	s_mov_b32 s73, 0
	s_and_saveexec_b32 s59, s72
	s_cbranch_execz .LBB25_1457
.LBB25_1456:                            ;   in Loop: Header=BB25_17 Depth=1
	v_add_nc_u32_e32 v12, 0x200, v12
	s_mov_b32 s73, exec_lo
	s_wait_loadcnt_dscnt 0x0
	scratch_store_b32 off, v0, s58 offset:96
.LBB25_1457:                            ;   in Loop: Header=BB25_17 Depth=1
	s_wait_xcnt 0x0
	s_or_b32 exec_lo, exec_lo, s59
	s_delay_alu instid0(SALU_CYCLE_1)
	s_mov_b32 s59, exec_lo
	s_xor_b32 s58, exec_lo, -1
	s_and_b32 s73, s73, exec_lo
.LBB25_1458:                            ;   in Loop: Header=BB25_17 Depth=1
	s_or_b32 exec_lo, exec_lo, s63
	s_delay_alu instid0(SALU_CYCLE_1)
	s_or_not1_b32 s63, s73, exec_lo
.LBB25_1459:                            ;   in Loop: Header=BB25_17 Depth=1
	s_or_b32 exec_lo, exec_lo, s61
	s_and_saveexec_b32 s61, s63
	s_cbranch_execz .LBB25_4
; %bb.1460:                             ;   in Loop: Header=BB25_17 Depth=1
	s_mov_b32 s73, -1
	s_mov_b32 s74, -1
	s_mov_b32 s72, exec_lo
                                        ; implicit-def: $sgpr62
                                        ; implicit-def: $sgpr63
	v_cmpx_lt_i32_e64 v12, v211
	s_cbranch_execz .LBB25_1570
; %bb.1461:                             ;   in Loop: Header=BB25_17 Depth=1
	v_add_nc_u32_e32 v13, s60, v12
	s_mov_b32 s75, 0
	s_mov_b32 s62, exec_lo
	s_wait_loadcnt_dscnt 0x0
	s_delay_alu instid0(VALU_DEP_1) | instskip(NEXT) | instid1(VALU_DEP_1)
	v_mul_lo_u32 v0, v13, v10
	v_add_nc_u64_e32 v[2:3], v[4:5], v[0:1]
                                        ; implicit-def: $vgpr0
	v_cmpx_lt_i16_e32 10, v8
	s_xor_b32 s62, exec_lo, s62
	s_cbranch_execz .LBB25_1521
; %bb.1462:                             ;   in Loop: Header=BB25_17 Depth=1
	s_mov_b32 s74, 0
	s_mov_b32 s63, exec_lo
                                        ; implicit-def: $vgpr0
	v_cmpx_lt_i16_e32 25, v8
	s_xor_b32 s63, exec_lo, s63
	s_cbranch_execz .LBB25_1494
; %bb.1463:                             ;   in Loop: Header=BB25_17 Depth=1
	s_mov_b32 s75, exec_lo
                                        ; implicit-def: $vgpr0
	v_cmpx_lt_i16_e32 28, v8
	s_xor_b32 s75, exec_lo, s75
	s_cbranch_execz .LBB25_1479
; %bb.1464:                             ;   in Loop: Header=BB25_17 Depth=1
	s_mov_b32 s76, 0
	s_mov_b32 s74, exec_lo
                                        ; implicit-def: $vgpr0
	v_cmpx_lt_i16_e32 43, v8
	s_xor_b32 s74, exec_lo, s74
	s_cbranch_execz .LBB25_1474
; %bb.1465:                             ;   in Loop: Header=BB25_17 Depth=1
	s_mov_b32 s77, exec_lo
                                        ; implicit-def: $vgpr0
	v_cmpx_lt_i16_e32 45, v8
	s_xor_b32 s77, exec_lo, s77
	s_cbranch_execz .LBB25_1469
; %bb.1466:                             ;   in Loop: Header=BB25_17 Depth=1
	s_mov_b32 s78, exec_lo
                                        ; implicit-def: $vgpr0
	v_cmpx_eq_u16_e32 46, v8
	s_cbranch_execz .LBB25_1468
; %bb.1467:                             ;   in Loop: Header=BB25_17 Depth=1
	flat_load_b32 v0, v[2:3]
	s_mov_b32 s76, exec_lo
	s_wait_loadcnt_dscnt 0x0
	v_lshlrev_b32_e32 v0, 16, v0
.LBB25_1468:                            ;   in Loop: Header=BB25_17 Depth=1
	s_wait_xcnt 0x0
	s_or_b32 exec_lo, exec_lo, s78
	s_delay_alu instid0(SALU_CYCLE_1)
	s_and_b32 s76, s76, exec_lo
                                        ; implicit-def: $vgpr2_vgpr3
.LBB25_1469:                            ;   in Loop: Header=BB25_17 Depth=1
	s_and_not1_saveexec_b32 s77, s77
	s_cbranch_execz .LBB25_1473
; %bb.1470:                             ;   in Loop: Header=BB25_17 Depth=1
	s_mov_b32 s79, s76
	s_mov_b32 s78, exec_lo
                                        ; implicit-def: $vgpr0
	v_cmpx_eq_u16_e32 44, v8
	s_cbranch_execz .LBB25_1472
; %bb.1471:                             ;   in Loop: Header=BB25_17 Depth=1
	flat_load_u8 v0, v[2:3]
	s_or_b32 s79, s76, exec_lo
	s_wait_loadcnt_dscnt 0x0
	v_lshlrev_b32_e32 v2, 23, v0
	v_cmp_ne_u32_e32 vcc_lo, 0xff, v0
	s_delay_alu instid0(VALU_DEP_2) | instskip(SKIP_1) | instid1(VALU_DEP_2)
	v_cndmask_b32_e32 v2, 0x7f800001, v2, vcc_lo
	v_cmp_ne_u32_e32 vcc_lo, 0, v0
	v_cndmask_b32_e32 v0, 0x400000, v2, vcc_lo
.LBB25_1472:                            ;   in Loop: Header=BB25_17 Depth=1
	s_or_b32 exec_lo, exec_lo, s78
	s_delay_alu instid0(SALU_CYCLE_1) | instskip(SKIP_1) | instid1(SALU_CYCLE_1)
	s_and_not1_b32 s76, s76, exec_lo
	s_and_b32 s78, s79, exec_lo
	s_or_b32 s76, s76, s78
.LBB25_1473:                            ;   in Loop: Header=BB25_17 Depth=1
	s_or_b32 exec_lo, exec_lo, s77
	s_delay_alu instid0(SALU_CYCLE_1)
	s_and_b32 s76, s76, exec_lo
                                        ; implicit-def: $vgpr2_vgpr3
.LBB25_1474:                            ;   in Loop: Header=BB25_17 Depth=1
	s_and_not1_saveexec_b32 s74, s74
	s_cbranch_execz .LBB25_1478
; %bb.1475:                             ;   in Loop: Header=BB25_17 Depth=1
	s_mov_b32 s78, s76
	s_mov_b32 s77, exec_lo
                                        ; implicit-def: $vgpr0
	v_cmpx_eq_u16_e32 29, v8
	s_cbranch_execz .LBB25_1477
; %bb.1476:                             ;   in Loop: Header=BB25_17 Depth=1
	flat_load_b64 v[2:3], v[2:3]
	s_or_b32 s78, s76, exec_lo
	s_wait_loadcnt_dscnt 0x0
	v_clz_i32_u32_e32 v0, v3
	s_delay_alu instid0(VALU_DEP_1) | instskip(SKIP_1) | instid1(VALU_DEP_1)
	v_min_u32_e32 v0, 32, v0
	s_wait_xcnt 0x0
	v_lshlrev_b64_e32 v[2:3], v0, v[2:3]
	v_sub_nc_u32_e32 v0, 32, v0
	s_delay_alu instid0(VALU_DEP_2) | instskip(NEXT) | instid1(VALU_DEP_1)
	v_min_u32_e32 v2, 1, v2
	v_or_b32_e32 v2, v3, v2
	s_delay_alu instid0(VALU_DEP_1) | instskip(NEXT) | instid1(VALU_DEP_1)
	v_cvt_f32_u32_e32 v2, v2
	v_ldexp_f32 v0, v2, v0
.LBB25_1477:                            ;   in Loop: Header=BB25_17 Depth=1
	s_or_b32 exec_lo, exec_lo, s77
	s_delay_alu instid0(SALU_CYCLE_1) | instskip(SKIP_1) | instid1(SALU_CYCLE_1)
	s_and_not1_b32 s76, s76, exec_lo
	s_and_b32 s77, s78, exec_lo
	s_or_b32 s76, s76, s77
.LBB25_1478:                            ;   in Loop: Header=BB25_17 Depth=1
	s_or_b32 exec_lo, exec_lo, s74
	s_delay_alu instid0(SALU_CYCLE_1)
	s_and_b32 s74, s76, exec_lo
                                        ; implicit-def: $vgpr2_vgpr3
.LBB25_1479:                            ;   in Loop: Header=BB25_17 Depth=1
	s_and_not1_saveexec_b32 s75, s75
	s_cbranch_execz .LBB25_1493
; %bb.1480:                             ;   in Loop: Header=BB25_17 Depth=1
	s_mov_b32 s76, exec_lo
                                        ; implicit-def: $vgpr0
	v_cmpx_lt_i16_e32 26, v8
	s_xor_b32 s76, exec_lo, s76
	s_cbranch_execz .LBB25_1486
; %bb.1481:                             ;   in Loop: Header=BB25_17 Depth=1
	s_mov_b32 s77, exec_lo
                                        ; implicit-def: $vgpr0
	v_cmpx_lt_i16_e32 27, v8
	s_xor_b32 s77, exec_lo, s77
	s_cbranch_execz .LBB25_1483
; %bb.1482:                             ;   in Loop: Header=BB25_17 Depth=1
	flat_load_b32 v0, v[2:3]
                                        ; implicit-def: $vgpr2_vgpr3
	s_wait_loadcnt_dscnt 0x0
	v_cvt_f32_u32_e32 v0, v0
.LBB25_1483:                            ;   in Loop: Header=BB25_17 Depth=1
	s_wait_xcnt 0x0
	s_and_not1_saveexec_b32 s77, s77
	s_cbranch_execz .LBB25_1485
; %bb.1484:                             ;   in Loop: Header=BB25_17 Depth=1
	flat_load_u16 v0, v[2:3]
	s_wait_loadcnt_dscnt 0x0
	v_cvt_f32_u32_e32 v0, v0
.LBB25_1485:                            ;   in Loop: Header=BB25_17 Depth=1
	s_wait_xcnt 0x0
	s_or_b32 exec_lo, exec_lo, s77
                                        ; implicit-def: $vgpr2_vgpr3
.LBB25_1486:                            ;   in Loop: Header=BB25_17 Depth=1
	s_and_not1_saveexec_b32 s76, s76
	s_cbranch_execz .LBB25_1492
; %bb.1487:                             ;   in Loop: Header=BB25_17 Depth=1
	flat_load_u8 v2, v[2:3]
	s_mov_b32 s77, 0
	s_mov_b32 s78, exec_lo
	s_wait_loadcnt_dscnt 0x0
	v_cmpx_lt_i16_e32 0x7f, v2
	s_xor_b32 s78, exec_lo, s78
	s_cbranch_execnz .LBB25_3590
; %bb.1488:                             ;   in Loop: Header=BB25_17 Depth=1
	s_or_saveexec_b32 s78, s78
	v_mov_b32_e32 v0, 0x7f800001
	s_xor_b32 exec_lo, exec_lo, s78
	s_cbranch_execnz .LBB25_3593
.LBB25_1489:                            ;   in Loop: Header=BB25_17 Depth=1
	s_or_b32 exec_lo, exec_lo, s78
	s_and_saveexec_b32 s78, s77
	s_cbranch_execz .LBB25_1491
.LBB25_1490:                            ;   in Loop: Header=BB25_17 Depth=1
	v_and_b32_e32 v0, 0xffff, v2
	s_delay_alu instid0(VALU_DEP_1) | instskip(SKIP_1) | instid1(VALU_DEP_2)
	v_and_b32_e32 v3, 7, v0
	v_bfe_u32 v16, v0, 3, 4
	v_clz_i32_u32_e32 v14, v3
	s_delay_alu instid0(VALU_DEP_2) | instskip(NEXT) | instid1(VALU_DEP_2)
	v_cmp_eq_u32_e32 vcc_lo, 0, v16
	v_min_u32_e32 v14, 32, v14
	s_delay_alu instid0(VALU_DEP_1) | instskip(NEXT) | instid1(VALU_DEP_1)
	v_subrev_nc_u32_e32 v15, 28, v14
	v_dual_lshlrev_b32 v0, v15, v0 :: v_dual_sub_nc_u32 v14, 29, v14
	s_delay_alu instid0(VALU_DEP_1) | instskip(NEXT) | instid1(VALU_DEP_1)
	v_dual_lshlrev_b32 v2, 24, v2 :: v_dual_bitop2_b32 v0, 7, v0 bitop3:0x40
	v_dual_cndmask_b32 v0, v3, v0, vcc_lo :: v_dual_cndmask_b32 v14, v16, v14, vcc_lo
	s_delay_alu instid0(VALU_DEP_2) | instskip(NEXT) | instid1(VALU_DEP_2)
	v_and_b32_e32 v2, 0x80000000, v2
	v_lshlrev_b32_e32 v0, 20, v0
	s_delay_alu instid0(VALU_DEP_3) | instskip(NEXT) | instid1(VALU_DEP_1)
	v_lshl_add_u32 v3, v14, 23, 0x3b800000
	v_or3_b32 v0, v2, v3, v0
.LBB25_1491:                            ;   in Loop: Header=BB25_17 Depth=1
	s_or_b32 exec_lo, exec_lo, s78
.LBB25_1492:                            ;   in Loop: Header=BB25_17 Depth=1
	s_delay_alu instid0(SALU_CYCLE_1) | instskip(NEXT) | instid1(SALU_CYCLE_1)
	s_or_b32 exec_lo, exec_lo, s76
	s_or_b32 s74, s74, exec_lo
.LBB25_1493:                            ;   in Loop: Header=BB25_17 Depth=1
	s_or_b32 exec_lo, exec_lo, s75
	s_delay_alu instid0(SALU_CYCLE_1)
	s_and_b32 s74, s74, exec_lo
                                        ; implicit-def: $vgpr2_vgpr3
.LBB25_1494:                            ;   in Loop: Header=BB25_17 Depth=1
	s_and_not1_saveexec_b32 s63, s63
	s_cbranch_execz .LBB25_1520
; %bb.1495:                             ;   in Loop: Header=BB25_17 Depth=1
	s_mov_b32 s76, s74
	s_mov_b32 s75, exec_lo
                                        ; implicit-def: $vgpr0
	v_cmpx_lt_i16_e32 22, v8
	s_xor_b32 s75, exec_lo, s75
	s_cbranch_execz .LBB25_1509
; %bb.1496:                             ;   in Loop: Header=BB25_17 Depth=1
	s_mov_b32 s76, exec_lo
                                        ; implicit-def: $vgpr0
	v_cmpx_lt_i16_e32 23, v8
	s_xor_b32 s76, exec_lo, s76
	s_cbranch_execz .LBB25_1506
; %bb.1497:                             ;   in Loop: Header=BB25_17 Depth=1
	;; [unrolled: 6-line block ×3, first 2 shown]
	flat_load_u8 v2, v[2:3]
	s_mov_b32 s78, 0
	s_mov_b32 s79, exec_lo
	s_wait_loadcnt_dscnt 0x0
	v_cmpx_lt_i16_e32 0x7f, v2
	s_xor_b32 s79, exec_lo, s79
	s_cbranch_execnz .LBB25_3602
; %bb.1499:                             ;   in Loop: Header=BB25_17 Depth=1
	s_or_saveexec_b32 s79, s79
	v_mov_b32_e32 v0, 0x7f800001
	s_xor_b32 exec_lo, exec_lo, s79
	s_cbranch_execnz .LBB25_3605
.LBB25_1500:                            ;   in Loop: Header=BB25_17 Depth=1
	s_or_b32 exec_lo, exec_lo, s79
	s_and_saveexec_b32 s79, s78
	s_cbranch_execz .LBB25_1502
.LBB25_1501:                            ;   in Loop: Header=BB25_17 Depth=1
	v_and_b32_e32 v0, 0xffff, v2
	s_delay_alu instid0(VALU_DEP_1) | instskip(SKIP_1) | instid1(VALU_DEP_2)
	v_and_b32_e32 v3, 3, v0
	v_bfe_u32 v16, v0, 2, 5
	v_clz_i32_u32_e32 v14, v3
	s_delay_alu instid0(VALU_DEP_2) | instskip(NEXT) | instid1(VALU_DEP_2)
	v_cmp_eq_u32_e32 vcc_lo, 0, v16
	v_min_u32_e32 v14, 32, v14
	s_delay_alu instid0(VALU_DEP_1) | instskip(NEXT) | instid1(VALU_DEP_1)
	v_subrev_nc_u32_e32 v15, 29, v14
	v_dual_lshlrev_b32 v0, v15, v0 :: v_dual_sub_nc_u32 v14, 30, v14
	s_delay_alu instid0(VALU_DEP_1) | instskip(NEXT) | instid1(VALU_DEP_1)
	v_dual_lshlrev_b32 v2, 24, v2 :: v_dual_bitop2_b32 v0, 3, v0 bitop3:0x40
	v_dual_cndmask_b32 v0, v3, v0, vcc_lo :: v_dual_cndmask_b32 v14, v16, v14, vcc_lo
	s_delay_alu instid0(VALU_DEP_2) | instskip(NEXT) | instid1(VALU_DEP_2)
	v_and_b32_e32 v2, 0x80000000, v2
	v_lshlrev_b32_e32 v0, 21, v0
	s_delay_alu instid0(VALU_DEP_3) | instskip(NEXT) | instid1(VALU_DEP_1)
	v_lshl_add_u32 v3, v14, 23, 0x37800000
	v_or3_b32 v0, v2, v3, v0
.LBB25_1502:                            ;   in Loop: Header=BB25_17 Depth=1
	s_or_b32 exec_lo, exec_lo, s79
                                        ; implicit-def: $vgpr2_vgpr3
.LBB25_1503:                            ;   in Loop: Header=BB25_17 Depth=1
	s_and_not1_saveexec_b32 s77, s77
	s_cbranch_execz .LBB25_1505
; %bb.1504:                             ;   in Loop: Header=BB25_17 Depth=1
	flat_load_u8 v0, v[2:3]
	s_wait_loadcnt_dscnt 0x0
	v_lshlrev_b32_e32 v0, 24, v0
	s_wait_xcnt 0x0
	s_delay_alu instid0(VALU_DEP_1) | instskip(NEXT) | instid1(VALU_DEP_1)
	v_and_b32_e32 v2, 0x7f000000, v0
	v_clz_i32_u32_e32 v3, v2
	v_cmp_ne_u32_e32 vcc_lo, 0, v2
	v_add_nc_u32_e32 v15, 0x1000000, v2
	s_delay_alu instid0(VALU_DEP_3) | instskip(NEXT) | instid1(VALU_DEP_1)
	v_min_u32_e32 v3, 32, v3
	v_sub_nc_u32_e64 v3, v3, 4 clamp
	s_delay_alu instid0(VALU_DEP_1) | instskip(NEXT) | instid1(VALU_DEP_1)
	v_dual_lshlrev_b32 v14, v3, v2 :: v_dual_lshlrev_b32 v3, 23, v3
	v_lshrrev_b32_e32 v14, 4, v14
	s_delay_alu instid0(VALU_DEP_1) | instskip(SKIP_1) | instid1(VALU_DEP_2)
	v_sub_nc_u32_e32 v3, v14, v3
	v_ashrrev_i32_e32 v14, 8, v15
	v_add_nc_u32_e32 v3, 0x3c000000, v3
	s_delay_alu instid0(VALU_DEP_1) | instskip(NEXT) | instid1(VALU_DEP_1)
	v_and_or_b32 v3, 0x7f800000, v14, v3
	v_cndmask_b32_e32 v2, 0, v3, vcc_lo
	s_delay_alu instid0(VALU_DEP_1)
	v_and_or_b32 v0, 0x80000000, v0, v2
.LBB25_1505:                            ;   in Loop: Header=BB25_17 Depth=1
	s_or_b32 exec_lo, exec_lo, s77
                                        ; implicit-def: $vgpr2_vgpr3
.LBB25_1506:                            ;   in Loop: Header=BB25_17 Depth=1
	s_and_not1_saveexec_b32 s76, s76
	s_cbranch_execz .LBB25_1508
; %bb.1507:                             ;   in Loop: Header=BB25_17 Depth=1
	flat_load_u8 v0, v[2:3]
	s_wait_loadcnt_dscnt 0x0
	v_lshlrev_b32_e32 v2, 25, v0
	v_lshlrev_b16 v0, 8, v0
	s_delay_alu instid0(VALU_DEP_1) | instskip(SKIP_1) | instid1(VALU_DEP_2)
	v_and_or_b32 v14, 0x7f00, v0, 0.5
	v_bfe_i32 v0, v0, 0, 16
	v_add_f32_e32 v14, -0.5, v14
	v_lshrrev_b32_e32 v3, 4, v2
	v_cmp_gt_u32_e32 vcc_lo, 0x8000000, v2
	s_delay_alu instid0(VALU_DEP_2) | instskip(NEXT) | instid1(VALU_DEP_1)
	v_or_b32_e32 v3, 0x70000000, v3
	v_mul_f32_e32 v3, 0x7800000, v3
	s_delay_alu instid0(VALU_DEP_1) | instskip(NEXT) | instid1(VALU_DEP_1)
	v_cndmask_b32_e32 v2, v3, v14, vcc_lo
	v_and_or_b32 v0, 0x80000000, v0, v2
.LBB25_1508:                            ;   in Loop: Header=BB25_17 Depth=1
	s_or_b32 exec_lo, exec_lo, s76
	s_delay_alu instid0(SALU_CYCLE_1)
	s_or_b32 s76, s74, exec_lo
                                        ; implicit-def: $vgpr2_vgpr3
.LBB25_1509:                            ;   in Loop: Header=BB25_17 Depth=1
	s_and_not1_saveexec_b32 s75, s75
	s_cbranch_execz .LBB25_1519
; %bb.1510:                             ;   in Loop: Header=BB25_17 Depth=1
	s_mov_b32 s77, s76
	s_mov_b32 s78, exec_lo
                                        ; implicit-def: $vgpr0
	v_cmpx_lt_i16_e32 14, v8
	s_xor_b32 s78, exec_lo, s78
	s_cbranch_execz .LBB25_1514
; %bb.1511:                             ;   in Loop: Header=BB25_17 Depth=1
	s_mov_b32 s77, s76
	s_mov_b32 s79, exec_lo
                                        ; implicit-def: $vgpr0
	v_cmpx_eq_u16_e32 15, v8
	s_cbranch_execz .LBB25_1513
; %bb.1512:                             ;   in Loop: Header=BB25_17 Depth=1
	flat_load_u16 v0, v[2:3]
	s_or_b32 s77, s76, exec_lo
	s_wait_loadcnt_dscnt 0x0
	v_lshlrev_b32_e32 v0, 16, v0
.LBB25_1513:                            ;   in Loop: Header=BB25_17 Depth=1
	s_wait_xcnt 0x0
	s_or_b32 exec_lo, exec_lo, s79
	s_delay_alu instid0(SALU_CYCLE_1) | instskip(SKIP_1) | instid1(SALU_CYCLE_1)
	s_and_not1_b32 s79, s76, exec_lo
	s_and_b32 s77, s77, exec_lo
                                        ; implicit-def: $vgpr2_vgpr3
	s_or_b32 s77, s79, s77
.LBB25_1514:                            ;   in Loop: Header=BB25_17 Depth=1
	s_and_not1_saveexec_b32 s78, s78
	s_cbranch_execz .LBB25_1518
; %bb.1515:                             ;   in Loop: Header=BB25_17 Depth=1
	s_mov_b32 s79, s77
	s_mov_b32 s88, exec_lo
                                        ; implicit-def: $vgpr0
	v_cmpx_eq_u16_e32 11, v8
	s_cbranch_execz .LBB25_1517
; %bb.1516:                             ;   in Loop: Header=BB25_17 Depth=1
	flat_load_u8 v0, v[2:3]
	s_or_b32 s79, s77, exec_lo
	s_wait_loadcnt_dscnt 0x0
	v_cmp_ne_u16_e32 vcc_lo, 0, v0
	v_cndmask_b32_e64 v0, 0, 1.0, vcc_lo
.LBB25_1517:                            ;   in Loop: Header=BB25_17 Depth=1
	s_wait_xcnt 0x0
	s_or_b32 exec_lo, exec_lo, s88
	s_delay_alu instid0(SALU_CYCLE_1) | instskip(SKIP_1) | instid1(SALU_CYCLE_1)
	s_and_not1_b32 s77, s77, exec_lo
	s_and_b32 s79, s79, exec_lo
	s_or_b32 s77, s77, s79
.LBB25_1518:                            ;   in Loop: Header=BB25_17 Depth=1
	s_or_b32 exec_lo, exec_lo, s78
	s_delay_alu instid0(SALU_CYCLE_1) | instskip(SKIP_1) | instid1(SALU_CYCLE_1)
	s_and_not1_b32 s76, s76, exec_lo
	s_and_b32 s77, s77, exec_lo
	s_or_b32 s76, s76, s77
.LBB25_1519:                            ;   in Loop: Header=BB25_17 Depth=1
	s_or_b32 exec_lo, exec_lo, s75
	s_delay_alu instid0(SALU_CYCLE_1) | instskip(SKIP_1) | instid1(SALU_CYCLE_1)
	s_and_not1_b32 s74, s74, exec_lo
	s_and_b32 s75, s76, exec_lo
	s_or_b32 s74, s74, s75
.LBB25_1520:                            ;   in Loop: Header=BB25_17 Depth=1
	s_or_b32 exec_lo, exec_lo, s63
	s_delay_alu instid0(SALU_CYCLE_1)
	s_and_b32 s75, s74, exec_lo
                                        ; implicit-def: $vgpr2_vgpr3
.LBB25_1521:                            ;   in Loop: Header=BB25_17 Depth=1
	s_and_not1_saveexec_b32 s62, s62
	s_cbranch_execz .LBB25_1563
; %bb.1522:                             ;   in Loop: Header=BB25_17 Depth=1
	s_mov_b32 s63, exec_lo
                                        ; implicit-def: $vgpr0
	v_cmpx_lt_i16_e32 4, v8
	s_xor_b32 s63, exec_lo, s63
	s_cbranch_execz .LBB25_1544
; %bb.1523:                             ;   in Loop: Header=BB25_17 Depth=1
	s_mov_b32 s74, exec_lo
                                        ; implicit-def: $vgpr0
	v_cmpx_lt_i16_e32 7, v8
	s_xor_b32 s74, exec_lo, s74
	;; [unrolled: 6-line block ×4, first 2 shown]
	s_cbranch_execz .LBB25_1527
; %bb.1526:                             ;   in Loop: Header=BB25_17 Depth=1
	flat_load_b64 v[2:3], v[2:3]
	s_wait_loadcnt_dscnt 0x0
	v_cvt_f32_f64_e32 v0, v[2:3]
                                        ; implicit-def: $vgpr2_vgpr3
.LBB25_1527:                            ;   in Loop: Header=BB25_17 Depth=1
	s_wait_xcnt 0x0
	s_and_not1_saveexec_b32 s77, s77
	s_cbranch_execz .LBB25_1529
; %bb.1528:                             ;   in Loop: Header=BB25_17 Depth=1
	flat_load_b32 v0, v[2:3]
.LBB25_1529:                            ;   in Loop: Header=BB25_17 Depth=1
	s_wait_xcnt 0x0
	s_or_b32 exec_lo, exec_lo, s77
                                        ; implicit-def: $vgpr2_vgpr3
.LBB25_1530:                            ;   in Loop: Header=BB25_17 Depth=1
	s_and_not1_saveexec_b32 s76, s76
	s_cbranch_execz .LBB25_1532
; %bb.1531:                             ;   in Loop: Header=BB25_17 Depth=1
	s_wait_loadcnt_dscnt 0x0
	flat_load_b32 v0, v[2:3]
	s_wait_loadcnt_dscnt 0x0
	v_cvt_f32_f16_e32 v0, v0
.LBB25_1532:                            ;   in Loop: Header=BB25_17 Depth=1
	s_wait_xcnt 0x0
	s_or_b32 exec_lo, exec_lo, s76
                                        ; implicit-def: $vgpr2_vgpr3
.LBB25_1533:                            ;   in Loop: Header=BB25_17 Depth=1
	s_and_not1_saveexec_b32 s74, s74
	s_cbranch_execz .LBB25_1543
; %bb.1534:                             ;   in Loop: Header=BB25_17 Depth=1
	s_mov_b32 s76, exec_lo
                                        ; implicit-def: $vgpr0
	v_cmpx_lt_i16_e32 5, v8
	s_xor_b32 s76, exec_lo, s76
	s_cbranch_execz .LBB25_1540
; %bb.1535:                             ;   in Loop: Header=BB25_17 Depth=1
	s_mov_b32 s77, exec_lo
                                        ; implicit-def: $vgpr0
	v_cmpx_lt_i16_e32 6, v8
	s_xor_b32 s77, exec_lo, s77
	s_cbranch_execz .LBB25_1537
; %bb.1536:                             ;   in Loop: Header=BB25_17 Depth=1
	flat_load_b64 v[2:3], v[2:3]
	s_wait_loadcnt_dscnt 0x0
	v_cvt_f32_f64_e32 v0, v[2:3]
                                        ; implicit-def: $vgpr2_vgpr3
.LBB25_1537:                            ;   in Loop: Header=BB25_17 Depth=1
	s_wait_xcnt 0x0
	s_and_not1_saveexec_b32 s77, s77
	s_cbranch_execz .LBB25_1539
; %bb.1538:                             ;   in Loop: Header=BB25_17 Depth=1
	s_wait_loadcnt_dscnt 0x0
	flat_load_b32 v0, v[2:3]
.LBB25_1539:                            ;   in Loop: Header=BB25_17 Depth=1
	s_wait_xcnt 0x0
	s_or_b32 exec_lo, exec_lo, s77
                                        ; implicit-def: $vgpr2_vgpr3
.LBB25_1540:                            ;   in Loop: Header=BB25_17 Depth=1
	s_and_not1_saveexec_b32 s76, s76
	s_cbranch_execz .LBB25_1542
; %bb.1541:                             ;   in Loop: Header=BB25_17 Depth=1
	s_wait_loadcnt_dscnt 0x0
	flat_load_u16 v0, v[2:3]
	s_wait_loadcnt_dscnt 0x0
	v_cvt_f32_f16_e32 v0, v0
.LBB25_1542:                            ;   in Loop: Header=BB25_17 Depth=1
	s_wait_xcnt 0x0
	s_or_b32 exec_lo, exec_lo, s76
.LBB25_1543:                            ;   in Loop: Header=BB25_17 Depth=1
	s_delay_alu instid0(SALU_CYCLE_1)
	s_or_b32 exec_lo, exec_lo, s74
                                        ; implicit-def: $vgpr2_vgpr3
.LBB25_1544:                            ;   in Loop: Header=BB25_17 Depth=1
	s_and_not1_saveexec_b32 s63, s63
	s_cbranch_execz .LBB25_1562
; %bb.1545:                             ;   in Loop: Header=BB25_17 Depth=1
	s_mov_b32 s74, exec_lo
                                        ; implicit-def: $vgpr0
	v_cmpx_lt_i16_e32 1, v8
	s_xor_b32 s74, exec_lo, s74
	s_cbranch_execz .LBB25_1555
; %bb.1546:                             ;   in Loop: Header=BB25_17 Depth=1
	s_mov_b32 s76, exec_lo
                                        ; implicit-def: $vgpr0
	v_cmpx_lt_i16_e32 2, v8
	s_xor_b32 s76, exec_lo, s76
	;; [unrolled: 6-line block ×3, first 2 shown]
	s_cbranch_execz .LBB25_1549
; %bb.1548:                             ;   in Loop: Header=BB25_17 Depth=1
	flat_load_b64 v[2:3], v[2:3]
	s_wait_loadcnt_dscnt 0x0
	v_xor_b32_e32 v0, v2, v3
	v_cls_i32_e32 v14, v3
	s_delay_alu instid0(VALU_DEP_2) | instskip(NEXT) | instid1(VALU_DEP_1)
	v_ashrrev_i32_e32 v0, 31, v0
	v_add_nc_u32_e32 v0, 32, v0
	s_delay_alu instid0(VALU_DEP_1) | instskip(SKIP_1) | instid1(VALU_DEP_1)
	v_add_min_u32_e64 v0, v14, -1, v0
	s_wait_xcnt 0x0
	v_lshlrev_b64_e32 v[2:3], v0, v[2:3]
	v_sub_nc_u32_e32 v0, 32, v0
	s_delay_alu instid0(VALU_DEP_2) | instskip(NEXT) | instid1(VALU_DEP_1)
	v_min_u32_e32 v2, 1, v2
	v_or_b32_e32 v2, v3, v2
	s_delay_alu instid0(VALU_DEP_1) | instskip(NEXT) | instid1(VALU_DEP_1)
	v_cvt_f32_i32_e32 v2, v2
	v_ldexp_f32 v0, v2, v0
                                        ; implicit-def: $vgpr2_vgpr3
.LBB25_1549:                            ;   in Loop: Header=BB25_17 Depth=1
	s_and_not1_saveexec_b32 s77, s77
	s_cbranch_execz .LBB25_1551
; %bb.1550:                             ;   in Loop: Header=BB25_17 Depth=1
	s_wait_loadcnt_dscnt 0x0
	flat_load_b32 v0, v[2:3]
	s_wait_loadcnt_dscnt 0x0
	v_cvt_f32_i32_e32 v0, v0
.LBB25_1551:                            ;   in Loop: Header=BB25_17 Depth=1
	s_wait_xcnt 0x0
	s_or_b32 exec_lo, exec_lo, s77
                                        ; implicit-def: $vgpr2_vgpr3
.LBB25_1552:                            ;   in Loop: Header=BB25_17 Depth=1
	s_and_not1_saveexec_b32 s76, s76
	s_cbranch_execz .LBB25_1554
; %bb.1553:                             ;   in Loop: Header=BB25_17 Depth=1
	s_wait_loadcnt_dscnt 0x0
	flat_load_i16 v0, v[2:3]
	s_wait_loadcnt_dscnt 0x0
	v_cvt_f32_i32_e32 v0, v0
.LBB25_1554:                            ;   in Loop: Header=BB25_17 Depth=1
	s_wait_xcnt 0x0
	s_or_b32 exec_lo, exec_lo, s76
                                        ; implicit-def: $vgpr2_vgpr3
.LBB25_1555:                            ;   in Loop: Header=BB25_17 Depth=1
	s_and_not1_saveexec_b32 s74, s74
	s_cbranch_execz .LBB25_1561
; %bb.1556:                             ;   in Loop: Header=BB25_17 Depth=1
	s_mov_b32 s76, exec_lo
                                        ; implicit-def: $vgpr0
	v_cmpx_lt_i16_e32 0, v8
	s_xor_b32 s76, exec_lo, s76
	s_cbranch_execz .LBB25_1558
; %bb.1557:                             ;   in Loop: Header=BB25_17 Depth=1
	s_wait_loadcnt_dscnt 0x0
	flat_load_i8 v0, v[2:3]
                                        ; implicit-def: $vgpr2_vgpr3
	s_wait_loadcnt_dscnt 0x0
	v_cvt_f32_i32_e32 v0, v0
.LBB25_1558:                            ;   in Loop: Header=BB25_17 Depth=1
	s_wait_xcnt 0x0
	s_and_not1_saveexec_b32 s76, s76
	s_cbranch_execz .LBB25_1560
; %bb.1559:                             ;   in Loop: Header=BB25_17 Depth=1
	s_wait_loadcnt_dscnt 0x0
	flat_load_u8 v0, v[2:3]
	s_wait_loadcnt_dscnt 0x0
	v_cvt_f32_ubyte0_e32 v0, v0
.LBB25_1560:                            ;   in Loop: Header=BB25_17 Depth=1
	s_wait_xcnt 0x0
	s_or_b32 exec_lo, exec_lo, s76
.LBB25_1561:                            ;   in Loop: Header=BB25_17 Depth=1
	s_delay_alu instid0(SALU_CYCLE_1)
	s_or_b32 exec_lo, exec_lo, s74
.LBB25_1562:                            ;   in Loop: Header=BB25_17 Depth=1
	s_delay_alu instid0(SALU_CYCLE_1) | instskip(NEXT) | instid1(SALU_CYCLE_1)
	s_or_b32 exec_lo, exec_lo, s63
	s_or_b32 s75, s75, exec_lo
.LBB25_1563:                            ;   in Loop: Header=BB25_17 Depth=1
	s_or_b32 exec_lo, exec_lo, s62
	s_mov_b32 s62, -1
	s_mov_b32 s76, 0
	s_mov_b32 s63, 0
	s_and_saveexec_b32 s74, s75
	s_cbranch_execz .LBB25_1569
; %bb.1564:                             ;   in Loop: Header=BB25_17 Depth=1
	s_add_co_i32 s62, s33, s1
	s_mov_b32 s75, 0
	s_add_co_i32 s62, s62, 16
	s_mov_b32 s63, exec_lo
	s_wait_loadcnt_dscnt 0x0
	scratch_store_b32 off, v0, s62 offset:108
	s_wait_xcnt 0x0
	v_mul_lo_u32 v0, v13, v11
	v_and_b32_e32 v13, 0xff, v9
	s_delay_alu instid0(VALU_DEP_2) | instskip(NEXT) | instid1(VALU_DEP_2)
	v_add_nc_u64_e32 v[2:3], v[6:7], v[0:1]
                                        ; implicit-def: $vgpr0
	v_cmpx_lt_i16_e32 10, v13
	s_xor_b32 s63, exec_lo, s63
	s_cbranch_execnz .LBB25_3246
; %bb.1565:                             ;   in Loop: Header=BB25_17 Depth=1
	s_and_not1_saveexec_b32 s63, s63
	s_cbranch_execnz .LBB25_3305
.LBB25_1566:                            ;   in Loop: Header=BB25_17 Depth=1
	s_or_b32 exec_lo, exec_lo, s63
	s_mov_b32 s76, 0
	s_and_saveexec_b32 s63, s75
	s_cbranch_execz .LBB25_1568
.LBB25_1567:                            ;   in Loop: Header=BB25_17 Depth=1
	v_add_nc_u32_e32 v12, 0x200, v12
	s_mov_b32 s76, exec_lo
	s_wait_loadcnt_dscnt 0x0
	scratch_store_b32 off, v0, s62 offset:104
.LBB25_1568:                            ;   in Loop: Header=BB25_17 Depth=1
	s_wait_xcnt 0x0
	s_or_b32 exec_lo, exec_lo, s63
	s_delay_alu instid0(SALU_CYCLE_1)
	s_mov_b32 s63, exec_lo
	s_xor_b32 s62, exec_lo, -1
	s_and_b32 s76, s76, exec_lo
.LBB25_1569:                            ;   in Loop: Header=BB25_17 Depth=1
	s_or_b32 exec_lo, exec_lo, s74
	s_delay_alu instid0(SALU_CYCLE_1)
	s_or_not1_b32 s74, s76, exec_lo
.LBB25_1570:                            ;   in Loop: Header=BB25_17 Depth=1
	s_or_b32 exec_lo, exec_lo, s72
	s_and_saveexec_b32 s72, s74
	s_cbranch_execz .LBB25_3
; %bb.1571:                             ;   in Loop: Header=BB25_17 Depth=1
	s_mov_b32 s76, -1
	s_mov_b32 s77, -1
	s_mov_b32 s75, exec_lo
                                        ; implicit-def: $sgpr73
                                        ; implicit-def: $sgpr74
	v_cmpx_lt_i32_e64 v12, v211
	s_cbranch_execz .LBB25_1681
; %bb.1572:                             ;   in Loop: Header=BB25_17 Depth=1
	v_add_nc_u32_e32 v13, s60, v12
	s_mov_b32 s78, 0
	s_mov_b32 s73, exec_lo
	s_wait_loadcnt_dscnt 0x0
	s_delay_alu instid0(VALU_DEP_1) | instskip(NEXT) | instid1(VALU_DEP_1)
	v_mul_lo_u32 v0, v13, v10
	v_add_nc_u64_e32 v[2:3], v[4:5], v[0:1]
                                        ; implicit-def: $vgpr0
	v_cmpx_lt_i16_e32 10, v8
	s_xor_b32 s73, exec_lo, s73
	s_cbranch_execz .LBB25_1632
; %bb.1573:                             ;   in Loop: Header=BB25_17 Depth=1
	s_mov_b32 s77, 0
	s_mov_b32 s74, exec_lo
                                        ; implicit-def: $vgpr0
	v_cmpx_lt_i16_e32 25, v8
	s_xor_b32 s74, exec_lo, s74
	s_cbranch_execz .LBB25_1605
; %bb.1574:                             ;   in Loop: Header=BB25_17 Depth=1
	s_mov_b32 s78, exec_lo
                                        ; implicit-def: $vgpr0
	v_cmpx_lt_i16_e32 28, v8
	s_xor_b32 s78, exec_lo, s78
	s_cbranch_execz .LBB25_1590
; %bb.1575:                             ;   in Loop: Header=BB25_17 Depth=1
	s_mov_b32 s79, 0
	s_mov_b32 s77, exec_lo
                                        ; implicit-def: $vgpr0
	v_cmpx_lt_i16_e32 43, v8
	s_xor_b32 s77, exec_lo, s77
	s_cbranch_execz .LBB25_1585
; %bb.1576:                             ;   in Loop: Header=BB25_17 Depth=1
	s_mov_b32 s88, exec_lo
                                        ; implicit-def: $vgpr0
	v_cmpx_lt_i16_e32 45, v8
	s_xor_b32 s88, exec_lo, s88
	s_cbranch_execz .LBB25_1580
; %bb.1577:                             ;   in Loop: Header=BB25_17 Depth=1
	s_mov_b32 s89, exec_lo
                                        ; implicit-def: $vgpr0
	v_cmpx_eq_u16_e32 46, v8
	s_cbranch_execz .LBB25_1579
; %bb.1578:                             ;   in Loop: Header=BB25_17 Depth=1
	flat_load_b32 v0, v[2:3]
	s_mov_b32 s79, exec_lo
	s_wait_loadcnt_dscnt 0x0
	v_lshlrev_b32_e32 v0, 16, v0
.LBB25_1579:                            ;   in Loop: Header=BB25_17 Depth=1
	s_wait_xcnt 0x0
	s_or_b32 exec_lo, exec_lo, s89
	s_delay_alu instid0(SALU_CYCLE_1)
	s_and_b32 s79, s79, exec_lo
                                        ; implicit-def: $vgpr2_vgpr3
.LBB25_1580:                            ;   in Loop: Header=BB25_17 Depth=1
	s_and_not1_saveexec_b32 s88, s88
	s_cbranch_execz .LBB25_1584
; %bb.1581:                             ;   in Loop: Header=BB25_17 Depth=1
	s_mov_b32 s90, s79
	s_mov_b32 s89, exec_lo
                                        ; implicit-def: $vgpr0
	v_cmpx_eq_u16_e32 44, v8
	s_cbranch_execz .LBB25_1583
; %bb.1582:                             ;   in Loop: Header=BB25_17 Depth=1
	flat_load_u8 v0, v[2:3]
	s_or_b32 s90, s79, exec_lo
	s_wait_loadcnt_dscnt 0x0
	v_lshlrev_b32_e32 v2, 23, v0
	v_cmp_ne_u32_e32 vcc_lo, 0xff, v0
	s_delay_alu instid0(VALU_DEP_2) | instskip(SKIP_1) | instid1(VALU_DEP_2)
	v_cndmask_b32_e32 v2, 0x7f800001, v2, vcc_lo
	v_cmp_ne_u32_e32 vcc_lo, 0, v0
	v_cndmask_b32_e32 v0, 0x400000, v2, vcc_lo
.LBB25_1583:                            ;   in Loop: Header=BB25_17 Depth=1
	s_or_b32 exec_lo, exec_lo, s89
	s_delay_alu instid0(SALU_CYCLE_1) | instskip(SKIP_1) | instid1(SALU_CYCLE_1)
	s_and_not1_b32 s79, s79, exec_lo
	s_and_b32 s89, s90, exec_lo
	s_or_b32 s79, s79, s89
.LBB25_1584:                            ;   in Loop: Header=BB25_17 Depth=1
	s_or_b32 exec_lo, exec_lo, s88
	s_delay_alu instid0(SALU_CYCLE_1)
	s_and_b32 s79, s79, exec_lo
                                        ; implicit-def: $vgpr2_vgpr3
.LBB25_1585:                            ;   in Loop: Header=BB25_17 Depth=1
	s_and_not1_saveexec_b32 s77, s77
	s_cbranch_execz .LBB25_1589
; %bb.1586:                             ;   in Loop: Header=BB25_17 Depth=1
	s_mov_b32 s89, s79
	s_mov_b32 s88, exec_lo
                                        ; implicit-def: $vgpr0
	v_cmpx_eq_u16_e32 29, v8
	s_cbranch_execz .LBB25_1588
; %bb.1587:                             ;   in Loop: Header=BB25_17 Depth=1
	flat_load_b64 v[2:3], v[2:3]
	s_or_b32 s89, s79, exec_lo
	s_wait_loadcnt_dscnt 0x0
	v_clz_i32_u32_e32 v0, v3
	s_delay_alu instid0(VALU_DEP_1) | instskip(SKIP_1) | instid1(VALU_DEP_1)
	v_min_u32_e32 v0, 32, v0
	s_wait_xcnt 0x0
	v_lshlrev_b64_e32 v[2:3], v0, v[2:3]
	v_sub_nc_u32_e32 v0, 32, v0
	s_delay_alu instid0(VALU_DEP_2) | instskip(NEXT) | instid1(VALU_DEP_1)
	v_min_u32_e32 v2, 1, v2
	v_or_b32_e32 v2, v3, v2
	s_delay_alu instid0(VALU_DEP_1) | instskip(NEXT) | instid1(VALU_DEP_1)
	v_cvt_f32_u32_e32 v2, v2
	v_ldexp_f32 v0, v2, v0
.LBB25_1588:                            ;   in Loop: Header=BB25_17 Depth=1
	s_or_b32 exec_lo, exec_lo, s88
	s_delay_alu instid0(SALU_CYCLE_1) | instskip(SKIP_1) | instid1(SALU_CYCLE_1)
	s_and_not1_b32 s79, s79, exec_lo
	s_and_b32 s88, s89, exec_lo
	s_or_b32 s79, s79, s88
.LBB25_1589:                            ;   in Loop: Header=BB25_17 Depth=1
	s_or_b32 exec_lo, exec_lo, s77
	s_delay_alu instid0(SALU_CYCLE_1)
	s_and_b32 s77, s79, exec_lo
                                        ; implicit-def: $vgpr2_vgpr3
.LBB25_1590:                            ;   in Loop: Header=BB25_17 Depth=1
	s_and_not1_saveexec_b32 s78, s78
	s_cbranch_execz .LBB25_1604
; %bb.1591:                             ;   in Loop: Header=BB25_17 Depth=1
	s_mov_b32 s79, exec_lo
                                        ; implicit-def: $vgpr0
	v_cmpx_lt_i16_e32 26, v8
	s_xor_b32 s79, exec_lo, s79
	s_cbranch_execz .LBB25_1597
; %bb.1592:                             ;   in Loop: Header=BB25_17 Depth=1
	s_mov_b32 s88, exec_lo
                                        ; implicit-def: $vgpr0
	v_cmpx_lt_i16_e32 27, v8
	s_xor_b32 s88, exec_lo, s88
	s_cbranch_execz .LBB25_1594
; %bb.1593:                             ;   in Loop: Header=BB25_17 Depth=1
	flat_load_b32 v0, v[2:3]
                                        ; implicit-def: $vgpr2_vgpr3
	s_wait_loadcnt_dscnt 0x0
	v_cvt_f32_u32_e32 v0, v0
.LBB25_1594:                            ;   in Loop: Header=BB25_17 Depth=1
	s_wait_xcnt 0x0
	s_and_not1_saveexec_b32 s88, s88
	s_cbranch_execz .LBB25_1596
; %bb.1595:                             ;   in Loop: Header=BB25_17 Depth=1
	flat_load_u16 v0, v[2:3]
	s_wait_loadcnt_dscnt 0x0
	v_cvt_f32_u32_e32 v0, v0
.LBB25_1596:                            ;   in Loop: Header=BB25_17 Depth=1
	s_wait_xcnt 0x0
	s_or_b32 exec_lo, exec_lo, s88
                                        ; implicit-def: $vgpr2_vgpr3
.LBB25_1597:                            ;   in Loop: Header=BB25_17 Depth=1
	s_and_not1_saveexec_b32 s79, s79
	s_cbranch_execz .LBB25_1603
; %bb.1598:                             ;   in Loop: Header=BB25_17 Depth=1
	flat_load_u8 v2, v[2:3]
	s_mov_b32 s88, 0
	s_mov_b32 s89, exec_lo
	s_wait_loadcnt_dscnt 0x0
	v_cmpx_lt_i16_e32 0x7f, v2
	s_xor_b32 s89, exec_lo, s89
	s_cbranch_execnz .LBB25_3606
; %bb.1599:                             ;   in Loop: Header=BB25_17 Depth=1
	s_or_saveexec_b32 s89, s89
	v_mov_b32_e32 v0, 0x7f800001
	s_xor_b32 exec_lo, exec_lo, s89
	s_cbranch_execnz .LBB25_3609
.LBB25_1600:                            ;   in Loop: Header=BB25_17 Depth=1
	s_or_b32 exec_lo, exec_lo, s89
	s_and_saveexec_b32 s89, s88
	s_cbranch_execz .LBB25_1602
.LBB25_1601:                            ;   in Loop: Header=BB25_17 Depth=1
	v_and_b32_e32 v0, 0xffff, v2
	s_delay_alu instid0(VALU_DEP_1) | instskip(SKIP_1) | instid1(VALU_DEP_2)
	v_and_b32_e32 v3, 7, v0
	v_bfe_u32 v16, v0, 3, 4
	v_clz_i32_u32_e32 v14, v3
	s_delay_alu instid0(VALU_DEP_2) | instskip(NEXT) | instid1(VALU_DEP_2)
	v_cmp_eq_u32_e32 vcc_lo, 0, v16
	v_min_u32_e32 v14, 32, v14
	s_delay_alu instid0(VALU_DEP_1) | instskip(NEXT) | instid1(VALU_DEP_1)
	v_subrev_nc_u32_e32 v15, 28, v14
	v_dual_lshlrev_b32 v0, v15, v0 :: v_dual_sub_nc_u32 v14, 29, v14
	s_delay_alu instid0(VALU_DEP_1) | instskip(NEXT) | instid1(VALU_DEP_1)
	v_dual_lshlrev_b32 v2, 24, v2 :: v_dual_bitop2_b32 v0, 7, v0 bitop3:0x40
	v_dual_cndmask_b32 v0, v3, v0, vcc_lo :: v_dual_cndmask_b32 v14, v16, v14, vcc_lo
	s_delay_alu instid0(VALU_DEP_2) | instskip(NEXT) | instid1(VALU_DEP_2)
	v_and_b32_e32 v2, 0x80000000, v2
	v_lshlrev_b32_e32 v0, 20, v0
	s_delay_alu instid0(VALU_DEP_3) | instskip(NEXT) | instid1(VALU_DEP_1)
	v_lshl_add_u32 v3, v14, 23, 0x3b800000
	v_or3_b32 v0, v2, v3, v0
.LBB25_1602:                            ;   in Loop: Header=BB25_17 Depth=1
	s_or_b32 exec_lo, exec_lo, s89
.LBB25_1603:                            ;   in Loop: Header=BB25_17 Depth=1
	s_delay_alu instid0(SALU_CYCLE_1) | instskip(NEXT) | instid1(SALU_CYCLE_1)
	s_or_b32 exec_lo, exec_lo, s79
	s_or_b32 s77, s77, exec_lo
.LBB25_1604:                            ;   in Loop: Header=BB25_17 Depth=1
	s_or_b32 exec_lo, exec_lo, s78
	s_delay_alu instid0(SALU_CYCLE_1)
	s_and_b32 s77, s77, exec_lo
                                        ; implicit-def: $vgpr2_vgpr3
.LBB25_1605:                            ;   in Loop: Header=BB25_17 Depth=1
	s_and_not1_saveexec_b32 s74, s74
	s_cbranch_execz .LBB25_1631
; %bb.1606:                             ;   in Loop: Header=BB25_17 Depth=1
	s_mov_b32 s79, s77
	s_mov_b32 s78, exec_lo
                                        ; implicit-def: $vgpr0
	v_cmpx_lt_i16_e32 22, v8
	s_xor_b32 s78, exec_lo, s78
	s_cbranch_execz .LBB25_1620
; %bb.1607:                             ;   in Loop: Header=BB25_17 Depth=1
	s_mov_b32 s79, exec_lo
                                        ; implicit-def: $vgpr0
	v_cmpx_lt_i16_e32 23, v8
	s_xor_b32 s79, exec_lo, s79
	s_cbranch_execz .LBB25_1617
; %bb.1608:                             ;   in Loop: Header=BB25_17 Depth=1
	s_mov_b32 s88, exec_lo
                                        ; implicit-def: $vgpr0
	v_cmpx_lt_i16_e32 24, v8
	s_xor_b32 s88, exec_lo, s88
	s_cbranch_execz .LBB25_1614
; %bb.1609:                             ;   in Loop: Header=BB25_17 Depth=1
	flat_load_u8 v2, v[2:3]
	s_mov_b32 s89, 0
	s_mov_b32 s90, exec_lo
	s_wait_loadcnt_dscnt 0x0
	v_cmpx_lt_i16_e32 0x7f, v2
	s_xor_b32 s90, exec_lo, s90
	s_cbranch_execnz .LBB25_3618
; %bb.1610:                             ;   in Loop: Header=BB25_17 Depth=1
	s_or_saveexec_b32 s90, s90
	v_mov_b32_e32 v0, 0x7f800001
	s_xor_b32 exec_lo, exec_lo, s90
	s_cbranch_execnz .LBB25_3621
.LBB25_1611:                            ;   in Loop: Header=BB25_17 Depth=1
	s_or_b32 exec_lo, exec_lo, s90
	s_and_saveexec_b32 s90, s89
	s_cbranch_execz .LBB25_1613
.LBB25_1612:                            ;   in Loop: Header=BB25_17 Depth=1
	v_and_b32_e32 v0, 0xffff, v2
	s_delay_alu instid0(VALU_DEP_1) | instskip(SKIP_1) | instid1(VALU_DEP_2)
	v_and_b32_e32 v3, 3, v0
	v_bfe_u32 v16, v0, 2, 5
	v_clz_i32_u32_e32 v14, v3
	s_delay_alu instid0(VALU_DEP_2) | instskip(NEXT) | instid1(VALU_DEP_2)
	v_cmp_eq_u32_e32 vcc_lo, 0, v16
	v_min_u32_e32 v14, 32, v14
	s_delay_alu instid0(VALU_DEP_1) | instskip(NEXT) | instid1(VALU_DEP_1)
	v_subrev_nc_u32_e32 v15, 29, v14
	v_dual_lshlrev_b32 v0, v15, v0 :: v_dual_sub_nc_u32 v14, 30, v14
	s_delay_alu instid0(VALU_DEP_1) | instskip(NEXT) | instid1(VALU_DEP_1)
	v_dual_lshlrev_b32 v2, 24, v2 :: v_dual_bitop2_b32 v0, 3, v0 bitop3:0x40
	v_dual_cndmask_b32 v0, v3, v0, vcc_lo :: v_dual_cndmask_b32 v14, v16, v14, vcc_lo
	s_delay_alu instid0(VALU_DEP_2) | instskip(NEXT) | instid1(VALU_DEP_2)
	v_and_b32_e32 v2, 0x80000000, v2
	v_lshlrev_b32_e32 v0, 21, v0
	s_delay_alu instid0(VALU_DEP_3) | instskip(NEXT) | instid1(VALU_DEP_1)
	v_lshl_add_u32 v3, v14, 23, 0x37800000
	v_or3_b32 v0, v2, v3, v0
.LBB25_1613:                            ;   in Loop: Header=BB25_17 Depth=1
	s_or_b32 exec_lo, exec_lo, s90
                                        ; implicit-def: $vgpr2_vgpr3
.LBB25_1614:                            ;   in Loop: Header=BB25_17 Depth=1
	s_and_not1_saveexec_b32 s88, s88
	s_cbranch_execz .LBB25_1616
; %bb.1615:                             ;   in Loop: Header=BB25_17 Depth=1
	flat_load_u8 v0, v[2:3]
	s_wait_loadcnt_dscnt 0x0
	v_lshlrev_b32_e32 v0, 24, v0
	s_wait_xcnt 0x0
	s_delay_alu instid0(VALU_DEP_1) | instskip(NEXT) | instid1(VALU_DEP_1)
	v_and_b32_e32 v2, 0x7f000000, v0
	v_clz_i32_u32_e32 v3, v2
	v_cmp_ne_u32_e32 vcc_lo, 0, v2
	v_add_nc_u32_e32 v15, 0x1000000, v2
	s_delay_alu instid0(VALU_DEP_3) | instskip(NEXT) | instid1(VALU_DEP_1)
	v_min_u32_e32 v3, 32, v3
	v_sub_nc_u32_e64 v3, v3, 4 clamp
	s_delay_alu instid0(VALU_DEP_1) | instskip(NEXT) | instid1(VALU_DEP_1)
	v_dual_lshlrev_b32 v14, v3, v2 :: v_dual_lshlrev_b32 v3, 23, v3
	v_lshrrev_b32_e32 v14, 4, v14
	s_delay_alu instid0(VALU_DEP_1) | instskip(SKIP_1) | instid1(VALU_DEP_2)
	v_sub_nc_u32_e32 v3, v14, v3
	v_ashrrev_i32_e32 v14, 8, v15
	v_add_nc_u32_e32 v3, 0x3c000000, v3
	s_delay_alu instid0(VALU_DEP_1) | instskip(NEXT) | instid1(VALU_DEP_1)
	v_and_or_b32 v3, 0x7f800000, v14, v3
	v_cndmask_b32_e32 v2, 0, v3, vcc_lo
	s_delay_alu instid0(VALU_DEP_1)
	v_and_or_b32 v0, 0x80000000, v0, v2
.LBB25_1616:                            ;   in Loop: Header=BB25_17 Depth=1
	s_or_b32 exec_lo, exec_lo, s88
                                        ; implicit-def: $vgpr2_vgpr3
.LBB25_1617:                            ;   in Loop: Header=BB25_17 Depth=1
	s_and_not1_saveexec_b32 s79, s79
	s_cbranch_execz .LBB25_1619
; %bb.1618:                             ;   in Loop: Header=BB25_17 Depth=1
	flat_load_u8 v0, v[2:3]
	s_wait_loadcnt_dscnt 0x0
	v_lshlrev_b32_e32 v2, 25, v0
	v_lshlrev_b16 v0, 8, v0
	s_delay_alu instid0(VALU_DEP_1) | instskip(SKIP_1) | instid1(VALU_DEP_2)
	v_and_or_b32 v14, 0x7f00, v0, 0.5
	v_bfe_i32 v0, v0, 0, 16
	v_add_f32_e32 v14, -0.5, v14
	v_lshrrev_b32_e32 v3, 4, v2
	v_cmp_gt_u32_e32 vcc_lo, 0x8000000, v2
	s_delay_alu instid0(VALU_DEP_2) | instskip(NEXT) | instid1(VALU_DEP_1)
	v_or_b32_e32 v3, 0x70000000, v3
	v_mul_f32_e32 v3, 0x7800000, v3
	s_delay_alu instid0(VALU_DEP_1) | instskip(NEXT) | instid1(VALU_DEP_1)
	v_cndmask_b32_e32 v2, v3, v14, vcc_lo
	v_and_or_b32 v0, 0x80000000, v0, v2
.LBB25_1619:                            ;   in Loop: Header=BB25_17 Depth=1
	s_or_b32 exec_lo, exec_lo, s79
	s_delay_alu instid0(SALU_CYCLE_1)
	s_or_b32 s79, s77, exec_lo
                                        ; implicit-def: $vgpr2_vgpr3
.LBB25_1620:                            ;   in Loop: Header=BB25_17 Depth=1
	s_and_not1_saveexec_b32 s78, s78
	s_cbranch_execz .LBB25_1630
; %bb.1621:                             ;   in Loop: Header=BB25_17 Depth=1
	s_mov_b32 s88, s79
	s_mov_b32 s89, exec_lo
                                        ; implicit-def: $vgpr0
	v_cmpx_lt_i16_e32 14, v8
	s_xor_b32 s89, exec_lo, s89
	s_cbranch_execz .LBB25_1625
; %bb.1622:                             ;   in Loop: Header=BB25_17 Depth=1
	s_mov_b32 s88, s79
	s_mov_b32 s90, exec_lo
                                        ; implicit-def: $vgpr0
	v_cmpx_eq_u16_e32 15, v8
	s_cbranch_execz .LBB25_1624
; %bb.1623:                             ;   in Loop: Header=BB25_17 Depth=1
	flat_load_u16 v0, v[2:3]
	s_or_b32 s88, s79, exec_lo
	s_wait_loadcnt_dscnt 0x0
	v_lshlrev_b32_e32 v0, 16, v0
.LBB25_1624:                            ;   in Loop: Header=BB25_17 Depth=1
	s_wait_xcnt 0x0
	s_or_b32 exec_lo, exec_lo, s90
	s_delay_alu instid0(SALU_CYCLE_1) | instskip(SKIP_1) | instid1(SALU_CYCLE_1)
	s_and_not1_b32 s90, s79, exec_lo
	s_and_b32 s88, s88, exec_lo
                                        ; implicit-def: $vgpr2_vgpr3
	s_or_b32 s88, s90, s88
.LBB25_1625:                            ;   in Loop: Header=BB25_17 Depth=1
	s_and_not1_saveexec_b32 s89, s89
	s_cbranch_execz .LBB25_1629
; %bb.1626:                             ;   in Loop: Header=BB25_17 Depth=1
	s_mov_b32 s90, s88
	s_mov_b32 s91, exec_lo
                                        ; implicit-def: $vgpr0
	v_cmpx_eq_u16_e32 11, v8
	s_cbranch_execz .LBB25_1628
; %bb.1627:                             ;   in Loop: Header=BB25_17 Depth=1
	flat_load_u8 v0, v[2:3]
	s_or_b32 s90, s88, exec_lo
	s_wait_loadcnt_dscnt 0x0
	v_cmp_ne_u16_e32 vcc_lo, 0, v0
	v_cndmask_b32_e64 v0, 0, 1.0, vcc_lo
.LBB25_1628:                            ;   in Loop: Header=BB25_17 Depth=1
	s_wait_xcnt 0x0
	s_or_b32 exec_lo, exec_lo, s91
	s_delay_alu instid0(SALU_CYCLE_1) | instskip(SKIP_1) | instid1(SALU_CYCLE_1)
	s_and_not1_b32 s88, s88, exec_lo
	s_and_b32 s90, s90, exec_lo
	s_or_b32 s88, s88, s90
.LBB25_1629:                            ;   in Loop: Header=BB25_17 Depth=1
	s_or_b32 exec_lo, exec_lo, s89
	s_delay_alu instid0(SALU_CYCLE_1) | instskip(SKIP_1) | instid1(SALU_CYCLE_1)
	s_and_not1_b32 s79, s79, exec_lo
	s_and_b32 s88, s88, exec_lo
	s_or_b32 s79, s79, s88
.LBB25_1630:                            ;   in Loop: Header=BB25_17 Depth=1
	s_or_b32 exec_lo, exec_lo, s78
	s_delay_alu instid0(SALU_CYCLE_1) | instskip(SKIP_1) | instid1(SALU_CYCLE_1)
	s_and_not1_b32 s77, s77, exec_lo
	s_and_b32 s78, s79, exec_lo
	s_or_b32 s77, s77, s78
.LBB25_1631:                            ;   in Loop: Header=BB25_17 Depth=1
	s_or_b32 exec_lo, exec_lo, s74
	s_delay_alu instid0(SALU_CYCLE_1)
	s_and_b32 s78, s77, exec_lo
                                        ; implicit-def: $vgpr2_vgpr3
.LBB25_1632:                            ;   in Loop: Header=BB25_17 Depth=1
	s_and_not1_saveexec_b32 s73, s73
	s_cbranch_execz .LBB25_1674
; %bb.1633:                             ;   in Loop: Header=BB25_17 Depth=1
	s_mov_b32 s74, exec_lo
                                        ; implicit-def: $vgpr0
	v_cmpx_lt_i16_e32 4, v8
	s_xor_b32 s74, exec_lo, s74
	s_cbranch_execz .LBB25_1655
; %bb.1634:                             ;   in Loop: Header=BB25_17 Depth=1
	s_mov_b32 s77, exec_lo
                                        ; implicit-def: $vgpr0
	v_cmpx_lt_i16_e32 7, v8
	s_xor_b32 s77, exec_lo, s77
	;; [unrolled: 6-line block ×4, first 2 shown]
	s_cbranch_execz .LBB25_1638
; %bb.1637:                             ;   in Loop: Header=BB25_17 Depth=1
	flat_load_b64 v[2:3], v[2:3]
	s_wait_loadcnt_dscnt 0x0
	v_cvt_f32_f64_e32 v0, v[2:3]
                                        ; implicit-def: $vgpr2_vgpr3
.LBB25_1638:                            ;   in Loop: Header=BB25_17 Depth=1
	s_wait_xcnt 0x0
	s_and_not1_saveexec_b32 s88, s88
	s_cbranch_execz .LBB25_1640
; %bb.1639:                             ;   in Loop: Header=BB25_17 Depth=1
	flat_load_b32 v0, v[2:3]
.LBB25_1640:                            ;   in Loop: Header=BB25_17 Depth=1
	s_wait_xcnt 0x0
	s_or_b32 exec_lo, exec_lo, s88
                                        ; implicit-def: $vgpr2_vgpr3
.LBB25_1641:                            ;   in Loop: Header=BB25_17 Depth=1
	s_and_not1_saveexec_b32 s79, s79
	s_cbranch_execz .LBB25_1643
; %bb.1642:                             ;   in Loop: Header=BB25_17 Depth=1
	s_wait_loadcnt_dscnt 0x0
	flat_load_b32 v0, v[2:3]
	s_wait_loadcnt_dscnt 0x0
	v_cvt_f32_f16_e32 v0, v0
.LBB25_1643:                            ;   in Loop: Header=BB25_17 Depth=1
	s_wait_xcnt 0x0
	s_or_b32 exec_lo, exec_lo, s79
                                        ; implicit-def: $vgpr2_vgpr3
.LBB25_1644:                            ;   in Loop: Header=BB25_17 Depth=1
	s_and_not1_saveexec_b32 s77, s77
	s_cbranch_execz .LBB25_1654
; %bb.1645:                             ;   in Loop: Header=BB25_17 Depth=1
	s_mov_b32 s79, exec_lo
                                        ; implicit-def: $vgpr0
	v_cmpx_lt_i16_e32 5, v8
	s_xor_b32 s79, exec_lo, s79
	s_cbranch_execz .LBB25_1651
; %bb.1646:                             ;   in Loop: Header=BB25_17 Depth=1
	s_mov_b32 s88, exec_lo
                                        ; implicit-def: $vgpr0
	v_cmpx_lt_i16_e32 6, v8
	s_xor_b32 s88, exec_lo, s88
	s_cbranch_execz .LBB25_1648
; %bb.1647:                             ;   in Loop: Header=BB25_17 Depth=1
	flat_load_b64 v[2:3], v[2:3]
	s_wait_loadcnt_dscnt 0x0
	v_cvt_f32_f64_e32 v0, v[2:3]
                                        ; implicit-def: $vgpr2_vgpr3
.LBB25_1648:                            ;   in Loop: Header=BB25_17 Depth=1
	s_wait_xcnt 0x0
	s_and_not1_saveexec_b32 s88, s88
	s_cbranch_execz .LBB25_1650
; %bb.1649:                             ;   in Loop: Header=BB25_17 Depth=1
	s_wait_loadcnt_dscnt 0x0
	flat_load_b32 v0, v[2:3]
.LBB25_1650:                            ;   in Loop: Header=BB25_17 Depth=1
	s_wait_xcnt 0x0
	s_or_b32 exec_lo, exec_lo, s88
                                        ; implicit-def: $vgpr2_vgpr3
.LBB25_1651:                            ;   in Loop: Header=BB25_17 Depth=1
	s_and_not1_saveexec_b32 s79, s79
	s_cbranch_execz .LBB25_1653
; %bb.1652:                             ;   in Loop: Header=BB25_17 Depth=1
	s_wait_loadcnt_dscnt 0x0
	flat_load_u16 v0, v[2:3]
	s_wait_loadcnt_dscnt 0x0
	v_cvt_f32_f16_e32 v0, v0
.LBB25_1653:                            ;   in Loop: Header=BB25_17 Depth=1
	s_wait_xcnt 0x0
	s_or_b32 exec_lo, exec_lo, s79
.LBB25_1654:                            ;   in Loop: Header=BB25_17 Depth=1
	s_delay_alu instid0(SALU_CYCLE_1)
	s_or_b32 exec_lo, exec_lo, s77
                                        ; implicit-def: $vgpr2_vgpr3
.LBB25_1655:                            ;   in Loop: Header=BB25_17 Depth=1
	s_and_not1_saveexec_b32 s74, s74
	s_cbranch_execz .LBB25_1673
; %bb.1656:                             ;   in Loop: Header=BB25_17 Depth=1
	s_mov_b32 s77, exec_lo
                                        ; implicit-def: $vgpr0
	v_cmpx_lt_i16_e32 1, v8
	s_xor_b32 s77, exec_lo, s77
	s_cbranch_execz .LBB25_1666
; %bb.1657:                             ;   in Loop: Header=BB25_17 Depth=1
	s_mov_b32 s79, exec_lo
                                        ; implicit-def: $vgpr0
	v_cmpx_lt_i16_e32 2, v8
	s_xor_b32 s79, exec_lo, s79
	;; [unrolled: 6-line block ×3, first 2 shown]
	s_cbranch_execz .LBB25_1660
; %bb.1659:                             ;   in Loop: Header=BB25_17 Depth=1
	flat_load_b64 v[2:3], v[2:3]
	s_wait_loadcnt_dscnt 0x0
	v_xor_b32_e32 v0, v2, v3
	v_cls_i32_e32 v14, v3
	s_delay_alu instid0(VALU_DEP_2) | instskip(NEXT) | instid1(VALU_DEP_1)
	v_ashrrev_i32_e32 v0, 31, v0
	v_add_nc_u32_e32 v0, 32, v0
	s_delay_alu instid0(VALU_DEP_1) | instskip(SKIP_1) | instid1(VALU_DEP_1)
	v_add_min_u32_e64 v0, v14, -1, v0
	s_wait_xcnt 0x0
	v_lshlrev_b64_e32 v[2:3], v0, v[2:3]
	v_sub_nc_u32_e32 v0, 32, v0
	s_delay_alu instid0(VALU_DEP_2) | instskip(NEXT) | instid1(VALU_DEP_1)
	v_min_u32_e32 v2, 1, v2
	v_or_b32_e32 v2, v3, v2
	s_delay_alu instid0(VALU_DEP_1) | instskip(NEXT) | instid1(VALU_DEP_1)
	v_cvt_f32_i32_e32 v2, v2
	v_ldexp_f32 v0, v2, v0
                                        ; implicit-def: $vgpr2_vgpr3
.LBB25_1660:                            ;   in Loop: Header=BB25_17 Depth=1
	s_and_not1_saveexec_b32 s88, s88
	s_cbranch_execz .LBB25_1662
; %bb.1661:                             ;   in Loop: Header=BB25_17 Depth=1
	s_wait_loadcnt_dscnt 0x0
	flat_load_b32 v0, v[2:3]
	s_wait_loadcnt_dscnt 0x0
	v_cvt_f32_i32_e32 v0, v0
.LBB25_1662:                            ;   in Loop: Header=BB25_17 Depth=1
	s_wait_xcnt 0x0
	s_or_b32 exec_lo, exec_lo, s88
                                        ; implicit-def: $vgpr2_vgpr3
.LBB25_1663:                            ;   in Loop: Header=BB25_17 Depth=1
	s_and_not1_saveexec_b32 s79, s79
	s_cbranch_execz .LBB25_1665
; %bb.1664:                             ;   in Loop: Header=BB25_17 Depth=1
	s_wait_loadcnt_dscnt 0x0
	flat_load_i16 v0, v[2:3]
	s_wait_loadcnt_dscnt 0x0
	v_cvt_f32_i32_e32 v0, v0
.LBB25_1665:                            ;   in Loop: Header=BB25_17 Depth=1
	s_wait_xcnt 0x0
	s_or_b32 exec_lo, exec_lo, s79
                                        ; implicit-def: $vgpr2_vgpr3
.LBB25_1666:                            ;   in Loop: Header=BB25_17 Depth=1
	s_and_not1_saveexec_b32 s77, s77
	s_cbranch_execz .LBB25_1672
; %bb.1667:                             ;   in Loop: Header=BB25_17 Depth=1
	s_mov_b32 s79, exec_lo
                                        ; implicit-def: $vgpr0
	v_cmpx_lt_i16_e32 0, v8
	s_xor_b32 s79, exec_lo, s79
	s_cbranch_execz .LBB25_1669
; %bb.1668:                             ;   in Loop: Header=BB25_17 Depth=1
	s_wait_loadcnt_dscnt 0x0
	flat_load_i8 v0, v[2:3]
                                        ; implicit-def: $vgpr2_vgpr3
	s_wait_loadcnt_dscnt 0x0
	v_cvt_f32_i32_e32 v0, v0
.LBB25_1669:                            ;   in Loop: Header=BB25_17 Depth=1
	s_wait_xcnt 0x0
	s_and_not1_saveexec_b32 s79, s79
	s_cbranch_execz .LBB25_1671
; %bb.1670:                             ;   in Loop: Header=BB25_17 Depth=1
	s_wait_loadcnt_dscnt 0x0
	flat_load_u8 v0, v[2:3]
	s_wait_loadcnt_dscnt 0x0
	v_cvt_f32_ubyte0_e32 v0, v0
.LBB25_1671:                            ;   in Loop: Header=BB25_17 Depth=1
	s_wait_xcnt 0x0
	s_or_b32 exec_lo, exec_lo, s79
.LBB25_1672:                            ;   in Loop: Header=BB25_17 Depth=1
	s_delay_alu instid0(SALU_CYCLE_1)
	s_or_b32 exec_lo, exec_lo, s77
.LBB25_1673:                            ;   in Loop: Header=BB25_17 Depth=1
	s_delay_alu instid0(SALU_CYCLE_1) | instskip(NEXT) | instid1(SALU_CYCLE_1)
	s_or_b32 exec_lo, exec_lo, s74
	s_or_b32 s78, s78, exec_lo
.LBB25_1674:                            ;   in Loop: Header=BB25_17 Depth=1
	s_or_b32 exec_lo, exec_lo, s73
	s_mov_b32 s73, -1
	s_mov_b32 s79, 0
	s_mov_b32 s74, 0
	s_and_saveexec_b32 s77, s78
	s_cbranch_execz .LBB25_1680
; %bb.1675:                             ;   in Loop: Header=BB25_17 Depth=1
	s_add_co_i32 s73, s33, s1
	s_mov_b32 s78, 0
	s_add_co_i32 s73, s73, 16
	s_mov_b32 s74, exec_lo
	s_wait_loadcnt_dscnt 0x0
	scratch_store_b32 off, v0, s73 offset:116
	s_wait_xcnt 0x0
	v_mul_lo_u32 v0, v13, v11
	v_and_b32_e32 v13, 0xff, v9
	s_delay_alu instid0(VALU_DEP_2) | instskip(NEXT) | instid1(VALU_DEP_2)
	v_add_nc_u64_e32 v[2:3], v[6:7], v[0:1]
                                        ; implicit-def: $vgpr0
	v_cmpx_lt_i16_e32 10, v13
	s_xor_b32 s74, exec_lo, s74
	s_cbranch_execnz .LBB25_3362
; %bb.1676:                             ;   in Loop: Header=BB25_17 Depth=1
	s_and_not1_saveexec_b32 s74, s74
	s_cbranch_execnz .LBB25_3421
.LBB25_1677:                            ;   in Loop: Header=BB25_17 Depth=1
	s_or_b32 exec_lo, exec_lo, s74
	s_mov_b32 s79, 0
	s_and_saveexec_b32 s74, s78
	s_cbranch_execz .LBB25_1679
.LBB25_1678:                            ;   in Loop: Header=BB25_17 Depth=1
	v_add_nc_u32_e32 v12, 0x200, v12
	s_mov_b32 s79, exec_lo
	s_wait_loadcnt_dscnt 0x0
	scratch_store_b32 off, v0, s73 offset:112
.LBB25_1679:                            ;   in Loop: Header=BB25_17 Depth=1
	s_wait_xcnt 0x0
	s_or_b32 exec_lo, exec_lo, s74
	s_delay_alu instid0(SALU_CYCLE_1)
	s_mov_b32 s74, exec_lo
	s_xor_b32 s73, exec_lo, -1
	s_and_b32 s79, s79, exec_lo
.LBB25_1680:                            ;   in Loop: Header=BB25_17 Depth=1
	s_or_b32 exec_lo, exec_lo, s77
	s_delay_alu instid0(SALU_CYCLE_1)
	s_or_not1_b32 s77, s79, exec_lo
.LBB25_1681:                            ;   in Loop: Header=BB25_17 Depth=1
	s_or_b32 exec_lo, exec_lo, s75
	s_and_saveexec_b32 s75, s77
	s_cbranch_execz .LBB25_2
; %bb.1682:                             ;   in Loop: Header=BB25_17 Depth=1
	s_mov_b32 s78, -1
	s_mov_b32 s77, exec_lo
                                        ; implicit-def: $sgpr88
                                        ; implicit-def: $sgpr89
	v_cmpx_lt_i32_e64 v12, v211
	s_cbranch_execz .LBB25_1792
; %bb.1683:                             ;   in Loop: Header=BB25_17 Depth=1
	v_add_nc_u32_e32 v13, s60, v12
	s_mov_b32 s79, 0
	s_mov_b32 s78, exec_lo
	s_wait_loadcnt_dscnt 0x0
	s_delay_alu instid0(VALU_DEP_1) | instskip(NEXT) | instid1(VALU_DEP_1)
	v_mul_lo_u32 v0, v13, v10
	v_add_nc_u64_e32 v[2:3], v[4:5], v[0:1]
                                        ; implicit-def: $vgpr0
	v_cmpx_lt_i16_e32 10, v8
	s_xor_b32 s78, exec_lo, s78
	s_cbranch_execz .LBB25_1743
; %bb.1684:                             ;   in Loop: Header=BB25_17 Depth=1
	s_mov_b32 s88, 0
	s_mov_b32 s79, exec_lo
                                        ; implicit-def: $vgpr0
	v_cmpx_lt_i16_e32 25, v8
	s_xor_b32 s79, exec_lo, s79
	s_cbranch_execz .LBB25_1716
; %bb.1685:                             ;   in Loop: Header=BB25_17 Depth=1
	s_mov_b32 s89, exec_lo
                                        ; implicit-def: $vgpr0
	v_cmpx_lt_i16_e32 28, v8
	s_xor_b32 s89, exec_lo, s89
	s_cbranch_execz .LBB25_1701
; %bb.1686:                             ;   in Loop: Header=BB25_17 Depth=1
	s_mov_b32 s90, 0
	s_mov_b32 s88, exec_lo
                                        ; implicit-def: $vgpr0
	v_cmpx_lt_i16_e32 43, v8
	s_xor_b32 s88, exec_lo, s88
	s_cbranch_execz .LBB25_1696
; %bb.1687:                             ;   in Loop: Header=BB25_17 Depth=1
	s_mov_b32 s91, exec_lo
                                        ; implicit-def: $vgpr0
	v_cmpx_lt_i16_e32 45, v8
	s_xor_b32 s91, exec_lo, s91
	s_cbranch_execz .LBB25_1691
; %bb.1688:                             ;   in Loop: Header=BB25_17 Depth=1
	s_mov_b32 s92, exec_lo
                                        ; implicit-def: $vgpr0
	v_cmpx_eq_u16_e32 46, v8
	s_cbranch_execz .LBB25_1690
; %bb.1689:                             ;   in Loop: Header=BB25_17 Depth=1
	flat_load_b32 v0, v[2:3]
	s_mov_b32 s90, exec_lo
	s_wait_loadcnt_dscnt 0x0
	v_lshlrev_b32_e32 v0, 16, v0
.LBB25_1690:                            ;   in Loop: Header=BB25_17 Depth=1
	s_wait_xcnt 0x0
	s_or_b32 exec_lo, exec_lo, s92
	s_delay_alu instid0(SALU_CYCLE_1)
	s_and_b32 s90, s90, exec_lo
                                        ; implicit-def: $vgpr2_vgpr3
.LBB25_1691:                            ;   in Loop: Header=BB25_17 Depth=1
	s_and_not1_saveexec_b32 s91, s91
	s_cbranch_execz .LBB25_1695
; %bb.1692:                             ;   in Loop: Header=BB25_17 Depth=1
	s_mov_b32 s93, s90
	s_mov_b32 s92, exec_lo
                                        ; implicit-def: $vgpr0
	v_cmpx_eq_u16_e32 44, v8
	s_cbranch_execz .LBB25_1694
; %bb.1693:                             ;   in Loop: Header=BB25_17 Depth=1
	flat_load_u8 v0, v[2:3]
	s_or_b32 s93, s90, exec_lo
	s_wait_loadcnt_dscnt 0x0
	v_lshlrev_b32_e32 v2, 23, v0
	v_cmp_ne_u32_e32 vcc_lo, 0xff, v0
	s_delay_alu instid0(VALU_DEP_2) | instskip(SKIP_1) | instid1(VALU_DEP_2)
	v_cndmask_b32_e32 v2, 0x7f800001, v2, vcc_lo
	v_cmp_ne_u32_e32 vcc_lo, 0, v0
	v_cndmask_b32_e32 v0, 0x400000, v2, vcc_lo
.LBB25_1694:                            ;   in Loop: Header=BB25_17 Depth=1
	s_or_b32 exec_lo, exec_lo, s92
	s_delay_alu instid0(SALU_CYCLE_1) | instskip(SKIP_1) | instid1(SALU_CYCLE_1)
	s_and_not1_b32 s90, s90, exec_lo
	s_and_b32 s92, s93, exec_lo
	s_or_b32 s90, s90, s92
.LBB25_1695:                            ;   in Loop: Header=BB25_17 Depth=1
	s_or_b32 exec_lo, exec_lo, s91
	s_delay_alu instid0(SALU_CYCLE_1)
	s_and_b32 s90, s90, exec_lo
                                        ; implicit-def: $vgpr2_vgpr3
.LBB25_1696:                            ;   in Loop: Header=BB25_17 Depth=1
	s_and_not1_saveexec_b32 s88, s88
	s_cbranch_execz .LBB25_1700
; %bb.1697:                             ;   in Loop: Header=BB25_17 Depth=1
	s_mov_b32 s92, s90
	s_mov_b32 s91, exec_lo
                                        ; implicit-def: $vgpr0
	v_cmpx_eq_u16_e32 29, v8
	s_cbranch_execz .LBB25_1699
; %bb.1698:                             ;   in Loop: Header=BB25_17 Depth=1
	flat_load_b64 v[2:3], v[2:3]
	s_or_b32 s92, s90, exec_lo
	s_wait_loadcnt_dscnt 0x0
	v_clz_i32_u32_e32 v0, v3
	s_delay_alu instid0(VALU_DEP_1) | instskip(SKIP_1) | instid1(VALU_DEP_1)
	v_min_u32_e32 v0, 32, v0
	s_wait_xcnt 0x0
	v_lshlrev_b64_e32 v[2:3], v0, v[2:3]
	v_sub_nc_u32_e32 v0, 32, v0
	s_delay_alu instid0(VALU_DEP_2) | instskip(NEXT) | instid1(VALU_DEP_1)
	v_min_u32_e32 v2, 1, v2
	v_or_b32_e32 v2, v3, v2
	s_delay_alu instid0(VALU_DEP_1) | instskip(NEXT) | instid1(VALU_DEP_1)
	v_cvt_f32_u32_e32 v2, v2
	v_ldexp_f32 v0, v2, v0
.LBB25_1699:                            ;   in Loop: Header=BB25_17 Depth=1
	s_or_b32 exec_lo, exec_lo, s91
	s_delay_alu instid0(SALU_CYCLE_1) | instskip(SKIP_1) | instid1(SALU_CYCLE_1)
	s_and_not1_b32 s90, s90, exec_lo
	s_and_b32 s91, s92, exec_lo
	s_or_b32 s90, s90, s91
.LBB25_1700:                            ;   in Loop: Header=BB25_17 Depth=1
	s_or_b32 exec_lo, exec_lo, s88
	s_delay_alu instid0(SALU_CYCLE_1)
	s_and_b32 s88, s90, exec_lo
                                        ; implicit-def: $vgpr2_vgpr3
.LBB25_1701:                            ;   in Loop: Header=BB25_17 Depth=1
	s_and_not1_saveexec_b32 s89, s89
	s_cbranch_execz .LBB25_1715
; %bb.1702:                             ;   in Loop: Header=BB25_17 Depth=1
	s_mov_b32 s90, exec_lo
                                        ; implicit-def: $vgpr0
	v_cmpx_lt_i16_e32 26, v8
	s_xor_b32 s90, exec_lo, s90
	s_cbranch_execz .LBB25_1708
; %bb.1703:                             ;   in Loop: Header=BB25_17 Depth=1
	s_mov_b32 s91, exec_lo
                                        ; implicit-def: $vgpr0
	v_cmpx_lt_i16_e32 27, v8
	s_xor_b32 s91, exec_lo, s91
	s_cbranch_execz .LBB25_1705
; %bb.1704:                             ;   in Loop: Header=BB25_17 Depth=1
	flat_load_b32 v0, v[2:3]
                                        ; implicit-def: $vgpr2_vgpr3
	s_wait_loadcnt_dscnt 0x0
	v_cvt_f32_u32_e32 v0, v0
.LBB25_1705:                            ;   in Loop: Header=BB25_17 Depth=1
	s_wait_xcnt 0x0
	s_and_not1_saveexec_b32 s91, s91
	s_cbranch_execz .LBB25_1707
; %bb.1706:                             ;   in Loop: Header=BB25_17 Depth=1
	flat_load_u16 v0, v[2:3]
	s_wait_loadcnt_dscnt 0x0
	v_cvt_f32_u32_e32 v0, v0
.LBB25_1707:                            ;   in Loop: Header=BB25_17 Depth=1
	s_wait_xcnt 0x0
	s_or_b32 exec_lo, exec_lo, s91
                                        ; implicit-def: $vgpr2_vgpr3
.LBB25_1708:                            ;   in Loop: Header=BB25_17 Depth=1
	s_and_not1_saveexec_b32 s90, s90
	s_cbranch_execz .LBB25_1714
; %bb.1709:                             ;   in Loop: Header=BB25_17 Depth=1
	flat_load_u8 v2, v[2:3]
	s_mov_b32 s91, 0
	s_mov_b32 s92, exec_lo
	s_wait_loadcnt_dscnt 0x0
	v_cmpx_lt_i16_e32 0x7f, v2
	s_xor_b32 s92, exec_lo, s92
	s_cbranch_execnz .LBB25_3622
; %bb.1710:                             ;   in Loop: Header=BB25_17 Depth=1
	s_or_saveexec_b32 s92, s92
	v_mov_b32_e32 v0, 0x7f800001
	s_xor_b32 exec_lo, exec_lo, s92
	s_cbranch_execnz .LBB25_3625
.LBB25_1711:                            ;   in Loop: Header=BB25_17 Depth=1
	s_or_b32 exec_lo, exec_lo, s92
	s_and_saveexec_b32 s92, s91
	s_cbranch_execz .LBB25_1713
.LBB25_1712:                            ;   in Loop: Header=BB25_17 Depth=1
	v_and_b32_e32 v0, 0xffff, v2
	s_delay_alu instid0(VALU_DEP_1) | instskip(SKIP_1) | instid1(VALU_DEP_2)
	v_and_b32_e32 v3, 7, v0
	v_bfe_u32 v16, v0, 3, 4
	v_clz_i32_u32_e32 v14, v3
	s_delay_alu instid0(VALU_DEP_2) | instskip(NEXT) | instid1(VALU_DEP_2)
	v_cmp_eq_u32_e32 vcc_lo, 0, v16
	v_min_u32_e32 v14, 32, v14
	s_delay_alu instid0(VALU_DEP_1) | instskip(NEXT) | instid1(VALU_DEP_1)
	v_subrev_nc_u32_e32 v15, 28, v14
	v_dual_lshlrev_b32 v0, v15, v0 :: v_dual_sub_nc_u32 v14, 29, v14
	s_delay_alu instid0(VALU_DEP_1) | instskip(NEXT) | instid1(VALU_DEP_1)
	v_dual_lshlrev_b32 v2, 24, v2 :: v_dual_bitop2_b32 v0, 7, v0 bitop3:0x40
	v_dual_cndmask_b32 v0, v3, v0, vcc_lo :: v_dual_cndmask_b32 v14, v16, v14, vcc_lo
	s_delay_alu instid0(VALU_DEP_2) | instskip(NEXT) | instid1(VALU_DEP_2)
	v_and_b32_e32 v2, 0x80000000, v2
	v_lshlrev_b32_e32 v0, 20, v0
	s_delay_alu instid0(VALU_DEP_3) | instskip(NEXT) | instid1(VALU_DEP_1)
	v_lshl_add_u32 v3, v14, 23, 0x3b800000
	v_or3_b32 v0, v2, v3, v0
.LBB25_1713:                            ;   in Loop: Header=BB25_17 Depth=1
	s_or_b32 exec_lo, exec_lo, s92
.LBB25_1714:                            ;   in Loop: Header=BB25_17 Depth=1
	s_delay_alu instid0(SALU_CYCLE_1) | instskip(NEXT) | instid1(SALU_CYCLE_1)
	s_or_b32 exec_lo, exec_lo, s90
	s_or_b32 s88, s88, exec_lo
.LBB25_1715:                            ;   in Loop: Header=BB25_17 Depth=1
	s_or_b32 exec_lo, exec_lo, s89
	s_delay_alu instid0(SALU_CYCLE_1)
	s_and_b32 s88, s88, exec_lo
                                        ; implicit-def: $vgpr2_vgpr3
.LBB25_1716:                            ;   in Loop: Header=BB25_17 Depth=1
	s_and_not1_saveexec_b32 s79, s79
	s_cbranch_execz .LBB25_1742
; %bb.1717:                             ;   in Loop: Header=BB25_17 Depth=1
	s_mov_b32 s90, s88
	s_mov_b32 s89, exec_lo
                                        ; implicit-def: $vgpr0
	v_cmpx_lt_i16_e32 22, v8
	s_xor_b32 s89, exec_lo, s89
	s_cbranch_execz .LBB25_1731
; %bb.1718:                             ;   in Loop: Header=BB25_17 Depth=1
	s_mov_b32 s90, exec_lo
                                        ; implicit-def: $vgpr0
	v_cmpx_lt_i16_e32 23, v8
	s_xor_b32 s90, exec_lo, s90
	s_cbranch_execz .LBB25_1728
; %bb.1719:                             ;   in Loop: Header=BB25_17 Depth=1
	s_mov_b32 s91, exec_lo
                                        ; implicit-def: $vgpr0
	v_cmpx_lt_i16_e32 24, v8
	s_xor_b32 s91, exec_lo, s91
	s_cbranch_execz .LBB25_1725
; %bb.1720:                             ;   in Loop: Header=BB25_17 Depth=1
	flat_load_u8 v2, v[2:3]
	s_mov_b32 s92, 0
	s_mov_b32 s93, exec_lo
	s_wait_loadcnt_dscnt 0x0
	v_cmpx_lt_i16_e32 0x7f, v2
	s_xor_b32 s93, exec_lo, s93
	s_cbranch_execnz .LBB25_3634
; %bb.1721:                             ;   in Loop: Header=BB25_17 Depth=1
	s_or_saveexec_b32 s93, s93
	v_mov_b32_e32 v0, 0x7f800001
	s_xor_b32 exec_lo, exec_lo, s93
	s_cbranch_execnz .LBB25_3637
.LBB25_1722:                            ;   in Loop: Header=BB25_17 Depth=1
	s_or_b32 exec_lo, exec_lo, s93
	s_and_saveexec_b32 s93, s92
	s_cbranch_execz .LBB25_1724
.LBB25_1723:                            ;   in Loop: Header=BB25_17 Depth=1
	v_and_b32_e32 v0, 0xffff, v2
	s_delay_alu instid0(VALU_DEP_1) | instskip(SKIP_1) | instid1(VALU_DEP_2)
	v_and_b32_e32 v3, 3, v0
	v_bfe_u32 v16, v0, 2, 5
	v_clz_i32_u32_e32 v14, v3
	s_delay_alu instid0(VALU_DEP_2) | instskip(NEXT) | instid1(VALU_DEP_2)
	v_cmp_eq_u32_e32 vcc_lo, 0, v16
	v_min_u32_e32 v14, 32, v14
	s_delay_alu instid0(VALU_DEP_1) | instskip(NEXT) | instid1(VALU_DEP_1)
	v_subrev_nc_u32_e32 v15, 29, v14
	v_dual_lshlrev_b32 v0, v15, v0 :: v_dual_sub_nc_u32 v14, 30, v14
	s_delay_alu instid0(VALU_DEP_1) | instskip(NEXT) | instid1(VALU_DEP_1)
	v_dual_lshlrev_b32 v2, 24, v2 :: v_dual_bitop2_b32 v0, 3, v0 bitop3:0x40
	v_dual_cndmask_b32 v0, v3, v0, vcc_lo :: v_dual_cndmask_b32 v14, v16, v14, vcc_lo
	s_delay_alu instid0(VALU_DEP_2) | instskip(NEXT) | instid1(VALU_DEP_2)
	v_and_b32_e32 v2, 0x80000000, v2
	v_lshlrev_b32_e32 v0, 21, v0
	s_delay_alu instid0(VALU_DEP_3) | instskip(NEXT) | instid1(VALU_DEP_1)
	v_lshl_add_u32 v3, v14, 23, 0x37800000
	v_or3_b32 v0, v2, v3, v0
.LBB25_1724:                            ;   in Loop: Header=BB25_17 Depth=1
	s_or_b32 exec_lo, exec_lo, s93
                                        ; implicit-def: $vgpr2_vgpr3
.LBB25_1725:                            ;   in Loop: Header=BB25_17 Depth=1
	s_and_not1_saveexec_b32 s91, s91
	s_cbranch_execz .LBB25_1727
; %bb.1726:                             ;   in Loop: Header=BB25_17 Depth=1
	flat_load_u8 v0, v[2:3]
	s_wait_loadcnt_dscnt 0x0
	v_lshlrev_b32_e32 v0, 24, v0
	s_wait_xcnt 0x0
	s_delay_alu instid0(VALU_DEP_1) | instskip(NEXT) | instid1(VALU_DEP_1)
	v_and_b32_e32 v2, 0x7f000000, v0
	v_clz_i32_u32_e32 v3, v2
	v_cmp_ne_u32_e32 vcc_lo, 0, v2
	v_add_nc_u32_e32 v15, 0x1000000, v2
	s_delay_alu instid0(VALU_DEP_3) | instskip(NEXT) | instid1(VALU_DEP_1)
	v_min_u32_e32 v3, 32, v3
	v_sub_nc_u32_e64 v3, v3, 4 clamp
	s_delay_alu instid0(VALU_DEP_1) | instskip(NEXT) | instid1(VALU_DEP_1)
	v_dual_lshlrev_b32 v14, v3, v2 :: v_dual_lshlrev_b32 v3, 23, v3
	v_lshrrev_b32_e32 v14, 4, v14
	s_delay_alu instid0(VALU_DEP_1) | instskip(SKIP_1) | instid1(VALU_DEP_2)
	v_sub_nc_u32_e32 v3, v14, v3
	v_ashrrev_i32_e32 v14, 8, v15
	v_add_nc_u32_e32 v3, 0x3c000000, v3
	s_delay_alu instid0(VALU_DEP_1) | instskip(NEXT) | instid1(VALU_DEP_1)
	v_and_or_b32 v3, 0x7f800000, v14, v3
	v_cndmask_b32_e32 v2, 0, v3, vcc_lo
	s_delay_alu instid0(VALU_DEP_1)
	v_and_or_b32 v0, 0x80000000, v0, v2
.LBB25_1727:                            ;   in Loop: Header=BB25_17 Depth=1
	s_or_b32 exec_lo, exec_lo, s91
                                        ; implicit-def: $vgpr2_vgpr3
.LBB25_1728:                            ;   in Loop: Header=BB25_17 Depth=1
	s_and_not1_saveexec_b32 s90, s90
	s_cbranch_execz .LBB25_1730
; %bb.1729:                             ;   in Loop: Header=BB25_17 Depth=1
	flat_load_u8 v0, v[2:3]
	s_wait_loadcnt_dscnt 0x0
	v_lshlrev_b32_e32 v2, 25, v0
	v_lshlrev_b16 v0, 8, v0
	s_delay_alu instid0(VALU_DEP_1) | instskip(SKIP_1) | instid1(VALU_DEP_2)
	v_and_or_b32 v14, 0x7f00, v0, 0.5
	v_bfe_i32 v0, v0, 0, 16
	v_add_f32_e32 v14, -0.5, v14
	v_lshrrev_b32_e32 v3, 4, v2
	v_cmp_gt_u32_e32 vcc_lo, 0x8000000, v2
	s_delay_alu instid0(VALU_DEP_2) | instskip(NEXT) | instid1(VALU_DEP_1)
	v_or_b32_e32 v3, 0x70000000, v3
	v_mul_f32_e32 v3, 0x7800000, v3
	s_delay_alu instid0(VALU_DEP_1) | instskip(NEXT) | instid1(VALU_DEP_1)
	v_cndmask_b32_e32 v2, v3, v14, vcc_lo
	v_and_or_b32 v0, 0x80000000, v0, v2
.LBB25_1730:                            ;   in Loop: Header=BB25_17 Depth=1
	s_or_b32 exec_lo, exec_lo, s90
	s_delay_alu instid0(SALU_CYCLE_1)
	s_or_b32 s90, s88, exec_lo
                                        ; implicit-def: $vgpr2_vgpr3
.LBB25_1731:                            ;   in Loop: Header=BB25_17 Depth=1
	s_and_not1_saveexec_b32 s89, s89
	s_cbranch_execz .LBB25_1741
; %bb.1732:                             ;   in Loop: Header=BB25_17 Depth=1
	s_mov_b32 s91, s90
	s_mov_b32 s92, exec_lo
                                        ; implicit-def: $vgpr0
	v_cmpx_lt_i16_e32 14, v8
	s_xor_b32 s92, exec_lo, s92
	s_cbranch_execz .LBB25_1736
; %bb.1733:                             ;   in Loop: Header=BB25_17 Depth=1
	s_mov_b32 s91, s90
	s_mov_b32 s93, exec_lo
                                        ; implicit-def: $vgpr0
	v_cmpx_eq_u16_e32 15, v8
	s_cbranch_execz .LBB25_1735
; %bb.1734:                             ;   in Loop: Header=BB25_17 Depth=1
	flat_load_u16 v0, v[2:3]
	s_or_b32 s91, s90, exec_lo
	s_wait_loadcnt_dscnt 0x0
	v_lshlrev_b32_e32 v0, 16, v0
.LBB25_1735:                            ;   in Loop: Header=BB25_17 Depth=1
	s_wait_xcnt 0x0
	s_or_b32 exec_lo, exec_lo, s93
	s_delay_alu instid0(SALU_CYCLE_1) | instskip(SKIP_1) | instid1(SALU_CYCLE_1)
	s_and_not1_b32 s93, s90, exec_lo
	s_and_b32 s91, s91, exec_lo
                                        ; implicit-def: $vgpr2_vgpr3
	s_or_b32 s91, s93, s91
.LBB25_1736:                            ;   in Loop: Header=BB25_17 Depth=1
	s_and_not1_saveexec_b32 s92, s92
	s_cbranch_execz .LBB25_1740
; %bb.1737:                             ;   in Loop: Header=BB25_17 Depth=1
	s_mov_b32 s93, s91
	s_mov_b32 s94, exec_lo
                                        ; implicit-def: $vgpr0
	v_cmpx_eq_u16_e32 11, v8
	s_cbranch_execz .LBB25_1739
; %bb.1738:                             ;   in Loop: Header=BB25_17 Depth=1
	flat_load_u8 v0, v[2:3]
	s_or_b32 s93, s91, exec_lo
	s_wait_loadcnt_dscnt 0x0
	v_cmp_ne_u16_e32 vcc_lo, 0, v0
	v_cndmask_b32_e64 v0, 0, 1.0, vcc_lo
.LBB25_1739:                            ;   in Loop: Header=BB25_17 Depth=1
	s_wait_xcnt 0x0
	s_or_b32 exec_lo, exec_lo, s94
	s_delay_alu instid0(SALU_CYCLE_1) | instskip(SKIP_1) | instid1(SALU_CYCLE_1)
	s_and_not1_b32 s91, s91, exec_lo
	s_and_b32 s93, s93, exec_lo
	s_or_b32 s91, s91, s93
.LBB25_1740:                            ;   in Loop: Header=BB25_17 Depth=1
	s_or_b32 exec_lo, exec_lo, s92
	s_delay_alu instid0(SALU_CYCLE_1) | instskip(SKIP_1) | instid1(SALU_CYCLE_1)
	s_and_not1_b32 s90, s90, exec_lo
	s_and_b32 s91, s91, exec_lo
	s_or_b32 s90, s90, s91
.LBB25_1741:                            ;   in Loop: Header=BB25_17 Depth=1
	s_or_b32 exec_lo, exec_lo, s89
	s_delay_alu instid0(SALU_CYCLE_1) | instskip(SKIP_1) | instid1(SALU_CYCLE_1)
	s_and_not1_b32 s88, s88, exec_lo
	s_and_b32 s89, s90, exec_lo
	s_or_b32 s88, s88, s89
.LBB25_1742:                            ;   in Loop: Header=BB25_17 Depth=1
	s_or_b32 exec_lo, exec_lo, s79
	s_delay_alu instid0(SALU_CYCLE_1)
	s_and_b32 s79, s88, exec_lo
                                        ; implicit-def: $vgpr2_vgpr3
.LBB25_1743:                            ;   in Loop: Header=BB25_17 Depth=1
	s_and_not1_saveexec_b32 s78, s78
	s_cbranch_execz .LBB25_1785
; %bb.1744:                             ;   in Loop: Header=BB25_17 Depth=1
	s_mov_b32 s88, exec_lo
                                        ; implicit-def: $vgpr0
	v_cmpx_lt_i16_e32 4, v8
	s_xor_b32 s88, exec_lo, s88
	s_cbranch_execz .LBB25_1766
; %bb.1745:                             ;   in Loop: Header=BB25_17 Depth=1
	s_mov_b32 s89, exec_lo
                                        ; implicit-def: $vgpr0
	v_cmpx_lt_i16_e32 7, v8
	s_xor_b32 s89, exec_lo, s89
	;; [unrolled: 6-line block ×4, first 2 shown]
	s_cbranch_execz .LBB25_1749
; %bb.1748:                             ;   in Loop: Header=BB25_17 Depth=1
	flat_load_b64 v[2:3], v[2:3]
	s_wait_loadcnt_dscnt 0x0
	v_cvt_f32_f64_e32 v0, v[2:3]
                                        ; implicit-def: $vgpr2_vgpr3
.LBB25_1749:                            ;   in Loop: Header=BB25_17 Depth=1
	s_wait_xcnt 0x0
	s_and_not1_saveexec_b32 s91, s91
	s_cbranch_execz .LBB25_1751
; %bb.1750:                             ;   in Loop: Header=BB25_17 Depth=1
	flat_load_b32 v0, v[2:3]
.LBB25_1751:                            ;   in Loop: Header=BB25_17 Depth=1
	s_wait_xcnt 0x0
	s_or_b32 exec_lo, exec_lo, s91
                                        ; implicit-def: $vgpr2_vgpr3
.LBB25_1752:                            ;   in Loop: Header=BB25_17 Depth=1
	s_and_not1_saveexec_b32 s90, s90
	s_cbranch_execz .LBB25_1754
; %bb.1753:                             ;   in Loop: Header=BB25_17 Depth=1
	s_wait_loadcnt_dscnt 0x0
	flat_load_b32 v0, v[2:3]
	s_wait_loadcnt_dscnt 0x0
	v_cvt_f32_f16_e32 v0, v0
.LBB25_1754:                            ;   in Loop: Header=BB25_17 Depth=1
	s_wait_xcnt 0x0
	s_or_b32 exec_lo, exec_lo, s90
                                        ; implicit-def: $vgpr2_vgpr3
.LBB25_1755:                            ;   in Loop: Header=BB25_17 Depth=1
	s_and_not1_saveexec_b32 s89, s89
	s_cbranch_execz .LBB25_1765
; %bb.1756:                             ;   in Loop: Header=BB25_17 Depth=1
	s_mov_b32 s90, exec_lo
                                        ; implicit-def: $vgpr0
	v_cmpx_lt_i16_e32 5, v8
	s_xor_b32 s90, exec_lo, s90
	s_cbranch_execz .LBB25_1762
; %bb.1757:                             ;   in Loop: Header=BB25_17 Depth=1
	s_mov_b32 s91, exec_lo
                                        ; implicit-def: $vgpr0
	v_cmpx_lt_i16_e32 6, v8
	s_xor_b32 s91, exec_lo, s91
	s_cbranch_execz .LBB25_1759
; %bb.1758:                             ;   in Loop: Header=BB25_17 Depth=1
	flat_load_b64 v[2:3], v[2:3]
	s_wait_loadcnt_dscnt 0x0
	v_cvt_f32_f64_e32 v0, v[2:3]
                                        ; implicit-def: $vgpr2_vgpr3
.LBB25_1759:                            ;   in Loop: Header=BB25_17 Depth=1
	s_wait_xcnt 0x0
	s_and_not1_saveexec_b32 s91, s91
	s_cbranch_execz .LBB25_1761
; %bb.1760:                             ;   in Loop: Header=BB25_17 Depth=1
	s_wait_loadcnt_dscnt 0x0
	flat_load_b32 v0, v[2:3]
.LBB25_1761:                            ;   in Loop: Header=BB25_17 Depth=1
	s_wait_xcnt 0x0
	s_or_b32 exec_lo, exec_lo, s91
                                        ; implicit-def: $vgpr2_vgpr3
.LBB25_1762:                            ;   in Loop: Header=BB25_17 Depth=1
	s_and_not1_saveexec_b32 s90, s90
	s_cbranch_execz .LBB25_1764
; %bb.1763:                             ;   in Loop: Header=BB25_17 Depth=1
	s_wait_loadcnt_dscnt 0x0
	flat_load_u16 v0, v[2:3]
	s_wait_loadcnt_dscnt 0x0
	v_cvt_f32_f16_e32 v0, v0
.LBB25_1764:                            ;   in Loop: Header=BB25_17 Depth=1
	s_wait_xcnt 0x0
	s_or_b32 exec_lo, exec_lo, s90
.LBB25_1765:                            ;   in Loop: Header=BB25_17 Depth=1
	s_delay_alu instid0(SALU_CYCLE_1)
	s_or_b32 exec_lo, exec_lo, s89
                                        ; implicit-def: $vgpr2_vgpr3
.LBB25_1766:                            ;   in Loop: Header=BB25_17 Depth=1
	s_and_not1_saveexec_b32 s88, s88
	s_cbranch_execz .LBB25_1784
; %bb.1767:                             ;   in Loop: Header=BB25_17 Depth=1
	s_mov_b32 s89, exec_lo
                                        ; implicit-def: $vgpr0
	v_cmpx_lt_i16_e32 1, v8
	s_xor_b32 s89, exec_lo, s89
	s_cbranch_execz .LBB25_1777
; %bb.1768:                             ;   in Loop: Header=BB25_17 Depth=1
	s_mov_b32 s90, exec_lo
                                        ; implicit-def: $vgpr0
	v_cmpx_lt_i16_e32 2, v8
	s_xor_b32 s90, exec_lo, s90
	;; [unrolled: 6-line block ×3, first 2 shown]
	s_cbranch_execz .LBB25_1771
; %bb.1770:                             ;   in Loop: Header=BB25_17 Depth=1
	flat_load_b64 v[2:3], v[2:3]
	s_wait_loadcnt_dscnt 0x0
	v_xor_b32_e32 v0, v2, v3
	v_cls_i32_e32 v14, v3
	s_delay_alu instid0(VALU_DEP_2) | instskip(NEXT) | instid1(VALU_DEP_1)
	v_ashrrev_i32_e32 v0, 31, v0
	v_add_nc_u32_e32 v0, 32, v0
	s_delay_alu instid0(VALU_DEP_1) | instskip(SKIP_1) | instid1(VALU_DEP_1)
	v_add_min_u32_e64 v0, v14, -1, v0
	s_wait_xcnt 0x0
	v_lshlrev_b64_e32 v[2:3], v0, v[2:3]
	v_sub_nc_u32_e32 v0, 32, v0
	s_delay_alu instid0(VALU_DEP_2) | instskip(NEXT) | instid1(VALU_DEP_1)
	v_min_u32_e32 v2, 1, v2
	v_or_b32_e32 v2, v3, v2
	s_delay_alu instid0(VALU_DEP_1) | instskip(NEXT) | instid1(VALU_DEP_1)
	v_cvt_f32_i32_e32 v2, v2
	v_ldexp_f32 v0, v2, v0
                                        ; implicit-def: $vgpr2_vgpr3
.LBB25_1771:                            ;   in Loop: Header=BB25_17 Depth=1
	s_and_not1_saveexec_b32 s91, s91
	s_cbranch_execz .LBB25_1773
; %bb.1772:                             ;   in Loop: Header=BB25_17 Depth=1
	s_wait_loadcnt_dscnt 0x0
	flat_load_b32 v0, v[2:3]
	s_wait_loadcnt_dscnt 0x0
	v_cvt_f32_i32_e32 v0, v0
.LBB25_1773:                            ;   in Loop: Header=BB25_17 Depth=1
	s_wait_xcnt 0x0
	s_or_b32 exec_lo, exec_lo, s91
                                        ; implicit-def: $vgpr2_vgpr3
.LBB25_1774:                            ;   in Loop: Header=BB25_17 Depth=1
	s_and_not1_saveexec_b32 s90, s90
	s_cbranch_execz .LBB25_1776
; %bb.1775:                             ;   in Loop: Header=BB25_17 Depth=1
	s_wait_loadcnt_dscnt 0x0
	flat_load_i16 v0, v[2:3]
	s_wait_loadcnt_dscnt 0x0
	v_cvt_f32_i32_e32 v0, v0
.LBB25_1776:                            ;   in Loop: Header=BB25_17 Depth=1
	s_wait_xcnt 0x0
	s_or_b32 exec_lo, exec_lo, s90
                                        ; implicit-def: $vgpr2_vgpr3
.LBB25_1777:                            ;   in Loop: Header=BB25_17 Depth=1
	s_and_not1_saveexec_b32 s89, s89
	s_cbranch_execz .LBB25_1783
; %bb.1778:                             ;   in Loop: Header=BB25_17 Depth=1
	s_mov_b32 s90, exec_lo
                                        ; implicit-def: $vgpr0
	v_cmpx_lt_i16_e32 0, v8
	s_xor_b32 s90, exec_lo, s90
	s_cbranch_execz .LBB25_1780
; %bb.1779:                             ;   in Loop: Header=BB25_17 Depth=1
	s_wait_loadcnt_dscnt 0x0
	flat_load_i8 v0, v[2:3]
                                        ; implicit-def: $vgpr2_vgpr3
	s_wait_loadcnt_dscnt 0x0
	v_cvt_f32_i32_e32 v0, v0
.LBB25_1780:                            ;   in Loop: Header=BB25_17 Depth=1
	s_wait_xcnt 0x0
	s_and_not1_saveexec_b32 s90, s90
	s_cbranch_execz .LBB25_1782
; %bb.1781:                             ;   in Loop: Header=BB25_17 Depth=1
	s_wait_loadcnt_dscnt 0x0
	flat_load_u8 v0, v[2:3]
	s_wait_loadcnt_dscnt 0x0
	v_cvt_f32_ubyte0_e32 v0, v0
.LBB25_1782:                            ;   in Loop: Header=BB25_17 Depth=1
	s_wait_xcnt 0x0
	s_or_b32 exec_lo, exec_lo, s90
.LBB25_1783:                            ;   in Loop: Header=BB25_17 Depth=1
	s_delay_alu instid0(SALU_CYCLE_1)
	s_or_b32 exec_lo, exec_lo, s89
.LBB25_1784:                            ;   in Loop: Header=BB25_17 Depth=1
	s_delay_alu instid0(SALU_CYCLE_1) | instskip(NEXT) | instid1(SALU_CYCLE_1)
	s_or_b32 exec_lo, exec_lo, s88
	s_or_b32 s79, s79, exec_lo
.LBB25_1785:                            ;   in Loop: Header=BB25_17 Depth=1
	s_or_b32 exec_lo, exec_lo, s78
	s_mov_b32 s88, -1
	s_mov_b32 s90, 0
	s_mov_b32 s89, 0
	s_and_saveexec_b32 s78, s79
	s_cbranch_execz .LBB25_1791
; %bb.1786:                             ;   in Loop: Header=BB25_17 Depth=1
	s_add_co_i32 s79, s33, s1
	s_mov_b32 s88, exec_lo
	s_add_co_i32 s79, s79, 16
	s_wait_loadcnt_dscnt 0x0
	scratch_store_b32 off, v0, s79 offset:124
	s_wait_xcnt 0x0
	v_mul_lo_u32 v0, v13, v11
	v_and_b32_e32 v13, 0xff, v9
	s_delay_alu instid0(VALU_DEP_2) | instskip(NEXT) | instid1(VALU_DEP_2)
	v_add_nc_u64_e32 v[2:3], v[6:7], v[0:1]
                                        ; implicit-def: $vgpr0
	v_cmpx_lt_i16_e32 10, v13
	s_xor_b32 s88, exec_lo, s88
	s_cbranch_execnz .LBB25_3478
; %bb.1787:                             ;   in Loop: Header=BB25_17 Depth=1
	s_and_not1_saveexec_b32 s88, s88
	s_cbranch_execnz .LBB25_3537
.LBB25_1788:                            ;   in Loop: Header=BB25_17 Depth=1
	s_or_b32 exec_lo, exec_lo, s88
	s_mov_b32 s90, 0
	s_and_saveexec_b32 s88, s89
	s_cbranch_execz .LBB25_1790
.LBB25_1789:                            ;   in Loop: Header=BB25_17 Depth=1
	v_add_nc_u32_e32 v12, 0x200, v12
	s_mov_b32 s90, exec_lo
	s_wait_loadcnt_dscnt 0x0
	scratch_store_b32 off, v0, s79 offset:120
.LBB25_1790:                            ;   in Loop: Header=BB25_17 Depth=1
	s_wait_xcnt 0x0
	s_or_b32 exec_lo, exec_lo, s88
	s_delay_alu instid0(SALU_CYCLE_1)
	s_mov_b32 s89, exec_lo
	s_xor_b32 s88, exec_lo, -1
	s_and_b32 s90, s90, exec_lo
.LBB25_1791:                            ;   in Loop: Header=BB25_17 Depth=1
	s_or_b32 exec_lo, exec_lo, s78
	s_delay_alu instid0(SALU_CYCLE_1)
	s_or_not1_b32 s78, s90, exec_lo
.LBB25_1792:                            ;   in Loop: Header=BB25_17 Depth=1
	s_or_b32 exec_lo, exec_lo, s77
	s_and_saveexec_b32 s77, s78
	s_cbranch_execz .LBB25_1
; %bb.1793:                             ;   in Loop: Header=BB25_17 Depth=1
	s_addk_co_i32 s1, 0x80
	s_delay_alu instid0(SALU_CYCLE_1)
	s_cmp_eq_u32 s1, 0x100
	s_cselect_b32 s76, -1, 0
	s_and_not1_b32 s89, s89, exec_lo
	s_and_not1_b32 s88, s88, exec_lo
	s_or_not1_b32 s76, s76, exec_lo
	s_branch .LBB25_1
.LBB25_1794:                            ;   in Loop: Header=BB25_17 Depth=1
	s_mov_b32 s10, exec_lo
                                        ; implicit-def: $vgpr0
	v_cmpx_lt_i16_e32 25, v13
	s_xor_b32 s10, exec_lo, s10
	s_cbranch_execz .LBB25_1826
; %bb.1795:                             ;   in Loop: Header=BB25_17 Depth=1
	s_mov_b32 s12, exec_lo
                                        ; implicit-def: $vgpr0
	v_cmpx_lt_i16_e32 28, v13
	s_xor_b32 s12, exec_lo, s12
	s_cbranch_execz .LBB25_1811
; %bb.1796:                             ;   in Loop: Header=BB25_17 Depth=1
	s_mov_b32 s13, 0
	s_mov_b32 s11, exec_lo
                                        ; implicit-def: $vgpr0
	v_cmpx_lt_i16_e32 43, v13
	s_xor_b32 s11, exec_lo, s11
	s_cbranch_execz .LBB25_1806
; %bb.1797:                             ;   in Loop: Header=BB25_17 Depth=1
	s_mov_b32 s14, exec_lo
                                        ; implicit-def: $vgpr0
	v_cmpx_lt_i16_e32 45, v13
	s_xor_b32 s14, exec_lo, s14
	s_cbranch_execz .LBB25_1801
; %bb.1798:                             ;   in Loop: Header=BB25_17 Depth=1
	s_mov_b32 s15, exec_lo
                                        ; implicit-def: $vgpr0
	v_cmpx_eq_u16_e32 46, v13
	s_cbranch_execz .LBB25_1800
; %bb.1799:                             ;   in Loop: Header=BB25_17 Depth=1
	flat_load_b32 v0, v[2:3]
	s_mov_b32 s13, exec_lo
	s_wait_loadcnt_dscnt 0x0
	v_lshlrev_b32_e32 v0, 16, v0
.LBB25_1800:                            ;   in Loop: Header=BB25_17 Depth=1
	s_wait_xcnt 0x0
	s_or_b32 exec_lo, exec_lo, s15
	s_delay_alu instid0(SALU_CYCLE_1)
	s_and_b32 s13, s13, exec_lo
                                        ; implicit-def: $vgpr13
                                        ; implicit-def: $vgpr2_vgpr3
.LBB25_1801:                            ;   in Loop: Header=BB25_17 Depth=1
	s_and_not1_saveexec_b32 s14, s14
	s_cbranch_execz .LBB25_1805
; %bb.1802:                             ;   in Loop: Header=BB25_17 Depth=1
	s_mov_b32 s16, s13
	s_mov_b32 s15, exec_lo
                                        ; implicit-def: $vgpr0
	v_cmpx_eq_u16_e32 44, v13
	s_cbranch_execz .LBB25_1804
; %bb.1803:                             ;   in Loop: Header=BB25_17 Depth=1
	flat_load_u8 v0, v[2:3]
	s_or_b32 s16, s13, exec_lo
	s_wait_loadcnt_dscnt 0x0
	v_lshlrev_b32_e32 v2, 23, v0
	v_cmp_ne_u32_e32 vcc_lo, 0xff, v0
	s_delay_alu instid0(VALU_DEP_2) | instskip(SKIP_1) | instid1(VALU_DEP_2)
	v_cndmask_b32_e32 v2, 0x7f800001, v2, vcc_lo
	v_cmp_ne_u32_e32 vcc_lo, 0, v0
	v_cndmask_b32_e32 v0, 0x400000, v2, vcc_lo
.LBB25_1804:                            ;   in Loop: Header=BB25_17 Depth=1
	s_or_b32 exec_lo, exec_lo, s15
	s_delay_alu instid0(SALU_CYCLE_1) | instskip(SKIP_1) | instid1(SALU_CYCLE_1)
	s_and_not1_b32 s13, s13, exec_lo
	s_and_b32 s15, s16, exec_lo
	s_or_b32 s13, s13, s15
.LBB25_1805:                            ;   in Loop: Header=BB25_17 Depth=1
	s_or_b32 exec_lo, exec_lo, s14
	s_delay_alu instid0(SALU_CYCLE_1)
	s_and_b32 s13, s13, exec_lo
                                        ; implicit-def: $vgpr13
                                        ; implicit-def: $vgpr2_vgpr3
.LBB25_1806:                            ;   in Loop: Header=BB25_17 Depth=1
	s_and_not1_saveexec_b32 s11, s11
	s_cbranch_execz .LBB25_1810
; %bb.1807:                             ;   in Loop: Header=BB25_17 Depth=1
	s_mov_b32 s15, s13
	s_mov_b32 s14, exec_lo
                                        ; implicit-def: $vgpr0
	v_cmpx_eq_u16_e32 29, v13
	s_cbranch_execz .LBB25_1809
; %bb.1808:                             ;   in Loop: Header=BB25_17 Depth=1
	flat_load_b64 v[2:3], v[2:3]
	s_or_b32 s15, s13, exec_lo
	s_wait_loadcnt_dscnt 0x0
	v_clz_i32_u32_e32 v0, v3
	s_delay_alu instid0(VALU_DEP_1) | instskip(SKIP_1) | instid1(VALU_DEP_1)
	v_min_u32_e32 v0, 32, v0
	s_wait_xcnt 0x0
	v_lshlrev_b64_e32 v[2:3], v0, v[2:3]
	v_sub_nc_u32_e32 v0, 32, v0
	s_delay_alu instid0(VALU_DEP_2) | instskip(NEXT) | instid1(VALU_DEP_1)
	v_min_u32_e32 v2, 1, v2
	v_or_b32_e32 v2, v3, v2
	s_delay_alu instid0(VALU_DEP_1) | instskip(NEXT) | instid1(VALU_DEP_1)
	v_cvt_f32_u32_e32 v2, v2
	v_ldexp_f32 v0, v2, v0
.LBB25_1809:                            ;   in Loop: Header=BB25_17 Depth=1
	s_or_b32 exec_lo, exec_lo, s14
	s_delay_alu instid0(SALU_CYCLE_1) | instskip(SKIP_1) | instid1(SALU_CYCLE_1)
	s_and_not1_b32 s13, s13, exec_lo
	s_and_b32 s14, s15, exec_lo
	s_or_b32 s13, s13, s14
.LBB25_1810:                            ;   in Loop: Header=BB25_17 Depth=1
	s_or_b32 exec_lo, exec_lo, s11
	s_delay_alu instid0(SALU_CYCLE_1)
	s_and_b32 s11, s13, exec_lo
                                        ; implicit-def: $vgpr13
                                        ; implicit-def: $vgpr2_vgpr3
.LBB25_1811:                            ;   in Loop: Header=BB25_17 Depth=1
	s_and_not1_saveexec_b32 s12, s12
	s_cbranch_execz .LBB25_1825
; %bb.1812:                             ;   in Loop: Header=BB25_17 Depth=1
	s_mov_b32 s13, exec_lo
                                        ; implicit-def: $vgpr0
	v_cmpx_lt_i16_e32 26, v13
	s_xor_b32 s13, exec_lo, s13
	s_cbranch_execz .LBB25_1818
; %bb.1813:                             ;   in Loop: Header=BB25_17 Depth=1
	s_mov_b32 s14, exec_lo
                                        ; implicit-def: $vgpr0
	v_cmpx_lt_i16_e32 27, v13
	s_xor_b32 s14, exec_lo, s14
	s_cbranch_execz .LBB25_1815
; %bb.1814:                             ;   in Loop: Header=BB25_17 Depth=1
	flat_load_b32 v0, v[2:3]
                                        ; implicit-def: $vgpr2_vgpr3
	s_wait_loadcnt_dscnt 0x0
	v_cvt_f32_u32_e32 v0, v0
.LBB25_1815:                            ;   in Loop: Header=BB25_17 Depth=1
	s_wait_xcnt 0x0
	s_and_not1_saveexec_b32 s14, s14
	s_cbranch_execz .LBB25_1817
; %bb.1816:                             ;   in Loop: Header=BB25_17 Depth=1
	flat_load_u16 v0, v[2:3]
	s_wait_loadcnt_dscnt 0x0
	v_cvt_f32_u32_e32 v0, v0
.LBB25_1817:                            ;   in Loop: Header=BB25_17 Depth=1
	s_wait_xcnt 0x0
	s_or_b32 exec_lo, exec_lo, s14
                                        ; implicit-def: $vgpr2_vgpr3
.LBB25_1818:                            ;   in Loop: Header=BB25_17 Depth=1
	s_and_not1_saveexec_b32 s13, s13
	s_cbranch_execz .LBB25_1824
; %bb.1819:                             ;   in Loop: Header=BB25_17 Depth=1
	flat_load_u8 v2, v[2:3]
	s_mov_b32 s14, 0
	s_mov_b32 s15, exec_lo
	s_wait_loadcnt_dscnt 0x0
	v_cmpx_lt_i16_e32 0x7f, v2
	s_xor_b32 s15, exec_lo, s15
	s_cbranch_execnz .LBB25_2306
; %bb.1820:                             ;   in Loop: Header=BB25_17 Depth=1
	s_or_saveexec_b32 s15, s15
	v_mov_b32_e32 v0, 0x7f800001
	s_xor_b32 exec_lo, exec_lo, s15
	s_cbranch_execnz .LBB25_2309
.LBB25_1821:                            ;   in Loop: Header=BB25_17 Depth=1
	s_or_b32 exec_lo, exec_lo, s15
	s_and_saveexec_b32 s15, s14
	s_cbranch_execz .LBB25_1823
.LBB25_1822:                            ;   in Loop: Header=BB25_17 Depth=1
	v_and_b32_e32 v0, 0xffff, v2
	s_delay_alu instid0(VALU_DEP_1) | instskip(SKIP_1) | instid1(VALU_DEP_2)
	v_and_b32_e32 v3, 7, v0
	v_bfe_u32 v15, v0, 3, 4
	v_clz_i32_u32_e32 v13, v3
	s_delay_alu instid0(VALU_DEP_2) | instskip(NEXT) | instid1(VALU_DEP_2)
	v_cmp_eq_u32_e32 vcc_lo, 0, v15
	v_min_u32_e32 v13, 32, v13
	s_delay_alu instid0(VALU_DEP_1) | instskip(NEXT) | instid1(VALU_DEP_1)
	v_subrev_nc_u32_e32 v14, 28, v13
	v_dual_lshlrev_b32 v0, v14, v0 :: v_dual_sub_nc_u32 v13, 29, v13
	s_delay_alu instid0(VALU_DEP_1) | instskip(NEXT) | instid1(VALU_DEP_2)
	v_dual_lshlrev_b32 v2, 24, v2 :: v_dual_bitop2_b32 v0, 7, v0 bitop3:0x40
	v_cndmask_b32_e32 v13, v15, v13, vcc_lo
	s_delay_alu instid0(VALU_DEP_2) | instskip(NEXT) | instid1(VALU_DEP_3)
	v_cndmask_b32_e32 v0, v3, v0, vcc_lo
	v_and_b32_e32 v2, 0x80000000, v2
	s_delay_alu instid0(VALU_DEP_3) | instskip(NEXT) | instid1(VALU_DEP_3)
	v_lshl_add_u32 v3, v13, 23, 0x3b800000
	v_lshlrev_b32_e32 v0, 20, v0
	s_delay_alu instid0(VALU_DEP_1)
	v_or3_b32 v0, v2, v3, v0
.LBB25_1823:                            ;   in Loop: Header=BB25_17 Depth=1
	s_or_b32 exec_lo, exec_lo, s15
.LBB25_1824:                            ;   in Loop: Header=BB25_17 Depth=1
	s_delay_alu instid0(SALU_CYCLE_1) | instskip(NEXT) | instid1(SALU_CYCLE_1)
	s_or_b32 exec_lo, exec_lo, s13
	s_or_b32 s11, s11, exec_lo
.LBB25_1825:                            ;   in Loop: Header=BB25_17 Depth=1
	s_or_b32 exec_lo, exec_lo, s12
	s_delay_alu instid0(SALU_CYCLE_1)
	s_and_b32 s11, s11, exec_lo
                                        ; implicit-def: $vgpr13
                                        ; implicit-def: $vgpr2_vgpr3
.LBB25_1826:                            ;   in Loop: Header=BB25_17 Depth=1
	s_and_not1_saveexec_b32 s10, s10
	s_cbranch_execz .LBB25_1852
; %bb.1827:                             ;   in Loop: Header=BB25_17 Depth=1
	s_mov_b32 s13, s11
	s_mov_b32 s12, exec_lo
                                        ; implicit-def: $vgpr0
	v_cmpx_lt_i16_e32 22, v13
	s_xor_b32 s12, exec_lo, s12
	s_cbranch_execz .LBB25_1841
; %bb.1828:                             ;   in Loop: Header=BB25_17 Depth=1
	s_mov_b32 s13, exec_lo
                                        ; implicit-def: $vgpr0
	v_cmpx_lt_i16_e32 23, v13
	s_xor_b32 s13, exec_lo, s13
	s_cbranch_execz .LBB25_1838
; %bb.1829:                             ;   in Loop: Header=BB25_17 Depth=1
	;; [unrolled: 6-line block ×3, first 2 shown]
	flat_load_u8 v2, v[2:3]
	s_mov_b32 s15, 0
	s_mov_b32 s16, exec_lo
	s_wait_loadcnt_dscnt 0x0
	v_cmpx_lt_i16_e32 0x7f, v2
	s_xor_b32 s16, exec_lo, s16
	s_cbranch_execnz .LBB25_2418
; %bb.1831:                             ;   in Loop: Header=BB25_17 Depth=1
	s_or_saveexec_b32 s16, s16
	v_mov_b32_e32 v0, 0x7f800001
	s_xor_b32 exec_lo, exec_lo, s16
	s_cbranch_execnz .LBB25_2421
.LBB25_1832:                            ;   in Loop: Header=BB25_17 Depth=1
	s_or_b32 exec_lo, exec_lo, s16
	s_and_saveexec_b32 s16, s15
	s_cbranch_execz .LBB25_1834
.LBB25_1833:                            ;   in Loop: Header=BB25_17 Depth=1
	v_and_b32_e32 v0, 0xffff, v2
	s_delay_alu instid0(VALU_DEP_1) | instskip(SKIP_1) | instid1(VALU_DEP_2)
	v_and_b32_e32 v3, 3, v0
	v_bfe_u32 v15, v0, 2, 5
	v_clz_i32_u32_e32 v13, v3
	s_delay_alu instid0(VALU_DEP_2) | instskip(NEXT) | instid1(VALU_DEP_2)
	v_cmp_eq_u32_e32 vcc_lo, 0, v15
	v_min_u32_e32 v13, 32, v13
	s_delay_alu instid0(VALU_DEP_1) | instskip(NEXT) | instid1(VALU_DEP_1)
	v_subrev_nc_u32_e32 v14, 29, v13
	v_dual_lshlrev_b32 v0, v14, v0 :: v_dual_sub_nc_u32 v13, 30, v13
	s_delay_alu instid0(VALU_DEP_1) | instskip(NEXT) | instid1(VALU_DEP_2)
	v_dual_lshlrev_b32 v2, 24, v2 :: v_dual_bitop2_b32 v0, 3, v0 bitop3:0x40
	v_cndmask_b32_e32 v13, v15, v13, vcc_lo
	s_delay_alu instid0(VALU_DEP_2) | instskip(NEXT) | instid1(VALU_DEP_3)
	v_cndmask_b32_e32 v0, v3, v0, vcc_lo
	v_and_b32_e32 v2, 0x80000000, v2
	s_delay_alu instid0(VALU_DEP_3) | instskip(NEXT) | instid1(VALU_DEP_3)
	v_lshl_add_u32 v3, v13, 23, 0x37800000
	v_lshlrev_b32_e32 v0, 21, v0
	s_delay_alu instid0(VALU_DEP_1)
	v_or3_b32 v0, v2, v3, v0
.LBB25_1834:                            ;   in Loop: Header=BB25_17 Depth=1
	s_or_b32 exec_lo, exec_lo, s16
                                        ; implicit-def: $vgpr2_vgpr3
.LBB25_1835:                            ;   in Loop: Header=BB25_17 Depth=1
	s_and_not1_saveexec_b32 s14, s14
	s_cbranch_execz .LBB25_1837
; %bb.1836:                             ;   in Loop: Header=BB25_17 Depth=1
	flat_load_u8 v0, v[2:3]
	s_wait_loadcnt_dscnt 0x0
	v_lshlrev_b32_e32 v0, 24, v0
	s_wait_xcnt 0x0
	s_delay_alu instid0(VALU_DEP_1) | instskip(NEXT) | instid1(VALU_DEP_1)
	v_and_b32_e32 v2, 0x7f000000, v0
	v_clz_i32_u32_e32 v3, v2
	v_add_nc_u32_e32 v14, 0x1000000, v2
	v_cmp_ne_u32_e32 vcc_lo, 0, v2
	s_delay_alu instid0(VALU_DEP_3) | instskip(NEXT) | instid1(VALU_DEP_1)
	v_min_u32_e32 v3, 32, v3
	v_sub_nc_u32_e64 v3, v3, 4 clamp
	s_delay_alu instid0(VALU_DEP_1) | instskip(NEXT) | instid1(VALU_DEP_1)
	v_dual_lshlrev_b32 v13, v3, v2 :: v_dual_lshlrev_b32 v3, 23, v3
	v_lshrrev_b32_e32 v13, 4, v13
	s_delay_alu instid0(VALU_DEP_1) | instskip(NEXT) | instid1(VALU_DEP_1)
	v_dual_sub_nc_u32 v3, v13, v3 :: v_dual_ashrrev_i32 v13, 8, v14
	v_add_nc_u32_e32 v3, 0x3c000000, v3
	s_delay_alu instid0(VALU_DEP_1) | instskip(NEXT) | instid1(VALU_DEP_1)
	v_and_or_b32 v3, 0x7f800000, v13, v3
	v_cndmask_b32_e32 v2, 0, v3, vcc_lo
	s_delay_alu instid0(VALU_DEP_1)
	v_and_or_b32 v0, 0x80000000, v0, v2
.LBB25_1837:                            ;   in Loop: Header=BB25_17 Depth=1
	s_or_b32 exec_lo, exec_lo, s14
                                        ; implicit-def: $vgpr2_vgpr3
.LBB25_1838:                            ;   in Loop: Header=BB25_17 Depth=1
	s_and_not1_saveexec_b32 s13, s13
	s_cbranch_execz .LBB25_1840
; %bb.1839:                             ;   in Loop: Header=BB25_17 Depth=1
	flat_load_u8 v0, v[2:3]
	s_wait_loadcnt_dscnt 0x0
	v_lshlrev_b32_e32 v2, 25, v0
	v_lshlrev_b16 v0, 8, v0
	s_delay_alu instid0(VALU_DEP_1) | instskip(SKIP_1) | instid1(VALU_DEP_2)
	v_and_or_b32 v13, 0x7f00, v0, 0.5
	v_bfe_i32 v0, v0, 0, 16
	v_dual_add_f32 v13, -0.5, v13 :: v_dual_lshrrev_b32 v3, 4, v2
	v_cmp_gt_u32_e32 vcc_lo, 0x8000000, v2
	s_delay_alu instid0(VALU_DEP_2) | instskip(NEXT) | instid1(VALU_DEP_1)
	v_or_b32_e32 v3, 0x70000000, v3
	v_mul_f32_e32 v3, 0x7800000, v3
	s_delay_alu instid0(VALU_DEP_1) | instskip(NEXT) | instid1(VALU_DEP_1)
	v_cndmask_b32_e32 v2, v3, v13, vcc_lo
	v_and_or_b32 v0, 0x80000000, v0, v2
.LBB25_1840:                            ;   in Loop: Header=BB25_17 Depth=1
	s_or_b32 exec_lo, exec_lo, s13
	s_delay_alu instid0(SALU_CYCLE_1)
	s_or_b32 s13, s11, exec_lo
                                        ; implicit-def: $vgpr13
                                        ; implicit-def: $vgpr2_vgpr3
.LBB25_1841:                            ;   in Loop: Header=BB25_17 Depth=1
	s_and_not1_saveexec_b32 s12, s12
	s_cbranch_execz .LBB25_1851
; %bb.1842:                             ;   in Loop: Header=BB25_17 Depth=1
	s_mov_b32 s14, s13
	s_mov_b32 s15, exec_lo
                                        ; implicit-def: $vgpr0
	v_cmpx_lt_i16_e32 14, v13
	s_xor_b32 s15, exec_lo, s15
	s_cbranch_execz .LBB25_1846
; %bb.1843:                             ;   in Loop: Header=BB25_17 Depth=1
	s_mov_b32 s14, s13
	s_mov_b32 s16, exec_lo
                                        ; implicit-def: $vgpr0
	v_cmpx_eq_u16_e32 15, v13
	s_cbranch_execz .LBB25_1845
; %bb.1844:                             ;   in Loop: Header=BB25_17 Depth=1
	flat_load_u16 v0, v[2:3]
	s_or_b32 s14, s13, exec_lo
	s_wait_loadcnt_dscnt 0x0
	v_lshlrev_b32_e32 v0, 16, v0
.LBB25_1845:                            ;   in Loop: Header=BB25_17 Depth=1
	s_wait_xcnt 0x0
	s_or_b32 exec_lo, exec_lo, s16
	s_delay_alu instid0(SALU_CYCLE_1) | instskip(SKIP_1) | instid1(SALU_CYCLE_1)
	s_and_not1_b32 s16, s13, exec_lo
	s_and_b32 s14, s14, exec_lo
                                        ; implicit-def: $vgpr13
                                        ; implicit-def: $vgpr2_vgpr3
	s_or_b32 s14, s16, s14
.LBB25_1846:                            ;   in Loop: Header=BB25_17 Depth=1
	s_and_not1_saveexec_b32 s15, s15
	s_cbranch_execz .LBB25_1850
; %bb.1847:                             ;   in Loop: Header=BB25_17 Depth=1
	s_mov_b32 s16, s14
	s_mov_b32 s17, exec_lo
                                        ; implicit-def: $vgpr0
	v_cmpx_eq_u16_e32 11, v13
	s_cbranch_execz .LBB25_1849
; %bb.1848:                             ;   in Loop: Header=BB25_17 Depth=1
	flat_load_u8 v0, v[2:3]
	s_or_b32 s16, s14, exec_lo
	s_wait_loadcnt_dscnt 0x0
	v_cmp_ne_u16_e32 vcc_lo, 0, v0
	v_cndmask_b32_e64 v0, 0, 1.0, vcc_lo
.LBB25_1849:                            ;   in Loop: Header=BB25_17 Depth=1
	s_wait_xcnt 0x0
	s_or_b32 exec_lo, exec_lo, s17
	s_delay_alu instid0(SALU_CYCLE_1) | instskip(SKIP_1) | instid1(SALU_CYCLE_1)
	s_and_not1_b32 s14, s14, exec_lo
	s_and_b32 s16, s16, exec_lo
	s_or_b32 s14, s14, s16
.LBB25_1850:                            ;   in Loop: Header=BB25_17 Depth=1
	s_or_b32 exec_lo, exec_lo, s15
	s_delay_alu instid0(SALU_CYCLE_1) | instskip(SKIP_1) | instid1(SALU_CYCLE_1)
	s_and_not1_b32 s13, s13, exec_lo
	s_and_b32 s14, s14, exec_lo
	s_or_b32 s13, s13, s14
.LBB25_1851:                            ;   in Loop: Header=BB25_17 Depth=1
	s_or_b32 exec_lo, exec_lo, s12
	s_delay_alu instid0(SALU_CYCLE_1) | instskip(SKIP_1) | instid1(SALU_CYCLE_1)
	s_and_not1_b32 s11, s11, exec_lo
	s_and_b32 s12, s13, exec_lo
	s_or_b32 s11, s11, s12
.LBB25_1852:                            ;   in Loop: Header=BB25_17 Depth=1
	s_or_b32 exec_lo, exec_lo, s10
	s_delay_alu instid0(SALU_CYCLE_1)
	s_and_b32 s10, s11, exec_lo
                                        ; implicit-def: $vgpr13
                                        ; implicit-def: $vgpr2_vgpr3
	s_and_not1_saveexec_b32 s9, s9
	s_cbranch_execz .LBB25_123
.LBB25_1853:                            ;   in Loop: Header=BB25_17 Depth=1
	s_mov_b32 s11, exec_lo
                                        ; implicit-def: $vgpr0
	v_cmpx_lt_i16_e32 4, v13
	s_xor_b32 s11, exec_lo, s11
	s_cbranch_execz .LBB25_1875
; %bb.1854:                             ;   in Loop: Header=BB25_17 Depth=1
	s_mov_b32 s12, exec_lo
                                        ; implicit-def: $vgpr0
	v_cmpx_lt_i16_e32 7, v13
	s_xor_b32 s12, exec_lo, s12
	s_cbranch_execz .LBB25_1864
; %bb.1855:                             ;   in Loop: Header=BB25_17 Depth=1
	;; [unrolled: 6-line block ×4, first 2 shown]
	flat_load_b64 v[2:3], v[2:3]
	s_wait_loadcnt_dscnt 0x0
	v_cvt_f32_f64_e32 v0, v[2:3]
                                        ; implicit-def: $vgpr2_vgpr3
.LBB25_1858:                            ;   in Loop: Header=BB25_17 Depth=1
	s_wait_xcnt 0x0
	s_and_not1_saveexec_b32 s14, s14
	s_cbranch_execz .LBB25_1860
; %bb.1859:                             ;   in Loop: Header=BB25_17 Depth=1
	flat_load_b32 v0, v[2:3]
.LBB25_1860:                            ;   in Loop: Header=BB25_17 Depth=1
	s_wait_xcnt 0x0
	s_or_b32 exec_lo, exec_lo, s14
                                        ; implicit-def: $vgpr2_vgpr3
.LBB25_1861:                            ;   in Loop: Header=BB25_17 Depth=1
	s_and_not1_saveexec_b32 s13, s13
	s_cbranch_execz .LBB25_1863
; %bb.1862:                             ;   in Loop: Header=BB25_17 Depth=1
	s_wait_loadcnt_dscnt 0x0
	flat_load_b32 v0, v[2:3]
	s_wait_loadcnt_dscnt 0x0
	v_cvt_f32_f16_e32 v0, v0
.LBB25_1863:                            ;   in Loop: Header=BB25_17 Depth=1
	s_wait_xcnt 0x0
	s_or_b32 exec_lo, exec_lo, s13
                                        ; implicit-def: $vgpr2_vgpr3
                                        ; implicit-def: $vgpr13
.LBB25_1864:                            ;   in Loop: Header=BB25_17 Depth=1
	s_and_not1_saveexec_b32 s12, s12
	s_cbranch_execz .LBB25_1874
; %bb.1865:                             ;   in Loop: Header=BB25_17 Depth=1
	s_mov_b32 s13, exec_lo
                                        ; implicit-def: $vgpr0
	v_cmpx_lt_i16_e32 5, v13
	s_xor_b32 s13, exec_lo, s13
	s_cbranch_execz .LBB25_1871
; %bb.1866:                             ;   in Loop: Header=BB25_17 Depth=1
	s_mov_b32 s14, exec_lo
                                        ; implicit-def: $vgpr0
	v_cmpx_lt_i16_e32 6, v13
	s_xor_b32 s14, exec_lo, s14
	s_cbranch_execz .LBB25_1868
; %bb.1867:                             ;   in Loop: Header=BB25_17 Depth=1
	flat_load_b64 v[2:3], v[2:3]
	s_wait_loadcnt_dscnt 0x0
	v_cvt_f32_f64_e32 v0, v[2:3]
                                        ; implicit-def: $vgpr2_vgpr3
.LBB25_1868:                            ;   in Loop: Header=BB25_17 Depth=1
	s_wait_xcnt 0x0
	s_and_not1_saveexec_b32 s14, s14
	s_cbranch_execz .LBB25_1870
; %bb.1869:                             ;   in Loop: Header=BB25_17 Depth=1
	s_wait_loadcnt_dscnt 0x0
	flat_load_b32 v0, v[2:3]
.LBB25_1870:                            ;   in Loop: Header=BB25_17 Depth=1
	s_wait_xcnt 0x0
	s_or_b32 exec_lo, exec_lo, s14
                                        ; implicit-def: $vgpr2_vgpr3
.LBB25_1871:                            ;   in Loop: Header=BB25_17 Depth=1
	s_and_not1_saveexec_b32 s13, s13
	s_cbranch_execz .LBB25_1873
; %bb.1872:                             ;   in Loop: Header=BB25_17 Depth=1
	s_wait_loadcnt_dscnt 0x0
	flat_load_u16 v0, v[2:3]
	s_wait_loadcnt_dscnt 0x0
	v_cvt_f32_f16_e32 v0, v0
.LBB25_1873:                            ;   in Loop: Header=BB25_17 Depth=1
	s_wait_xcnt 0x0
	s_or_b32 exec_lo, exec_lo, s13
.LBB25_1874:                            ;   in Loop: Header=BB25_17 Depth=1
	s_delay_alu instid0(SALU_CYCLE_1)
	s_or_b32 exec_lo, exec_lo, s12
                                        ; implicit-def: $vgpr13
                                        ; implicit-def: $vgpr2_vgpr3
.LBB25_1875:                            ;   in Loop: Header=BB25_17 Depth=1
	s_and_not1_saveexec_b32 s11, s11
	s_cbranch_execz .LBB25_1893
; %bb.1876:                             ;   in Loop: Header=BB25_17 Depth=1
	s_mov_b32 s12, exec_lo
                                        ; implicit-def: $vgpr0
	v_cmpx_lt_i16_e32 1, v13
	s_xor_b32 s12, exec_lo, s12
	s_cbranch_execz .LBB25_1886
; %bb.1877:                             ;   in Loop: Header=BB25_17 Depth=1
	s_mov_b32 s13, exec_lo
                                        ; implicit-def: $vgpr0
	v_cmpx_lt_i16_e32 2, v13
	s_xor_b32 s13, exec_lo, s13
	;; [unrolled: 6-line block ×3, first 2 shown]
	s_cbranch_execz .LBB25_1880
; %bb.1879:                             ;   in Loop: Header=BB25_17 Depth=1
	flat_load_b64 v[2:3], v[2:3]
	s_wait_loadcnt_dscnt 0x0
	v_xor_b32_e32 v0, v2, v3
	v_cls_i32_e32 v13, v3
	s_delay_alu instid0(VALU_DEP_2) | instskip(NEXT) | instid1(VALU_DEP_1)
	v_ashrrev_i32_e32 v0, 31, v0
	v_add_nc_u32_e32 v0, 32, v0
	s_delay_alu instid0(VALU_DEP_1) | instskip(SKIP_1) | instid1(VALU_DEP_1)
	v_add_min_u32_e64 v0, v13, -1, v0
	s_wait_xcnt 0x0
	v_lshlrev_b64_e32 v[2:3], v0, v[2:3]
	v_sub_nc_u32_e32 v0, 32, v0
	s_delay_alu instid0(VALU_DEP_2) | instskip(NEXT) | instid1(VALU_DEP_1)
	v_min_u32_e32 v2, 1, v2
	v_or_b32_e32 v2, v3, v2
	s_delay_alu instid0(VALU_DEP_1) | instskip(NEXT) | instid1(VALU_DEP_1)
	v_cvt_f32_i32_e32 v2, v2
	v_ldexp_f32 v0, v2, v0
                                        ; implicit-def: $vgpr2_vgpr3
.LBB25_1880:                            ;   in Loop: Header=BB25_17 Depth=1
	s_and_not1_saveexec_b32 s14, s14
	s_cbranch_execz .LBB25_1882
; %bb.1881:                             ;   in Loop: Header=BB25_17 Depth=1
	s_wait_loadcnt_dscnt 0x0
	flat_load_b32 v0, v[2:3]
	s_wait_loadcnt_dscnt 0x0
	v_cvt_f32_i32_e32 v0, v0
.LBB25_1882:                            ;   in Loop: Header=BB25_17 Depth=1
	s_wait_xcnt 0x0
	s_or_b32 exec_lo, exec_lo, s14
                                        ; implicit-def: $vgpr2_vgpr3
.LBB25_1883:                            ;   in Loop: Header=BB25_17 Depth=1
	s_and_not1_saveexec_b32 s13, s13
	s_cbranch_execz .LBB25_1885
; %bb.1884:                             ;   in Loop: Header=BB25_17 Depth=1
	s_wait_loadcnt_dscnt 0x0
	flat_load_i16 v0, v[2:3]
	s_wait_loadcnt_dscnt 0x0
	v_cvt_f32_i32_e32 v0, v0
.LBB25_1885:                            ;   in Loop: Header=BB25_17 Depth=1
	s_wait_xcnt 0x0
	s_or_b32 exec_lo, exec_lo, s13
                                        ; implicit-def: $vgpr2_vgpr3
                                        ; implicit-def: $vgpr13
.LBB25_1886:                            ;   in Loop: Header=BB25_17 Depth=1
	s_and_not1_saveexec_b32 s12, s12
	s_cbranch_execz .LBB25_1892
; %bb.1887:                             ;   in Loop: Header=BB25_17 Depth=1
	s_mov_b32 s13, exec_lo
                                        ; implicit-def: $vgpr0
	v_cmpx_lt_i16_e32 0, v13
	s_xor_b32 s13, exec_lo, s13
	s_cbranch_execz .LBB25_1889
; %bb.1888:                             ;   in Loop: Header=BB25_17 Depth=1
	s_wait_loadcnt_dscnt 0x0
	flat_load_i8 v0, v[2:3]
                                        ; implicit-def: $vgpr2_vgpr3
	s_wait_loadcnt_dscnt 0x0
	v_cvt_f32_i32_e32 v0, v0
.LBB25_1889:                            ;   in Loop: Header=BB25_17 Depth=1
	s_wait_xcnt 0x0
	s_and_not1_saveexec_b32 s13, s13
	s_cbranch_execz .LBB25_1891
; %bb.1890:                             ;   in Loop: Header=BB25_17 Depth=1
	s_wait_loadcnt_dscnt 0x0
	flat_load_u8 v0, v[2:3]
	s_wait_loadcnt_dscnt 0x0
	v_cvt_f32_ubyte0_e32 v0, v0
.LBB25_1891:                            ;   in Loop: Header=BB25_17 Depth=1
	s_wait_xcnt 0x0
	s_or_b32 exec_lo, exec_lo, s13
.LBB25_1892:                            ;   in Loop: Header=BB25_17 Depth=1
	s_delay_alu instid0(SALU_CYCLE_1)
	s_or_b32 exec_lo, exec_lo, s12
.LBB25_1893:                            ;   in Loop: Header=BB25_17 Depth=1
	s_delay_alu instid0(SALU_CYCLE_1) | instskip(NEXT) | instid1(SALU_CYCLE_1)
	s_or_b32 exec_lo, exec_lo, s11
	s_or_b32 s10, s10, exec_lo
	s_or_b32 exec_lo, exec_lo, s9
	s_mov_b32 s11, 0
	s_and_saveexec_b32 s9, s10
	s_cbranch_execnz .LBB25_124
	s_branch .LBB25_125
.LBB25_1894:                            ;   in Loop: Header=BB25_17 Depth=1
	s_mov_b32 s12, exec_lo
                                        ; implicit-def: $vgpr0
	v_cmpx_lt_i16_e32 25, v13
	s_xor_b32 s12, exec_lo, s12
	s_cbranch_execz .LBB25_1926
; %bb.1895:                             ;   in Loop: Header=BB25_17 Depth=1
	s_mov_b32 s14, exec_lo
                                        ; implicit-def: $vgpr0
	v_cmpx_lt_i16_e32 28, v13
	s_xor_b32 s14, exec_lo, s14
	s_cbranch_execz .LBB25_1911
; %bb.1896:                             ;   in Loop: Header=BB25_17 Depth=1
	s_mov_b32 s15, 0
	s_mov_b32 s13, exec_lo
                                        ; implicit-def: $vgpr0
	v_cmpx_lt_i16_e32 43, v13
	s_xor_b32 s13, exec_lo, s13
	s_cbranch_execz .LBB25_1906
; %bb.1897:                             ;   in Loop: Header=BB25_17 Depth=1
	s_mov_b32 s16, exec_lo
                                        ; implicit-def: $vgpr0
	v_cmpx_lt_i16_e32 45, v13
	s_xor_b32 s16, exec_lo, s16
	s_cbranch_execz .LBB25_1901
; %bb.1898:                             ;   in Loop: Header=BB25_17 Depth=1
	s_mov_b32 s17, exec_lo
                                        ; implicit-def: $vgpr0
	v_cmpx_eq_u16_e32 46, v13
	s_cbranch_execz .LBB25_1900
; %bb.1899:                             ;   in Loop: Header=BB25_17 Depth=1
	flat_load_b32 v0, v[2:3]
	s_mov_b32 s15, exec_lo
	s_wait_loadcnt_dscnt 0x0
	v_lshlrev_b32_e32 v0, 16, v0
.LBB25_1900:                            ;   in Loop: Header=BB25_17 Depth=1
	s_wait_xcnt 0x0
	s_or_b32 exec_lo, exec_lo, s17
	s_delay_alu instid0(SALU_CYCLE_1)
	s_and_b32 s15, s15, exec_lo
                                        ; implicit-def: $vgpr13
                                        ; implicit-def: $vgpr2_vgpr3
.LBB25_1901:                            ;   in Loop: Header=BB25_17 Depth=1
	s_and_not1_saveexec_b32 s16, s16
	s_cbranch_execz .LBB25_1905
; %bb.1902:                             ;   in Loop: Header=BB25_17 Depth=1
	s_mov_b32 s18, s15
	s_mov_b32 s17, exec_lo
                                        ; implicit-def: $vgpr0
	v_cmpx_eq_u16_e32 44, v13
	s_cbranch_execz .LBB25_1904
; %bb.1903:                             ;   in Loop: Header=BB25_17 Depth=1
	flat_load_u8 v0, v[2:3]
	s_or_b32 s18, s15, exec_lo
	s_wait_loadcnt_dscnt 0x0
	v_lshlrev_b32_e32 v2, 23, v0
	v_cmp_ne_u32_e32 vcc_lo, 0xff, v0
	s_delay_alu instid0(VALU_DEP_2) | instskip(SKIP_1) | instid1(VALU_DEP_2)
	v_cndmask_b32_e32 v2, 0x7f800001, v2, vcc_lo
	v_cmp_ne_u32_e32 vcc_lo, 0, v0
	v_cndmask_b32_e32 v0, 0x400000, v2, vcc_lo
.LBB25_1904:                            ;   in Loop: Header=BB25_17 Depth=1
	s_or_b32 exec_lo, exec_lo, s17
	s_delay_alu instid0(SALU_CYCLE_1) | instskip(SKIP_1) | instid1(SALU_CYCLE_1)
	s_and_not1_b32 s15, s15, exec_lo
	s_and_b32 s17, s18, exec_lo
	s_or_b32 s15, s15, s17
.LBB25_1905:                            ;   in Loop: Header=BB25_17 Depth=1
	s_or_b32 exec_lo, exec_lo, s16
	s_delay_alu instid0(SALU_CYCLE_1)
	s_and_b32 s15, s15, exec_lo
                                        ; implicit-def: $vgpr13
                                        ; implicit-def: $vgpr2_vgpr3
.LBB25_1906:                            ;   in Loop: Header=BB25_17 Depth=1
	s_and_not1_saveexec_b32 s13, s13
	s_cbranch_execz .LBB25_1910
; %bb.1907:                             ;   in Loop: Header=BB25_17 Depth=1
	s_mov_b32 s17, s15
	s_mov_b32 s16, exec_lo
                                        ; implicit-def: $vgpr0
	v_cmpx_eq_u16_e32 29, v13
	s_cbranch_execz .LBB25_1909
; %bb.1908:                             ;   in Loop: Header=BB25_17 Depth=1
	flat_load_b64 v[2:3], v[2:3]
	s_or_b32 s17, s15, exec_lo
	s_wait_loadcnt_dscnt 0x0
	v_clz_i32_u32_e32 v0, v3
	s_delay_alu instid0(VALU_DEP_1) | instskip(SKIP_1) | instid1(VALU_DEP_1)
	v_min_u32_e32 v0, 32, v0
	s_wait_xcnt 0x0
	v_lshlrev_b64_e32 v[2:3], v0, v[2:3]
	v_sub_nc_u32_e32 v0, 32, v0
	s_delay_alu instid0(VALU_DEP_2) | instskip(NEXT) | instid1(VALU_DEP_1)
	v_min_u32_e32 v2, 1, v2
	v_or_b32_e32 v2, v3, v2
	s_delay_alu instid0(VALU_DEP_1) | instskip(NEXT) | instid1(VALU_DEP_1)
	v_cvt_f32_u32_e32 v2, v2
	v_ldexp_f32 v0, v2, v0
.LBB25_1909:                            ;   in Loop: Header=BB25_17 Depth=1
	s_or_b32 exec_lo, exec_lo, s16
	s_delay_alu instid0(SALU_CYCLE_1) | instskip(SKIP_1) | instid1(SALU_CYCLE_1)
	s_and_not1_b32 s15, s15, exec_lo
	s_and_b32 s16, s17, exec_lo
	s_or_b32 s15, s15, s16
.LBB25_1910:                            ;   in Loop: Header=BB25_17 Depth=1
	s_or_b32 exec_lo, exec_lo, s13
	s_delay_alu instid0(SALU_CYCLE_1)
	s_and_b32 s13, s15, exec_lo
                                        ; implicit-def: $vgpr13
                                        ; implicit-def: $vgpr2_vgpr3
.LBB25_1911:                            ;   in Loop: Header=BB25_17 Depth=1
	s_and_not1_saveexec_b32 s14, s14
	s_cbranch_execz .LBB25_1925
; %bb.1912:                             ;   in Loop: Header=BB25_17 Depth=1
	s_mov_b32 s15, exec_lo
                                        ; implicit-def: $vgpr0
	v_cmpx_lt_i16_e32 26, v13
	s_xor_b32 s15, exec_lo, s15
	s_cbranch_execz .LBB25_1918
; %bb.1913:                             ;   in Loop: Header=BB25_17 Depth=1
	s_mov_b32 s16, exec_lo
                                        ; implicit-def: $vgpr0
	v_cmpx_lt_i16_e32 27, v13
	s_xor_b32 s16, exec_lo, s16
	s_cbranch_execz .LBB25_1915
; %bb.1914:                             ;   in Loop: Header=BB25_17 Depth=1
	flat_load_b32 v0, v[2:3]
                                        ; implicit-def: $vgpr2_vgpr3
	s_wait_loadcnt_dscnt 0x0
	v_cvt_f32_u32_e32 v0, v0
.LBB25_1915:                            ;   in Loop: Header=BB25_17 Depth=1
	s_wait_xcnt 0x0
	s_and_not1_saveexec_b32 s16, s16
	s_cbranch_execz .LBB25_1917
; %bb.1916:                             ;   in Loop: Header=BB25_17 Depth=1
	flat_load_u16 v0, v[2:3]
	s_wait_loadcnt_dscnt 0x0
	v_cvt_f32_u32_e32 v0, v0
.LBB25_1917:                            ;   in Loop: Header=BB25_17 Depth=1
	s_wait_xcnt 0x0
	s_or_b32 exec_lo, exec_lo, s16
                                        ; implicit-def: $vgpr2_vgpr3
.LBB25_1918:                            ;   in Loop: Header=BB25_17 Depth=1
	s_and_not1_saveexec_b32 s15, s15
	s_cbranch_execz .LBB25_1924
; %bb.1919:                             ;   in Loop: Header=BB25_17 Depth=1
	flat_load_u8 v2, v[2:3]
	s_mov_b32 s16, 0
	s_mov_b32 s17, exec_lo
	s_wait_loadcnt_dscnt 0x0
	v_cmpx_lt_i16_e32 0x7f, v2
	s_xor_b32 s17, exec_lo, s17
	s_cbranch_execnz .LBB25_2422
; %bb.1920:                             ;   in Loop: Header=BB25_17 Depth=1
	s_or_saveexec_b32 s17, s17
	v_mov_b32_e32 v0, 0x7f800001
	s_xor_b32 exec_lo, exec_lo, s17
	s_cbranch_execnz .LBB25_2425
.LBB25_1921:                            ;   in Loop: Header=BB25_17 Depth=1
	s_or_b32 exec_lo, exec_lo, s17
	s_and_saveexec_b32 s17, s16
	s_cbranch_execz .LBB25_1923
.LBB25_1922:                            ;   in Loop: Header=BB25_17 Depth=1
	v_and_b32_e32 v0, 0xffff, v2
	s_delay_alu instid0(VALU_DEP_1) | instskip(SKIP_1) | instid1(VALU_DEP_2)
	v_and_b32_e32 v3, 7, v0
	v_bfe_u32 v15, v0, 3, 4
	v_clz_i32_u32_e32 v13, v3
	s_delay_alu instid0(VALU_DEP_2) | instskip(NEXT) | instid1(VALU_DEP_2)
	v_cmp_eq_u32_e32 vcc_lo, 0, v15
	v_min_u32_e32 v13, 32, v13
	s_delay_alu instid0(VALU_DEP_1) | instskip(NEXT) | instid1(VALU_DEP_1)
	v_subrev_nc_u32_e32 v14, 28, v13
	v_dual_lshlrev_b32 v0, v14, v0 :: v_dual_sub_nc_u32 v13, 29, v13
	s_delay_alu instid0(VALU_DEP_1) | instskip(NEXT) | instid1(VALU_DEP_2)
	v_dual_lshlrev_b32 v2, 24, v2 :: v_dual_bitop2_b32 v0, 7, v0 bitop3:0x40
	v_cndmask_b32_e32 v13, v15, v13, vcc_lo
	s_delay_alu instid0(VALU_DEP_2) | instskip(NEXT) | instid1(VALU_DEP_3)
	v_cndmask_b32_e32 v0, v3, v0, vcc_lo
	v_and_b32_e32 v2, 0x80000000, v2
	s_delay_alu instid0(VALU_DEP_3) | instskip(NEXT) | instid1(VALU_DEP_3)
	v_lshl_add_u32 v3, v13, 23, 0x3b800000
	v_lshlrev_b32_e32 v0, 20, v0
	s_delay_alu instid0(VALU_DEP_1)
	v_or3_b32 v0, v2, v3, v0
.LBB25_1923:                            ;   in Loop: Header=BB25_17 Depth=1
	s_or_b32 exec_lo, exec_lo, s17
.LBB25_1924:                            ;   in Loop: Header=BB25_17 Depth=1
	s_delay_alu instid0(SALU_CYCLE_1) | instskip(NEXT) | instid1(SALU_CYCLE_1)
	s_or_b32 exec_lo, exec_lo, s15
	s_or_b32 s13, s13, exec_lo
.LBB25_1925:                            ;   in Loop: Header=BB25_17 Depth=1
	s_or_b32 exec_lo, exec_lo, s14
	s_delay_alu instid0(SALU_CYCLE_1)
	s_and_b32 s13, s13, exec_lo
                                        ; implicit-def: $vgpr13
                                        ; implicit-def: $vgpr2_vgpr3
.LBB25_1926:                            ;   in Loop: Header=BB25_17 Depth=1
	s_and_not1_saveexec_b32 s12, s12
	s_cbranch_execz .LBB25_1952
; %bb.1927:                             ;   in Loop: Header=BB25_17 Depth=1
	s_mov_b32 s15, s13
	s_mov_b32 s14, exec_lo
                                        ; implicit-def: $vgpr0
	v_cmpx_lt_i16_e32 22, v13
	s_xor_b32 s14, exec_lo, s14
	s_cbranch_execz .LBB25_1941
; %bb.1928:                             ;   in Loop: Header=BB25_17 Depth=1
	s_mov_b32 s15, exec_lo
                                        ; implicit-def: $vgpr0
	v_cmpx_lt_i16_e32 23, v13
	s_xor_b32 s15, exec_lo, s15
	s_cbranch_execz .LBB25_1938
; %bb.1929:                             ;   in Loop: Header=BB25_17 Depth=1
	;; [unrolled: 6-line block ×3, first 2 shown]
	flat_load_u8 v2, v[2:3]
	s_mov_b32 s17, 0
	s_mov_b32 s18, exec_lo
	s_wait_loadcnt_dscnt 0x0
	v_cmpx_lt_i16_e32 0x7f, v2
	s_xor_b32 s18, exec_lo, s18
	s_cbranch_execnz .LBB25_2534
; %bb.1931:                             ;   in Loop: Header=BB25_17 Depth=1
	s_or_saveexec_b32 s18, s18
	v_mov_b32_e32 v0, 0x7f800001
	s_xor_b32 exec_lo, exec_lo, s18
	s_cbranch_execnz .LBB25_2537
.LBB25_1932:                            ;   in Loop: Header=BB25_17 Depth=1
	s_or_b32 exec_lo, exec_lo, s18
	s_and_saveexec_b32 s18, s17
	s_cbranch_execz .LBB25_1934
.LBB25_1933:                            ;   in Loop: Header=BB25_17 Depth=1
	v_and_b32_e32 v0, 0xffff, v2
	s_delay_alu instid0(VALU_DEP_1) | instskip(SKIP_1) | instid1(VALU_DEP_2)
	v_and_b32_e32 v3, 3, v0
	v_bfe_u32 v15, v0, 2, 5
	v_clz_i32_u32_e32 v13, v3
	s_delay_alu instid0(VALU_DEP_2) | instskip(NEXT) | instid1(VALU_DEP_2)
	v_cmp_eq_u32_e32 vcc_lo, 0, v15
	v_min_u32_e32 v13, 32, v13
	s_delay_alu instid0(VALU_DEP_1) | instskip(NEXT) | instid1(VALU_DEP_1)
	v_subrev_nc_u32_e32 v14, 29, v13
	v_dual_lshlrev_b32 v0, v14, v0 :: v_dual_sub_nc_u32 v13, 30, v13
	s_delay_alu instid0(VALU_DEP_1) | instskip(NEXT) | instid1(VALU_DEP_2)
	v_dual_lshlrev_b32 v2, 24, v2 :: v_dual_bitop2_b32 v0, 3, v0 bitop3:0x40
	v_cndmask_b32_e32 v13, v15, v13, vcc_lo
	s_delay_alu instid0(VALU_DEP_2) | instskip(NEXT) | instid1(VALU_DEP_3)
	v_cndmask_b32_e32 v0, v3, v0, vcc_lo
	v_and_b32_e32 v2, 0x80000000, v2
	s_delay_alu instid0(VALU_DEP_3) | instskip(NEXT) | instid1(VALU_DEP_3)
	v_lshl_add_u32 v3, v13, 23, 0x37800000
	v_lshlrev_b32_e32 v0, 21, v0
	s_delay_alu instid0(VALU_DEP_1)
	v_or3_b32 v0, v2, v3, v0
.LBB25_1934:                            ;   in Loop: Header=BB25_17 Depth=1
	s_or_b32 exec_lo, exec_lo, s18
                                        ; implicit-def: $vgpr2_vgpr3
.LBB25_1935:                            ;   in Loop: Header=BB25_17 Depth=1
	s_and_not1_saveexec_b32 s16, s16
	s_cbranch_execz .LBB25_1937
; %bb.1936:                             ;   in Loop: Header=BB25_17 Depth=1
	flat_load_u8 v0, v[2:3]
	s_wait_loadcnt_dscnt 0x0
	v_lshlrev_b32_e32 v0, 24, v0
	s_wait_xcnt 0x0
	s_delay_alu instid0(VALU_DEP_1) | instskip(NEXT) | instid1(VALU_DEP_1)
	v_and_b32_e32 v2, 0x7f000000, v0
	v_clz_i32_u32_e32 v3, v2
	v_add_nc_u32_e32 v14, 0x1000000, v2
	v_cmp_ne_u32_e32 vcc_lo, 0, v2
	s_delay_alu instid0(VALU_DEP_3) | instskip(NEXT) | instid1(VALU_DEP_1)
	v_min_u32_e32 v3, 32, v3
	v_sub_nc_u32_e64 v3, v3, 4 clamp
	s_delay_alu instid0(VALU_DEP_1) | instskip(NEXT) | instid1(VALU_DEP_1)
	v_dual_lshlrev_b32 v13, v3, v2 :: v_dual_lshlrev_b32 v3, 23, v3
	v_lshrrev_b32_e32 v13, 4, v13
	s_delay_alu instid0(VALU_DEP_1) | instskip(NEXT) | instid1(VALU_DEP_1)
	v_dual_sub_nc_u32 v3, v13, v3 :: v_dual_ashrrev_i32 v13, 8, v14
	v_add_nc_u32_e32 v3, 0x3c000000, v3
	s_delay_alu instid0(VALU_DEP_1) | instskip(NEXT) | instid1(VALU_DEP_1)
	v_and_or_b32 v3, 0x7f800000, v13, v3
	v_cndmask_b32_e32 v2, 0, v3, vcc_lo
	s_delay_alu instid0(VALU_DEP_1)
	v_and_or_b32 v0, 0x80000000, v0, v2
.LBB25_1937:                            ;   in Loop: Header=BB25_17 Depth=1
	s_or_b32 exec_lo, exec_lo, s16
                                        ; implicit-def: $vgpr2_vgpr3
.LBB25_1938:                            ;   in Loop: Header=BB25_17 Depth=1
	s_and_not1_saveexec_b32 s15, s15
	s_cbranch_execz .LBB25_1940
; %bb.1939:                             ;   in Loop: Header=BB25_17 Depth=1
	flat_load_u8 v0, v[2:3]
	s_wait_loadcnt_dscnt 0x0
	v_lshlrev_b32_e32 v2, 25, v0
	v_lshlrev_b16 v0, 8, v0
	s_delay_alu instid0(VALU_DEP_1) | instskip(SKIP_1) | instid1(VALU_DEP_2)
	v_and_or_b32 v13, 0x7f00, v0, 0.5
	v_bfe_i32 v0, v0, 0, 16
	v_dual_add_f32 v13, -0.5, v13 :: v_dual_lshrrev_b32 v3, 4, v2
	v_cmp_gt_u32_e32 vcc_lo, 0x8000000, v2
	s_delay_alu instid0(VALU_DEP_2) | instskip(NEXT) | instid1(VALU_DEP_1)
	v_or_b32_e32 v3, 0x70000000, v3
	v_mul_f32_e32 v3, 0x7800000, v3
	s_delay_alu instid0(VALU_DEP_1) | instskip(NEXT) | instid1(VALU_DEP_1)
	v_cndmask_b32_e32 v2, v3, v13, vcc_lo
	v_and_or_b32 v0, 0x80000000, v0, v2
.LBB25_1940:                            ;   in Loop: Header=BB25_17 Depth=1
	s_or_b32 exec_lo, exec_lo, s15
	s_delay_alu instid0(SALU_CYCLE_1)
	s_or_b32 s15, s13, exec_lo
                                        ; implicit-def: $vgpr13
                                        ; implicit-def: $vgpr2_vgpr3
.LBB25_1941:                            ;   in Loop: Header=BB25_17 Depth=1
	s_and_not1_saveexec_b32 s14, s14
	s_cbranch_execz .LBB25_1951
; %bb.1942:                             ;   in Loop: Header=BB25_17 Depth=1
	s_mov_b32 s16, s15
	s_mov_b32 s17, exec_lo
                                        ; implicit-def: $vgpr0
	v_cmpx_lt_i16_e32 14, v13
	s_xor_b32 s17, exec_lo, s17
	s_cbranch_execz .LBB25_1946
; %bb.1943:                             ;   in Loop: Header=BB25_17 Depth=1
	s_mov_b32 s16, s15
	s_mov_b32 s18, exec_lo
                                        ; implicit-def: $vgpr0
	v_cmpx_eq_u16_e32 15, v13
	s_cbranch_execz .LBB25_1945
; %bb.1944:                             ;   in Loop: Header=BB25_17 Depth=1
	flat_load_u16 v0, v[2:3]
	s_or_b32 s16, s15, exec_lo
	s_wait_loadcnt_dscnt 0x0
	v_lshlrev_b32_e32 v0, 16, v0
.LBB25_1945:                            ;   in Loop: Header=BB25_17 Depth=1
	s_wait_xcnt 0x0
	s_or_b32 exec_lo, exec_lo, s18
	s_delay_alu instid0(SALU_CYCLE_1) | instskip(SKIP_1) | instid1(SALU_CYCLE_1)
	s_and_not1_b32 s18, s15, exec_lo
	s_and_b32 s16, s16, exec_lo
                                        ; implicit-def: $vgpr13
                                        ; implicit-def: $vgpr2_vgpr3
	s_or_b32 s16, s18, s16
.LBB25_1946:                            ;   in Loop: Header=BB25_17 Depth=1
	s_and_not1_saveexec_b32 s17, s17
	s_cbranch_execz .LBB25_1950
; %bb.1947:                             ;   in Loop: Header=BB25_17 Depth=1
	s_mov_b32 s18, s16
	s_mov_b32 s19, exec_lo
                                        ; implicit-def: $vgpr0
	v_cmpx_eq_u16_e32 11, v13
	s_cbranch_execz .LBB25_1949
; %bb.1948:                             ;   in Loop: Header=BB25_17 Depth=1
	flat_load_u8 v0, v[2:3]
	s_or_b32 s18, s16, exec_lo
	s_wait_loadcnt_dscnt 0x0
	v_cmp_ne_u16_e32 vcc_lo, 0, v0
	v_cndmask_b32_e64 v0, 0, 1.0, vcc_lo
.LBB25_1949:                            ;   in Loop: Header=BB25_17 Depth=1
	s_wait_xcnt 0x0
	s_or_b32 exec_lo, exec_lo, s19
	s_delay_alu instid0(SALU_CYCLE_1) | instskip(SKIP_1) | instid1(SALU_CYCLE_1)
	s_and_not1_b32 s16, s16, exec_lo
	s_and_b32 s18, s18, exec_lo
	s_or_b32 s16, s16, s18
.LBB25_1950:                            ;   in Loop: Header=BB25_17 Depth=1
	s_or_b32 exec_lo, exec_lo, s17
	s_delay_alu instid0(SALU_CYCLE_1) | instskip(SKIP_1) | instid1(SALU_CYCLE_1)
	s_and_not1_b32 s15, s15, exec_lo
	s_and_b32 s16, s16, exec_lo
	s_or_b32 s15, s15, s16
.LBB25_1951:                            ;   in Loop: Header=BB25_17 Depth=1
	s_or_b32 exec_lo, exec_lo, s14
	s_delay_alu instid0(SALU_CYCLE_1) | instskip(SKIP_1) | instid1(SALU_CYCLE_1)
	s_and_not1_b32 s13, s13, exec_lo
	s_and_b32 s14, s15, exec_lo
	s_or_b32 s13, s13, s14
.LBB25_1952:                            ;   in Loop: Header=BB25_17 Depth=1
	s_or_b32 exec_lo, exec_lo, s12
	s_delay_alu instid0(SALU_CYCLE_1)
	s_and_b32 s12, s13, exec_lo
                                        ; implicit-def: $vgpr13
                                        ; implicit-def: $vgpr2_vgpr3
	s_and_not1_saveexec_b32 s8, s8
	s_cbranch_execz .LBB25_234
.LBB25_1953:                            ;   in Loop: Header=BB25_17 Depth=1
	s_mov_b32 s13, exec_lo
                                        ; implicit-def: $vgpr0
	v_cmpx_lt_i16_e32 4, v13
	s_xor_b32 s13, exec_lo, s13
	s_cbranch_execz .LBB25_1975
; %bb.1954:                             ;   in Loop: Header=BB25_17 Depth=1
	s_mov_b32 s14, exec_lo
                                        ; implicit-def: $vgpr0
	v_cmpx_lt_i16_e32 7, v13
	s_xor_b32 s14, exec_lo, s14
	s_cbranch_execz .LBB25_1964
; %bb.1955:                             ;   in Loop: Header=BB25_17 Depth=1
	s_mov_b32 s15, exec_lo
                                        ; implicit-def: $vgpr0
	v_cmpx_lt_i16_e32 8, v13
	s_xor_b32 s15, exec_lo, s15
	s_cbranch_execz .LBB25_1961
; %bb.1956:                             ;   in Loop: Header=BB25_17 Depth=1
	s_mov_b32 s16, exec_lo
                                        ; implicit-def: $vgpr0
	v_cmpx_lt_i16_e32 9, v13
	s_xor_b32 s16, exec_lo, s16
	s_cbranch_execz .LBB25_1958
; %bb.1957:                             ;   in Loop: Header=BB25_17 Depth=1
	flat_load_b64 v[2:3], v[2:3]
	s_wait_loadcnt_dscnt 0x0
	v_cvt_f32_f64_e32 v0, v[2:3]
                                        ; implicit-def: $vgpr2_vgpr3
.LBB25_1958:                            ;   in Loop: Header=BB25_17 Depth=1
	s_wait_xcnt 0x0
	s_and_not1_saveexec_b32 s16, s16
	s_cbranch_execz .LBB25_1960
; %bb.1959:                             ;   in Loop: Header=BB25_17 Depth=1
	flat_load_b32 v0, v[2:3]
.LBB25_1960:                            ;   in Loop: Header=BB25_17 Depth=1
	s_wait_xcnt 0x0
	s_or_b32 exec_lo, exec_lo, s16
                                        ; implicit-def: $vgpr2_vgpr3
.LBB25_1961:                            ;   in Loop: Header=BB25_17 Depth=1
	s_and_not1_saveexec_b32 s15, s15
	s_cbranch_execz .LBB25_1963
; %bb.1962:                             ;   in Loop: Header=BB25_17 Depth=1
	s_wait_loadcnt_dscnt 0x0
	flat_load_b32 v0, v[2:3]
	s_wait_loadcnt_dscnt 0x0
	v_cvt_f32_f16_e32 v0, v0
.LBB25_1963:                            ;   in Loop: Header=BB25_17 Depth=1
	s_wait_xcnt 0x0
	s_or_b32 exec_lo, exec_lo, s15
                                        ; implicit-def: $vgpr2_vgpr3
                                        ; implicit-def: $vgpr13
.LBB25_1964:                            ;   in Loop: Header=BB25_17 Depth=1
	s_and_not1_saveexec_b32 s14, s14
	s_cbranch_execz .LBB25_1974
; %bb.1965:                             ;   in Loop: Header=BB25_17 Depth=1
	s_mov_b32 s15, exec_lo
                                        ; implicit-def: $vgpr0
	v_cmpx_lt_i16_e32 5, v13
	s_xor_b32 s15, exec_lo, s15
	s_cbranch_execz .LBB25_1971
; %bb.1966:                             ;   in Loop: Header=BB25_17 Depth=1
	s_mov_b32 s16, exec_lo
                                        ; implicit-def: $vgpr0
	v_cmpx_lt_i16_e32 6, v13
	s_xor_b32 s16, exec_lo, s16
	s_cbranch_execz .LBB25_1968
; %bb.1967:                             ;   in Loop: Header=BB25_17 Depth=1
	flat_load_b64 v[2:3], v[2:3]
	s_wait_loadcnt_dscnt 0x0
	v_cvt_f32_f64_e32 v0, v[2:3]
                                        ; implicit-def: $vgpr2_vgpr3
.LBB25_1968:                            ;   in Loop: Header=BB25_17 Depth=1
	s_wait_xcnt 0x0
	s_and_not1_saveexec_b32 s16, s16
	s_cbranch_execz .LBB25_1970
; %bb.1969:                             ;   in Loop: Header=BB25_17 Depth=1
	s_wait_loadcnt_dscnt 0x0
	flat_load_b32 v0, v[2:3]
.LBB25_1970:                            ;   in Loop: Header=BB25_17 Depth=1
	s_wait_xcnt 0x0
	s_or_b32 exec_lo, exec_lo, s16
                                        ; implicit-def: $vgpr2_vgpr3
.LBB25_1971:                            ;   in Loop: Header=BB25_17 Depth=1
	s_and_not1_saveexec_b32 s15, s15
	s_cbranch_execz .LBB25_1973
; %bb.1972:                             ;   in Loop: Header=BB25_17 Depth=1
	s_wait_loadcnt_dscnt 0x0
	flat_load_u16 v0, v[2:3]
	s_wait_loadcnt_dscnt 0x0
	v_cvt_f32_f16_e32 v0, v0
.LBB25_1973:                            ;   in Loop: Header=BB25_17 Depth=1
	s_wait_xcnt 0x0
	s_or_b32 exec_lo, exec_lo, s15
.LBB25_1974:                            ;   in Loop: Header=BB25_17 Depth=1
	s_delay_alu instid0(SALU_CYCLE_1)
	s_or_b32 exec_lo, exec_lo, s14
                                        ; implicit-def: $vgpr13
                                        ; implicit-def: $vgpr2_vgpr3
.LBB25_1975:                            ;   in Loop: Header=BB25_17 Depth=1
	s_and_not1_saveexec_b32 s13, s13
	s_cbranch_execz .LBB25_1993
; %bb.1976:                             ;   in Loop: Header=BB25_17 Depth=1
	s_mov_b32 s14, exec_lo
                                        ; implicit-def: $vgpr0
	v_cmpx_lt_i16_e32 1, v13
	s_xor_b32 s14, exec_lo, s14
	s_cbranch_execz .LBB25_1986
; %bb.1977:                             ;   in Loop: Header=BB25_17 Depth=1
	s_mov_b32 s15, exec_lo
                                        ; implicit-def: $vgpr0
	v_cmpx_lt_i16_e32 2, v13
	s_xor_b32 s15, exec_lo, s15
	;; [unrolled: 6-line block ×3, first 2 shown]
	s_cbranch_execz .LBB25_1980
; %bb.1979:                             ;   in Loop: Header=BB25_17 Depth=1
	flat_load_b64 v[2:3], v[2:3]
	s_wait_loadcnt_dscnt 0x0
	v_xor_b32_e32 v0, v2, v3
	v_cls_i32_e32 v13, v3
	s_delay_alu instid0(VALU_DEP_2) | instskip(NEXT) | instid1(VALU_DEP_1)
	v_ashrrev_i32_e32 v0, 31, v0
	v_add_nc_u32_e32 v0, 32, v0
	s_delay_alu instid0(VALU_DEP_1) | instskip(SKIP_1) | instid1(VALU_DEP_1)
	v_add_min_u32_e64 v0, v13, -1, v0
	s_wait_xcnt 0x0
	v_lshlrev_b64_e32 v[2:3], v0, v[2:3]
	v_sub_nc_u32_e32 v0, 32, v0
	s_delay_alu instid0(VALU_DEP_2) | instskip(NEXT) | instid1(VALU_DEP_1)
	v_min_u32_e32 v2, 1, v2
	v_or_b32_e32 v2, v3, v2
	s_delay_alu instid0(VALU_DEP_1) | instskip(NEXT) | instid1(VALU_DEP_1)
	v_cvt_f32_i32_e32 v2, v2
	v_ldexp_f32 v0, v2, v0
                                        ; implicit-def: $vgpr2_vgpr3
.LBB25_1980:                            ;   in Loop: Header=BB25_17 Depth=1
	s_and_not1_saveexec_b32 s16, s16
	s_cbranch_execz .LBB25_1982
; %bb.1981:                             ;   in Loop: Header=BB25_17 Depth=1
	s_wait_loadcnt_dscnt 0x0
	flat_load_b32 v0, v[2:3]
	s_wait_loadcnt_dscnt 0x0
	v_cvt_f32_i32_e32 v0, v0
.LBB25_1982:                            ;   in Loop: Header=BB25_17 Depth=1
	s_wait_xcnt 0x0
	s_or_b32 exec_lo, exec_lo, s16
                                        ; implicit-def: $vgpr2_vgpr3
.LBB25_1983:                            ;   in Loop: Header=BB25_17 Depth=1
	s_and_not1_saveexec_b32 s15, s15
	s_cbranch_execz .LBB25_1985
; %bb.1984:                             ;   in Loop: Header=BB25_17 Depth=1
	s_wait_loadcnt_dscnt 0x0
	flat_load_i16 v0, v[2:3]
	s_wait_loadcnt_dscnt 0x0
	v_cvt_f32_i32_e32 v0, v0
.LBB25_1985:                            ;   in Loop: Header=BB25_17 Depth=1
	s_wait_xcnt 0x0
	s_or_b32 exec_lo, exec_lo, s15
                                        ; implicit-def: $vgpr2_vgpr3
                                        ; implicit-def: $vgpr13
.LBB25_1986:                            ;   in Loop: Header=BB25_17 Depth=1
	s_and_not1_saveexec_b32 s14, s14
	s_cbranch_execz .LBB25_1992
; %bb.1987:                             ;   in Loop: Header=BB25_17 Depth=1
	s_mov_b32 s15, exec_lo
                                        ; implicit-def: $vgpr0
	v_cmpx_lt_i16_e32 0, v13
	s_xor_b32 s15, exec_lo, s15
	s_cbranch_execz .LBB25_1989
; %bb.1988:                             ;   in Loop: Header=BB25_17 Depth=1
	s_wait_loadcnt_dscnt 0x0
	flat_load_i8 v0, v[2:3]
                                        ; implicit-def: $vgpr2_vgpr3
	s_wait_loadcnt_dscnt 0x0
	v_cvt_f32_i32_e32 v0, v0
.LBB25_1989:                            ;   in Loop: Header=BB25_17 Depth=1
	s_wait_xcnt 0x0
	s_and_not1_saveexec_b32 s15, s15
	s_cbranch_execz .LBB25_1991
; %bb.1990:                             ;   in Loop: Header=BB25_17 Depth=1
	s_wait_loadcnt_dscnt 0x0
	flat_load_u8 v0, v[2:3]
	s_wait_loadcnt_dscnt 0x0
	v_cvt_f32_ubyte0_e32 v0, v0
.LBB25_1991:                            ;   in Loop: Header=BB25_17 Depth=1
	s_wait_xcnt 0x0
	s_or_b32 exec_lo, exec_lo, s15
.LBB25_1992:                            ;   in Loop: Header=BB25_17 Depth=1
	s_delay_alu instid0(SALU_CYCLE_1)
	s_or_b32 exec_lo, exec_lo, s14
.LBB25_1993:                            ;   in Loop: Header=BB25_17 Depth=1
	s_delay_alu instid0(SALU_CYCLE_1) | instskip(NEXT) | instid1(SALU_CYCLE_1)
	s_or_b32 exec_lo, exec_lo, s13
	s_or_b32 s12, s12, exec_lo
	s_or_b32 exec_lo, exec_lo, s8
	s_mov_b32 s13, 0
	s_and_saveexec_b32 s8, s12
	s_cbranch_execnz .LBB25_235
	s_branch .LBB25_236
.LBB25_1994:                            ;   in Loop: Header=BB25_17 Depth=1
	s_mov_b32 s15, exec_lo
                                        ; implicit-def: $vgpr0
	v_cmpx_lt_i16_e32 25, v13
	s_xor_b32 s15, exec_lo, s15
	s_cbranch_execz .LBB25_2026
; %bb.1995:                             ;   in Loop: Header=BB25_17 Depth=1
	s_mov_b32 s17, exec_lo
                                        ; implicit-def: $vgpr0
	v_cmpx_lt_i16_e32 28, v13
	s_xor_b32 s17, exec_lo, s17
	s_cbranch_execz .LBB25_2011
; %bb.1996:                             ;   in Loop: Header=BB25_17 Depth=1
	s_mov_b32 s18, 0
	s_mov_b32 s16, exec_lo
                                        ; implicit-def: $vgpr0
	v_cmpx_lt_i16_e32 43, v13
	s_xor_b32 s16, exec_lo, s16
	s_cbranch_execz .LBB25_2006
; %bb.1997:                             ;   in Loop: Header=BB25_17 Depth=1
	s_mov_b32 s19, exec_lo
                                        ; implicit-def: $vgpr0
	v_cmpx_lt_i16_e32 45, v13
	s_xor_b32 s19, exec_lo, s19
	s_cbranch_execz .LBB25_2001
; %bb.1998:                             ;   in Loop: Header=BB25_17 Depth=1
	s_mov_b32 s20, exec_lo
                                        ; implicit-def: $vgpr0
	v_cmpx_eq_u16_e32 46, v13
	s_cbranch_execz .LBB25_2000
; %bb.1999:                             ;   in Loop: Header=BB25_17 Depth=1
	flat_load_b32 v0, v[2:3]
	s_mov_b32 s18, exec_lo
	s_wait_loadcnt_dscnt 0x0
	v_lshlrev_b32_e32 v0, 16, v0
.LBB25_2000:                            ;   in Loop: Header=BB25_17 Depth=1
	s_wait_xcnt 0x0
	s_or_b32 exec_lo, exec_lo, s20
	s_delay_alu instid0(SALU_CYCLE_1)
	s_and_b32 s18, s18, exec_lo
                                        ; implicit-def: $vgpr13
                                        ; implicit-def: $vgpr2_vgpr3
.LBB25_2001:                            ;   in Loop: Header=BB25_17 Depth=1
	s_and_not1_saveexec_b32 s19, s19
	s_cbranch_execz .LBB25_2005
; %bb.2002:                             ;   in Loop: Header=BB25_17 Depth=1
	s_mov_b32 s21, s18
	s_mov_b32 s20, exec_lo
                                        ; implicit-def: $vgpr0
	v_cmpx_eq_u16_e32 44, v13
	s_cbranch_execz .LBB25_2004
; %bb.2003:                             ;   in Loop: Header=BB25_17 Depth=1
	flat_load_u8 v0, v[2:3]
	s_or_b32 s21, s18, exec_lo
	s_wait_loadcnt_dscnt 0x0
	v_lshlrev_b32_e32 v2, 23, v0
	v_cmp_ne_u32_e32 vcc_lo, 0xff, v0
	s_delay_alu instid0(VALU_DEP_2) | instskip(SKIP_1) | instid1(VALU_DEP_2)
	v_cndmask_b32_e32 v2, 0x7f800001, v2, vcc_lo
	v_cmp_ne_u32_e32 vcc_lo, 0, v0
	v_cndmask_b32_e32 v0, 0x400000, v2, vcc_lo
.LBB25_2004:                            ;   in Loop: Header=BB25_17 Depth=1
	s_or_b32 exec_lo, exec_lo, s20
	s_delay_alu instid0(SALU_CYCLE_1) | instskip(SKIP_1) | instid1(SALU_CYCLE_1)
	s_and_not1_b32 s18, s18, exec_lo
	s_and_b32 s20, s21, exec_lo
	s_or_b32 s18, s18, s20
.LBB25_2005:                            ;   in Loop: Header=BB25_17 Depth=1
	s_or_b32 exec_lo, exec_lo, s19
	s_delay_alu instid0(SALU_CYCLE_1)
	s_and_b32 s18, s18, exec_lo
                                        ; implicit-def: $vgpr13
                                        ; implicit-def: $vgpr2_vgpr3
.LBB25_2006:                            ;   in Loop: Header=BB25_17 Depth=1
	s_and_not1_saveexec_b32 s16, s16
	s_cbranch_execz .LBB25_2010
; %bb.2007:                             ;   in Loop: Header=BB25_17 Depth=1
	s_mov_b32 s20, s18
	s_mov_b32 s19, exec_lo
                                        ; implicit-def: $vgpr0
	v_cmpx_eq_u16_e32 29, v13
	s_cbranch_execz .LBB25_2009
; %bb.2008:                             ;   in Loop: Header=BB25_17 Depth=1
	flat_load_b64 v[2:3], v[2:3]
	s_or_b32 s20, s18, exec_lo
	s_wait_loadcnt_dscnt 0x0
	v_clz_i32_u32_e32 v0, v3
	s_delay_alu instid0(VALU_DEP_1) | instskip(SKIP_1) | instid1(VALU_DEP_1)
	v_min_u32_e32 v0, 32, v0
	s_wait_xcnt 0x0
	v_lshlrev_b64_e32 v[2:3], v0, v[2:3]
	v_sub_nc_u32_e32 v0, 32, v0
	s_delay_alu instid0(VALU_DEP_2) | instskip(NEXT) | instid1(VALU_DEP_1)
	v_min_u32_e32 v2, 1, v2
	v_or_b32_e32 v2, v3, v2
	s_delay_alu instid0(VALU_DEP_1) | instskip(NEXT) | instid1(VALU_DEP_1)
	v_cvt_f32_u32_e32 v2, v2
	v_ldexp_f32 v0, v2, v0
.LBB25_2009:                            ;   in Loop: Header=BB25_17 Depth=1
	s_or_b32 exec_lo, exec_lo, s19
	s_delay_alu instid0(SALU_CYCLE_1) | instskip(SKIP_1) | instid1(SALU_CYCLE_1)
	s_and_not1_b32 s18, s18, exec_lo
	s_and_b32 s19, s20, exec_lo
	s_or_b32 s18, s18, s19
.LBB25_2010:                            ;   in Loop: Header=BB25_17 Depth=1
	s_or_b32 exec_lo, exec_lo, s16
	s_delay_alu instid0(SALU_CYCLE_1)
	s_and_b32 s16, s18, exec_lo
                                        ; implicit-def: $vgpr13
                                        ; implicit-def: $vgpr2_vgpr3
.LBB25_2011:                            ;   in Loop: Header=BB25_17 Depth=1
	s_and_not1_saveexec_b32 s17, s17
	s_cbranch_execz .LBB25_2025
; %bb.2012:                             ;   in Loop: Header=BB25_17 Depth=1
	s_mov_b32 s18, exec_lo
                                        ; implicit-def: $vgpr0
	v_cmpx_lt_i16_e32 26, v13
	s_xor_b32 s18, exec_lo, s18
	s_cbranch_execz .LBB25_2018
; %bb.2013:                             ;   in Loop: Header=BB25_17 Depth=1
	s_mov_b32 s19, exec_lo
                                        ; implicit-def: $vgpr0
	v_cmpx_lt_i16_e32 27, v13
	s_xor_b32 s19, exec_lo, s19
	s_cbranch_execz .LBB25_2015
; %bb.2014:                             ;   in Loop: Header=BB25_17 Depth=1
	flat_load_b32 v0, v[2:3]
                                        ; implicit-def: $vgpr2_vgpr3
	s_wait_loadcnt_dscnt 0x0
	v_cvt_f32_u32_e32 v0, v0
.LBB25_2015:                            ;   in Loop: Header=BB25_17 Depth=1
	s_wait_xcnt 0x0
	s_and_not1_saveexec_b32 s19, s19
	s_cbranch_execz .LBB25_2017
; %bb.2016:                             ;   in Loop: Header=BB25_17 Depth=1
	flat_load_u16 v0, v[2:3]
	s_wait_loadcnt_dscnt 0x0
	v_cvt_f32_u32_e32 v0, v0
.LBB25_2017:                            ;   in Loop: Header=BB25_17 Depth=1
	s_wait_xcnt 0x0
	s_or_b32 exec_lo, exec_lo, s19
                                        ; implicit-def: $vgpr2_vgpr3
.LBB25_2018:                            ;   in Loop: Header=BB25_17 Depth=1
	s_and_not1_saveexec_b32 s18, s18
	s_cbranch_execz .LBB25_2024
; %bb.2019:                             ;   in Loop: Header=BB25_17 Depth=1
	flat_load_u8 v2, v[2:3]
	s_mov_b32 s19, 0
	s_mov_b32 s20, exec_lo
	s_wait_loadcnt_dscnt 0x0
	v_cmpx_lt_i16_e32 0x7f, v2
	s_xor_b32 s20, exec_lo, s20
	s_cbranch_execnz .LBB25_2538
; %bb.2020:                             ;   in Loop: Header=BB25_17 Depth=1
	s_or_saveexec_b32 s20, s20
	v_mov_b32_e32 v0, 0x7f800001
	s_xor_b32 exec_lo, exec_lo, s20
	s_cbranch_execnz .LBB25_2541
.LBB25_2021:                            ;   in Loop: Header=BB25_17 Depth=1
	s_or_b32 exec_lo, exec_lo, s20
	s_and_saveexec_b32 s20, s19
	s_cbranch_execz .LBB25_2023
.LBB25_2022:                            ;   in Loop: Header=BB25_17 Depth=1
	v_and_b32_e32 v0, 0xffff, v2
	s_delay_alu instid0(VALU_DEP_1) | instskip(SKIP_1) | instid1(VALU_DEP_2)
	v_and_b32_e32 v3, 7, v0
	v_bfe_u32 v15, v0, 3, 4
	v_clz_i32_u32_e32 v13, v3
	s_delay_alu instid0(VALU_DEP_2) | instskip(NEXT) | instid1(VALU_DEP_2)
	v_cmp_eq_u32_e32 vcc_lo, 0, v15
	v_min_u32_e32 v13, 32, v13
	s_delay_alu instid0(VALU_DEP_1) | instskip(NEXT) | instid1(VALU_DEP_1)
	v_subrev_nc_u32_e32 v14, 28, v13
	v_dual_lshlrev_b32 v0, v14, v0 :: v_dual_sub_nc_u32 v13, 29, v13
	s_delay_alu instid0(VALU_DEP_1) | instskip(NEXT) | instid1(VALU_DEP_2)
	v_dual_lshlrev_b32 v2, 24, v2 :: v_dual_bitop2_b32 v0, 7, v0 bitop3:0x40
	v_cndmask_b32_e32 v13, v15, v13, vcc_lo
	s_delay_alu instid0(VALU_DEP_2) | instskip(NEXT) | instid1(VALU_DEP_3)
	v_cndmask_b32_e32 v0, v3, v0, vcc_lo
	v_and_b32_e32 v2, 0x80000000, v2
	s_delay_alu instid0(VALU_DEP_3) | instskip(NEXT) | instid1(VALU_DEP_3)
	v_lshl_add_u32 v3, v13, 23, 0x3b800000
	v_lshlrev_b32_e32 v0, 20, v0
	s_delay_alu instid0(VALU_DEP_1)
	v_or3_b32 v0, v2, v3, v0
.LBB25_2023:                            ;   in Loop: Header=BB25_17 Depth=1
	s_or_b32 exec_lo, exec_lo, s20
.LBB25_2024:                            ;   in Loop: Header=BB25_17 Depth=1
	s_delay_alu instid0(SALU_CYCLE_1) | instskip(NEXT) | instid1(SALU_CYCLE_1)
	s_or_b32 exec_lo, exec_lo, s18
	s_or_b32 s16, s16, exec_lo
.LBB25_2025:                            ;   in Loop: Header=BB25_17 Depth=1
	s_or_b32 exec_lo, exec_lo, s17
	s_delay_alu instid0(SALU_CYCLE_1)
	s_and_b32 s16, s16, exec_lo
                                        ; implicit-def: $vgpr13
                                        ; implicit-def: $vgpr2_vgpr3
.LBB25_2026:                            ;   in Loop: Header=BB25_17 Depth=1
	s_and_not1_saveexec_b32 s15, s15
	s_cbranch_execz .LBB25_2052
; %bb.2027:                             ;   in Loop: Header=BB25_17 Depth=1
	s_mov_b32 s18, s16
	s_mov_b32 s17, exec_lo
                                        ; implicit-def: $vgpr0
	v_cmpx_lt_i16_e32 22, v13
	s_xor_b32 s17, exec_lo, s17
	s_cbranch_execz .LBB25_2041
; %bb.2028:                             ;   in Loop: Header=BB25_17 Depth=1
	s_mov_b32 s18, exec_lo
                                        ; implicit-def: $vgpr0
	v_cmpx_lt_i16_e32 23, v13
	s_xor_b32 s18, exec_lo, s18
	s_cbranch_execz .LBB25_2038
; %bb.2029:                             ;   in Loop: Header=BB25_17 Depth=1
	;; [unrolled: 6-line block ×3, first 2 shown]
	flat_load_u8 v2, v[2:3]
	s_mov_b32 s20, 0
	s_mov_b32 s21, exec_lo
	s_wait_loadcnt_dscnt 0x0
	v_cmpx_lt_i16_e32 0x7f, v2
	s_xor_b32 s21, exec_lo, s21
	s_cbranch_execnz .LBB25_2650
; %bb.2031:                             ;   in Loop: Header=BB25_17 Depth=1
	s_or_saveexec_b32 s21, s21
	v_mov_b32_e32 v0, 0x7f800001
	s_xor_b32 exec_lo, exec_lo, s21
	s_cbranch_execnz .LBB25_2653
.LBB25_2032:                            ;   in Loop: Header=BB25_17 Depth=1
	s_or_b32 exec_lo, exec_lo, s21
	s_and_saveexec_b32 s21, s20
	s_cbranch_execz .LBB25_2034
.LBB25_2033:                            ;   in Loop: Header=BB25_17 Depth=1
	v_and_b32_e32 v0, 0xffff, v2
	s_delay_alu instid0(VALU_DEP_1) | instskip(SKIP_1) | instid1(VALU_DEP_2)
	v_and_b32_e32 v3, 3, v0
	v_bfe_u32 v15, v0, 2, 5
	v_clz_i32_u32_e32 v13, v3
	s_delay_alu instid0(VALU_DEP_2) | instskip(NEXT) | instid1(VALU_DEP_2)
	v_cmp_eq_u32_e32 vcc_lo, 0, v15
	v_min_u32_e32 v13, 32, v13
	s_delay_alu instid0(VALU_DEP_1) | instskip(NEXT) | instid1(VALU_DEP_1)
	v_subrev_nc_u32_e32 v14, 29, v13
	v_dual_lshlrev_b32 v0, v14, v0 :: v_dual_sub_nc_u32 v13, 30, v13
	s_delay_alu instid0(VALU_DEP_1) | instskip(NEXT) | instid1(VALU_DEP_2)
	v_dual_lshlrev_b32 v2, 24, v2 :: v_dual_bitop2_b32 v0, 3, v0 bitop3:0x40
	v_cndmask_b32_e32 v13, v15, v13, vcc_lo
	s_delay_alu instid0(VALU_DEP_2) | instskip(NEXT) | instid1(VALU_DEP_3)
	v_cndmask_b32_e32 v0, v3, v0, vcc_lo
	v_and_b32_e32 v2, 0x80000000, v2
	s_delay_alu instid0(VALU_DEP_3) | instskip(NEXT) | instid1(VALU_DEP_3)
	v_lshl_add_u32 v3, v13, 23, 0x37800000
	v_lshlrev_b32_e32 v0, 21, v0
	s_delay_alu instid0(VALU_DEP_1)
	v_or3_b32 v0, v2, v3, v0
.LBB25_2034:                            ;   in Loop: Header=BB25_17 Depth=1
	s_or_b32 exec_lo, exec_lo, s21
                                        ; implicit-def: $vgpr2_vgpr3
.LBB25_2035:                            ;   in Loop: Header=BB25_17 Depth=1
	s_and_not1_saveexec_b32 s19, s19
	s_cbranch_execz .LBB25_2037
; %bb.2036:                             ;   in Loop: Header=BB25_17 Depth=1
	flat_load_u8 v0, v[2:3]
	s_wait_loadcnt_dscnt 0x0
	v_lshlrev_b32_e32 v0, 24, v0
	s_wait_xcnt 0x0
	s_delay_alu instid0(VALU_DEP_1) | instskip(NEXT) | instid1(VALU_DEP_1)
	v_and_b32_e32 v2, 0x7f000000, v0
	v_clz_i32_u32_e32 v3, v2
	v_add_nc_u32_e32 v14, 0x1000000, v2
	v_cmp_ne_u32_e32 vcc_lo, 0, v2
	s_delay_alu instid0(VALU_DEP_3) | instskip(NEXT) | instid1(VALU_DEP_1)
	v_min_u32_e32 v3, 32, v3
	v_sub_nc_u32_e64 v3, v3, 4 clamp
	s_delay_alu instid0(VALU_DEP_1) | instskip(NEXT) | instid1(VALU_DEP_1)
	v_dual_lshlrev_b32 v13, v3, v2 :: v_dual_lshlrev_b32 v3, 23, v3
	v_lshrrev_b32_e32 v13, 4, v13
	s_delay_alu instid0(VALU_DEP_1) | instskip(NEXT) | instid1(VALU_DEP_1)
	v_dual_sub_nc_u32 v3, v13, v3 :: v_dual_ashrrev_i32 v13, 8, v14
	v_add_nc_u32_e32 v3, 0x3c000000, v3
	s_delay_alu instid0(VALU_DEP_1) | instskip(NEXT) | instid1(VALU_DEP_1)
	v_and_or_b32 v3, 0x7f800000, v13, v3
	v_cndmask_b32_e32 v2, 0, v3, vcc_lo
	s_delay_alu instid0(VALU_DEP_1)
	v_and_or_b32 v0, 0x80000000, v0, v2
.LBB25_2037:                            ;   in Loop: Header=BB25_17 Depth=1
	s_or_b32 exec_lo, exec_lo, s19
                                        ; implicit-def: $vgpr2_vgpr3
.LBB25_2038:                            ;   in Loop: Header=BB25_17 Depth=1
	s_and_not1_saveexec_b32 s18, s18
	s_cbranch_execz .LBB25_2040
; %bb.2039:                             ;   in Loop: Header=BB25_17 Depth=1
	flat_load_u8 v0, v[2:3]
	s_wait_loadcnt_dscnt 0x0
	v_lshlrev_b32_e32 v2, 25, v0
	v_lshlrev_b16 v0, 8, v0
	s_delay_alu instid0(VALU_DEP_1) | instskip(SKIP_1) | instid1(VALU_DEP_2)
	v_and_or_b32 v13, 0x7f00, v0, 0.5
	v_bfe_i32 v0, v0, 0, 16
	v_dual_add_f32 v13, -0.5, v13 :: v_dual_lshrrev_b32 v3, 4, v2
	v_cmp_gt_u32_e32 vcc_lo, 0x8000000, v2
	s_delay_alu instid0(VALU_DEP_2) | instskip(NEXT) | instid1(VALU_DEP_1)
	v_or_b32_e32 v3, 0x70000000, v3
	v_mul_f32_e32 v3, 0x7800000, v3
	s_delay_alu instid0(VALU_DEP_1) | instskip(NEXT) | instid1(VALU_DEP_1)
	v_cndmask_b32_e32 v2, v3, v13, vcc_lo
	v_and_or_b32 v0, 0x80000000, v0, v2
.LBB25_2040:                            ;   in Loop: Header=BB25_17 Depth=1
	s_or_b32 exec_lo, exec_lo, s18
	s_delay_alu instid0(SALU_CYCLE_1)
	s_or_b32 s18, s16, exec_lo
                                        ; implicit-def: $vgpr13
                                        ; implicit-def: $vgpr2_vgpr3
.LBB25_2041:                            ;   in Loop: Header=BB25_17 Depth=1
	s_and_not1_saveexec_b32 s17, s17
	s_cbranch_execz .LBB25_2051
; %bb.2042:                             ;   in Loop: Header=BB25_17 Depth=1
	s_mov_b32 s19, s18
	s_mov_b32 s20, exec_lo
                                        ; implicit-def: $vgpr0
	v_cmpx_lt_i16_e32 14, v13
	s_xor_b32 s20, exec_lo, s20
	s_cbranch_execz .LBB25_2046
; %bb.2043:                             ;   in Loop: Header=BB25_17 Depth=1
	s_mov_b32 s19, s18
	s_mov_b32 s21, exec_lo
                                        ; implicit-def: $vgpr0
	v_cmpx_eq_u16_e32 15, v13
	s_cbranch_execz .LBB25_2045
; %bb.2044:                             ;   in Loop: Header=BB25_17 Depth=1
	flat_load_u16 v0, v[2:3]
	s_or_b32 s19, s18, exec_lo
	s_wait_loadcnt_dscnt 0x0
	v_lshlrev_b32_e32 v0, 16, v0
.LBB25_2045:                            ;   in Loop: Header=BB25_17 Depth=1
	s_wait_xcnt 0x0
	s_or_b32 exec_lo, exec_lo, s21
	s_delay_alu instid0(SALU_CYCLE_1) | instskip(SKIP_1) | instid1(SALU_CYCLE_1)
	s_and_not1_b32 s21, s18, exec_lo
	s_and_b32 s19, s19, exec_lo
                                        ; implicit-def: $vgpr13
                                        ; implicit-def: $vgpr2_vgpr3
	s_or_b32 s19, s21, s19
.LBB25_2046:                            ;   in Loop: Header=BB25_17 Depth=1
	s_and_not1_saveexec_b32 s20, s20
	s_cbranch_execz .LBB25_2050
; %bb.2047:                             ;   in Loop: Header=BB25_17 Depth=1
	s_mov_b32 s21, s19
	s_mov_b32 s22, exec_lo
                                        ; implicit-def: $vgpr0
	v_cmpx_eq_u16_e32 11, v13
	s_cbranch_execz .LBB25_2049
; %bb.2048:                             ;   in Loop: Header=BB25_17 Depth=1
	flat_load_u8 v0, v[2:3]
	s_or_b32 s21, s19, exec_lo
	s_wait_loadcnt_dscnt 0x0
	v_cmp_ne_u16_e32 vcc_lo, 0, v0
	v_cndmask_b32_e64 v0, 0, 1.0, vcc_lo
.LBB25_2049:                            ;   in Loop: Header=BB25_17 Depth=1
	s_wait_xcnt 0x0
	s_or_b32 exec_lo, exec_lo, s22
	s_delay_alu instid0(SALU_CYCLE_1) | instskip(SKIP_1) | instid1(SALU_CYCLE_1)
	s_and_not1_b32 s19, s19, exec_lo
	s_and_b32 s21, s21, exec_lo
	s_or_b32 s19, s19, s21
.LBB25_2050:                            ;   in Loop: Header=BB25_17 Depth=1
	s_or_b32 exec_lo, exec_lo, s20
	s_delay_alu instid0(SALU_CYCLE_1) | instskip(SKIP_1) | instid1(SALU_CYCLE_1)
	s_and_not1_b32 s18, s18, exec_lo
	s_and_b32 s19, s19, exec_lo
	s_or_b32 s18, s18, s19
.LBB25_2051:                            ;   in Loop: Header=BB25_17 Depth=1
	s_or_b32 exec_lo, exec_lo, s17
	s_delay_alu instid0(SALU_CYCLE_1) | instskip(SKIP_1) | instid1(SALU_CYCLE_1)
	s_and_not1_b32 s16, s16, exec_lo
	s_and_b32 s17, s18, exec_lo
	s_or_b32 s16, s16, s17
.LBB25_2052:                            ;   in Loop: Header=BB25_17 Depth=1
	s_or_b32 exec_lo, exec_lo, s15
	s_delay_alu instid0(SALU_CYCLE_1)
	s_and_b32 s15, s16, exec_lo
                                        ; implicit-def: $vgpr13
                                        ; implicit-def: $vgpr2_vgpr3
	s_and_not1_saveexec_b32 s11, s11
	s_cbranch_execz .LBB25_345
.LBB25_2053:                            ;   in Loop: Header=BB25_17 Depth=1
	s_mov_b32 s16, exec_lo
                                        ; implicit-def: $vgpr0
	v_cmpx_lt_i16_e32 4, v13
	s_xor_b32 s16, exec_lo, s16
	s_cbranch_execz .LBB25_2075
; %bb.2054:                             ;   in Loop: Header=BB25_17 Depth=1
	s_mov_b32 s17, exec_lo
                                        ; implicit-def: $vgpr0
	v_cmpx_lt_i16_e32 7, v13
	s_xor_b32 s17, exec_lo, s17
	s_cbranch_execz .LBB25_2064
; %bb.2055:                             ;   in Loop: Header=BB25_17 Depth=1
	;; [unrolled: 6-line block ×4, first 2 shown]
	flat_load_b64 v[2:3], v[2:3]
	s_wait_loadcnt_dscnt 0x0
	v_cvt_f32_f64_e32 v0, v[2:3]
                                        ; implicit-def: $vgpr2_vgpr3
.LBB25_2058:                            ;   in Loop: Header=BB25_17 Depth=1
	s_wait_xcnt 0x0
	s_and_not1_saveexec_b32 s19, s19
	s_cbranch_execz .LBB25_2060
; %bb.2059:                             ;   in Loop: Header=BB25_17 Depth=1
	flat_load_b32 v0, v[2:3]
.LBB25_2060:                            ;   in Loop: Header=BB25_17 Depth=1
	s_wait_xcnt 0x0
	s_or_b32 exec_lo, exec_lo, s19
                                        ; implicit-def: $vgpr2_vgpr3
.LBB25_2061:                            ;   in Loop: Header=BB25_17 Depth=1
	s_and_not1_saveexec_b32 s18, s18
	s_cbranch_execz .LBB25_2063
; %bb.2062:                             ;   in Loop: Header=BB25_17 Depth=1
	s_wait_loadcnt_dscnt 0x0
	flat_load_b32 v0, v[2:3]
	s_wait_loadcnt_dscnt 0x0
	v_cvt_f32_f16_e32 v0, v0
.LBB25_2063:                            ;   in Loop: Header=BB25_17 Depth=1
	s_wait_xcnt 0x0
	s_or_b32 exec_lo, exec_lo, s18
                                        ; implicit-def: $vgpr2_vgpr3
                                        ; implicit-def: $vgpr13
.LBB25_2064:                            ;   in Loop: Header=BB25_17 Depth=1
	s_and_not1_saveexec_b32 s17, s17
	s_cbranch_execz .LBB25_2074
; %bb.2065:                             ;   in Loop: Header=BB25_17 Depth=1
	s_mov_b32 s18, exec_lo
                                        ; implicit-def: $vgpr0
	v_cmpx_lt_i16_e32 5, v13
	s_xor_b32 s18, exec_lo, s18
	s_cbranch_execz .LBB25_2071
; %bb.2066:                             ;   in Loop: Header=BB25_17 Depth=1
	s_mov_b32 s19, exec_lo
                                        ; implicit-def: $vgpr0
	v_cmpx_lt_i16_e32 6, v13
	s_xor_b32 s19, exec_lo, s19
	s_cbranch_execz .LBB25_2068
; %bb.2067:                             ;   in Loop: Header=BB25_17 Depth=1
	flat_load_b64 v[2:3], v[2:3]
	s_wait_loadcnt_dscnt 0x0
	v_cvt_f32_f64_e32 v0, v[2:3]
                                        ; implicit-def: $vgpr2_vgpr3
.LBB25_2068:                            ;   in Loop: Header=BB25_17 Depth=1
	s_wait_xcnt 0x0
	s_and_not1_saveexec_b32 s19, s19
	s_cbranch_execz .LBB25_2070
; %bb.2069:                             ;   in Loop: Header=BB25_17 Depth=1
	s_wait_loadcnt_dscnt 0x0
	flat_load_b32 v0, v[2:3]
.LBB25_2070:                            ;   in Loop: Header=BB25_17 Depth=1
	s_wait_xcnt 0x0
	s_or_b32 exec_lo, exec_lo, s19
                                        ; implicit-def: $vgpr2_vgpr3
.LBB25_2071:                            ;   in Loop: Header=BB25_17 Depth=1
	s_and_not1_saveexec_b32 s18, s18
	s_cbranch_execz .LBB25_2073
; %bb.2072:                             ;   in Loop: Header=BB25_17 Depth=1
	s_wait_loadcnt_dscnt 0x0
	flat_load_u16 v0, v[2:3]
	s_wait_loadcnt_dscnt 0x0
	v_cvt_f32_f16_e32 v0, v0
.LBB25_2073:                            ;   in Loop: Header=BB25_17 Depth=1
	s_wait_xcnt 0x0
	s_or_b32 exec_lo, exec_lo, s18
.LBB25_2074:                            ;   in Loop: Header=BB25_17 Depth=1
	s_delay_alu instid0(SALU_CYCLE_1)
	s_or_b32 exec_lo, exec_lo, s17
                                        ; implicit-def: $vgpr13
                                        ; implicit-def: $vgpr2_vgpr3
.LBB25_2075:                            ;   in Loop: Header=BB25_17 Depth=1
	s_and_not1_saveexec_b32 s16, s16
	s_cbranch_execz .LBB25_2093
; %bb.2076:                             ;   in Loop: Header=BB25_17 Depth=1
	s_mov_b32 s17, exec_lo
                                        ; implicit-def: $vgpr0
	v_cmpx_lt_i16_e32 1, v13
	s_xor_b32 s17, exec_lo, s17
	s_cbranch_execz .LBB25_2086
; %bb.2077:                             ;   in Loop: Header=BB25_17 Depth=1
	s_mov_b32 s18, exec_lo
                                        ; implicit-def: $vgpr0
	v_cmpx_lt_i16_e32 2, v13
	s_xor_b32 s18, exec_lo, s18
	;; [unrolled: 6-line block ×3, first 2 shown]
	s_cbranch_execz .LBB25_2080
; %bb.2079:                             ;   in Loop: Header=BB25_17 Depth=1
	flat_load_b64 v[2:3], v[2:3]
	s_wait_loadcnt_dscnt 0x0
	v_xor_b32_e32 v0, v2, v3
	v_cls_i32_e32 v13, v3
	s_delay_alu instid0(VALU_DEP_2) | instskip(NEXT) | instid1(VALU_DEP_1)
	v_ashrrev_i32_e32 v0, 31, v0
	v_add_nc_u32_e32 v0, 32, v0
	s_delay_alu instid0(VALU_DEP_1) | instskip(SKIP_1) | instid1(VALU_DEP_1)
	v_add_min_u32_e64 v0, v13, -1, v0
	s_wait_xcnt 0x0
	v_lshlrev_b64_e32 v[2:3], v0, v[2:3]
	v_sub_nc_u32_e32 v0, 32, v0
	s_delay_alu instid0(VALU_DEP_2) | instskip(NEXT) | instid1(VALU_DEP_1)
	v_min_u32_e32 v2, 1, v2
	v_or_b32_e32 v2, v3, v2
	s_delay_alu instid0(VALU_DEP_1) | instskip(NEXT) | instid1(VALU_DEP_1)
	v_cvt_f32_i32_e32 v2, v2
	v_ldexp_f32 v0, v2, v0
                                        ; implicit-def: $vgpr2_vgpr3
.LBB25_2080:                            ;   in Loop: Header=BB25_17 Depth=1
	s_and_not1_saveexec_b32 s19, s19
	s_cbranch_execz .LBB25_2082
; %bb.2081:                             ;   in Loop: Header=BB25_17 Depth=1
	s_wait_loadcnt_dscnt 0x0
	flat_load_b32 v0, v[2:3]
	s_wait_loadcnt_dscnt 0x0
	v_cvt_f32_i32_e32 v0, v0
.LBB25_2082:                            ;   in Loop: Header=BB25_17 Depth=1
	s_wait_xcnt 0x0
	s_or_b32 exec_lo, exec_lo, s19
                                        ; implicit-def: $vgpr2_vgpr3
.LBB25_2083:                            ;   in Loop: Header=BB25_17 Depth=1
	s_and_not1_saveexec_b32 s18, s18
	s_cbranch_execz .LBB25_2085
; %bb.2084:                             ;   in Loop: Header=BB25_17 Depth=1
	s_wait_loadcnt_dscnt 0x0
	flat_load_i16 v0, v[2:3]
	s_wait_loadcnt_dscnt 0x0
	v_cvt_f32_i32_e32 v0, v0
.LBB25_2085:                            ;   in Loop: Header=BB25_17 Depth=1
	s_wait_xcnt 0x0
	s_or_b32 exec_lo, exec_lo, s18
                                        ; implicit-def: $vgpr2_vgpr3
                                        ; implicit-def: $vgpr13
.LBB25_2086:                            ;   in Loop: Header=BB25_17 Depth=1
	s_and_not1_saveexec_b32 s17, s17
	s_cbranch_execz .LBB25_2092
; %bb.2087:                             ;   in Loop: Header=BB25_17 Depth=1
	s_mov_b32 s18, exec_lo
                                        ; implicit-def: $vgpr0
	v_cmpx_lt_i16_e32 0, v13
	s_xor_b32 s18, exec_lo, s18
	s_cbranch_execz .LBB25_2089
; %bb.2088:                             ;   in Loop: Header=BB25_17 Depth=1
	s_wait_loadcnt_dscnt 0x0
	flat_load_i8 v0, v[2:3]
                                        ; implicit-def: $vgpr2_vgpr3
	s_wait_loadcnt_dscnt 0x0
	v_cvt_f32_i32_e32 v0, v0
.LBB25_2089:                            ;   in Loop: Header=BB25_17 Depth=1
	s_wait_xcnt 0x0
	s_and_not1_saveexec_b32 s18, s18
	s_cbranch_execz .LBB25_2091
; %bb.2090:                             ;   in Loop: Header=BB25_17 Depth=1
	s_wait_loadcnt_dscnt 0x0
	flat_load_u8 v0, v[2:3]
	s_wait_loadcnt_dscnt 0x0
	v_cvt_f32_ubyte0_e32 v0, v0
.LBB25_2091:                            ;   in Loop: Header=BB25_17 Depth=1
	s_wait_xcnt 0x0
	s_or_b32 exec_lo, exec_lo, s18
.LBB25_2092:                            ;   in Loop: Header=BB25_17 Depth=1
	s_delay_alu instid0(SALU_CYCLE_1)
	s_or_b32 exec_lo, exec_lo, s17
.LBB25_2093:                            ;   in Loop: Header=BB25_17 Depth=1
	s_delay_alu instid0(SALU_CYCLE_1) | instskip(NEXT) | instid1(SALU_CYCLE_1)
	s_or_b32 exec_lo, exec_lo, s16
	s_or_b32 s15, s15, exec_lo
	s_or_b32 exec_lo, exec_lo, s11
	s_mov_b32 s16, 0
	s_and_saveexec_b32 s11, s15
	s_cbranch_execnz .LBB25_346
	s_branch .LBB25_347
.LBB25_2094:                            ;   in Loop: Header=BB25_17 Depth=1
	s_mov_b32 s12, -1
	s_mov_b32 s14, exec_lo
	v_cmpx_eq_u16_e32 0x80, v2
; %bb.2095:                             ;   in Loop: Header=BB25_17 Depth=1
	s_xor_b32 s12, exec_lo, -1
; %bb.2096:                             ;   in Loop: Header=BB25_17 Depth=1
	s_or_b32 exec_lo, exec_lo, s14
	s_delay_alu instid0(SALU_CYCLE_1)
	s_and_b32 s12, s12, exec_lo
	s_or_saveexec_b32 s13, s13
	v_mov_b32_e32 v0, 0x7f800001
	s_xor_b32 exec_lo, exec_lo, s13
	s_cbranch_execz .LBB25_46
.LBB25_2097:                            ;   in Loop: Header=BB25_17 Depth=1
	v_cmp_ne_u16_e32 vcc_lo, 0, v2
	v_mov_b32_e32 v0, 0
	s_and_not1_b32 s12, s12, exec_lo
	s_and_b32 s14, vcc_lo, exec_lo
	s_delay_alu instid0(SALU_CYCLE_1)
	s_or_b32 s12, s12, s14
	s_or_b32 exec_lo, exec_lo, s13
	s_and_saveexec_b32 s13, s12
	s_cbranch_execnz .LBB25_47
	s_branch .LBB25_48
.LBB25_2098:                            ;   in Loop: Header=BB25_17 Depth=1
	s_mov_b32 s18, exec_lo
                                        ; implicit-def: $vgpr0
	v_cmpx_lt_i16_e32 25, v13
	s_xor_b32 s18, exec_lo, s18
	s_cbranch_execz .LBB25_2130
; %bb.2099:                             ;   in Loop: Header=BB25_17 Depth=1
	s_mov_b32 s20, exec_lo
                                        ; implicit-def: $vgpr0
	v_cmpx_lt_i16_e32 28, v13
	s_xor_b32 s20, exec_lo, s20
	s_cbranch_execz .LBB25_2115
; %bb.2100:                             ;   in Loop: Header=BB25_17 Depth=1
	s_mov_b32 s21, 0
	s_mov_b32 s19, exec_lo
                                        ; implicit-def: $vgpr0
	v_cmpx_lt_i16_e32 43, v13
	s_xor_b32 s19, exec_lo, s19
	s_cbranch_execz .LBB25_2110
; %bb.2101:                             ;   in Loop: Header=BB25_17 Depth=1
	s_mov_b32 s22, exec_lo
                                        ; implicit-def: $vgpr0
	v_cmpx_lt_i16_e32 45, v13
	s_xor_b32 s22, exec_lo, s22
	s_cbranch_execz .LBB25_2105
; %bb.2102:                             ;   in Loop: Header=BB25_17 Depth=1
	s_mov_b32 s23, exec_lo
                                        ; implicit-def: $vgpr0
	v_cmpx_eq_u16_e32 46, v13
	s_cbranch_execz .LBB25_2104
; %bb.2103:                             ;   in Loop: Header=BB25_17 Depth=1
	flat_load_b32 v0, v[2:3]
	s_mov_b32 s21, exec_lo
	s_wait_loadcnt_dscnt 0x0
	v_lshlrev_b32_e32 v0, 16, v0
.LBB25_2104:                            ;   in Loop: Header=BB25_17 Depth=1
	s_wait_xcnt 0x0
	s_or_b32 exec_lo, exec_lo, s23
	s_delay_alu instid0(SALU_CYCLE_1)
	s_and_b32 s21, s21, exec_lo
                                        ; implicit-def: $vgpr13
                                        ; implicit-def: $vgpr2_vgpr3
.LBB25_2105:                            ;   in Loop: Header=BB25_17 Depth=1
	s_and_not1_saveexec_b32 s22, s22
	s_cbranch_execz .LBB25_2109
; %bb.2106:                             ;   in Loop: Header=BB25_17 Depth=1
	s_mov_b32 s24, s21
	s_mov_b32 s23, exec_lo
                                        ; implicit-def: $vgpr0
	v_cmpx_eq_u16_e32 44, v13
	s_cbranch_execz .LBB25_2108
; %bb.2107:                             ;   in Loop: Header=BB25_17 Depth=1
	flat_load_u8 v0, v[2:3]
	s_or_b32 s24, s21, exec_lo
	s_wait_loadcnt_dscnt 0x0
	v_lshlrev_b32_e32 v2, 23, v0
	v_cmp_ne_u32_e32 vcc_lo, 0xff, v0
	s_delay_alu instid0(VALU_DEP_2) | instskip(SKIP_1) | instid1(VALU_DEP_2)
	v_cndmask_b32_e32 v2, 0x7f800001, v2, vcc_lo
	v_cmp_ne_u32_e32 vcc_lo, 0, v0
	v_cndmask_b32_e32 v0, 0x400000, v2, vcc_lo
.LBB25_2108:                            ;   in Loop: Header=BB25_17 Depth=1
	s_or_b32 exec_lo, exec_lo, s23
	s_delay_alu instid0(SALU_CYCLE_1) | instskip(SKIP_1) | instid1(SALU_CYCLE_1)
	s_and_not1_b32 s21, s21, exec_lo
	s_and_b32 s23, s24, exec_lo
	s_or_b32 s21, s21, s23
.LBB25_2109:                            ;   in Loop: Header=BB25_17 Depth=1
	s_or_b32 exec_lo, exec_lo, s22
	s_delay_alu instid0(SALU_CYCLE_1)
	s_and_b32 s21, s21, exec_lo
                                        ; implicit-def: $vgpr13
                                        ; implicit-def: $vgpr2_vgpr3
.LBB25_2110:                            ;   in Loop: Header=BB25_17 Depth=1
	s_and_not1_saveexec_b32 s19, s19
	s_cbranch_execz .LBB25_2114
; %bb.2111:                             ;   in Loop: Header=BB25_17 Depth=1
	s_mov_b32 s23, s21
	s_mov_b32 s22, exec_lo
                                        ; implicit-def: $vgpr0
	v_cmpx_eq_u16_e32 29, v13
	s_cbranch_execz .LBB25_2113
; %bb.2112:                             ;   in Loop: Header=BB25_17 Depth=1
	flat_load_b64 v[2:3], v[2:3]
	s_or_b32 s23, s21, exec_lo
	s_wait_loadcnt_dscnt 0x0
	v_clz_i32_u32_e32 v0, v3
	s_delay_alu instid0(VALU_DEP_1) | instskip(SKIP_1) | instid1(VALU_DEP_1)
	v_min_u32_e32 v0, 32, v0
	s_wait_xcnt 0x0
	v_lshlrev_b64_e32 v[2:3], v0, v[2:3]
	v_sub_nc_u32_e32 v0, 32, v0
	s_delay_alu instid0(VALU_DEP_2) | instskip(NEXT) | instid1(VALU_DEP_1)
	v_min_u32_e32 v2, 1, v2
	v_or_b32_e32 v2, v3, v2
	s_delay_alu instid0(VALU_DEP_1) | instskip(NEXT) | instid1(VALU_DEP_1)
	v_cvt_f32_u32_e32 v2, v2
	v_ldexp_f32 v0, v2, v0
.LBB25_2113:                            ;   in Loop: Header=BB25_17 Depth=1
	s_or_b32 exec_lo, exec_lo, s22
	s_delay_alu instid0(SALU_CYCLE_1) | instskip(SKIP_1) | instid1(SALU_CYCLE_1)
	s_and_not1_b32 s21, s21, exec_lo
	s_and_b32 s22, s23, exec_lo
	s_or_b32 s21, s21, s22
.LBB25_2114:                            ;   in Loop: Header=BB25_17 Depth=1
	s_or_b32 exec_lo, exec_lo, s19
	s_delay_alu instid0(SALU_CYCLE_1)
	s_and_b32 s19, s21, exec_lo
                                        ; implicit-def: $vgpr13
                                        ; implicit-def: $vgpr2_vgpr3
.LBB25_2115:                            ;   in Loop: Header=BB25_17 Depth=1
	s_and_not1_saveexec_b32 s20, s20
	s_cbranch_execz .LBB25_2129
; %bb.2116:                             ;   in Loop: Header=BB25_17 Depth=1
	s_mov_b32 s21, exec_lo
                                        ; implicit-def: $vgpr0
	v_cmpx_lt_i16_e32 26, v13
	s_xor_b32 s21, exec_lo, s21
	s_cbranch_execz .LBB25_2122
; %bb.2117:                             ;   in Loop: Header=BB25_17 Depth=1
	s_mov_b32 s22, exec_lo
                                        ; implicit-def: $vgpr0
	v_cmpx_lt_i16_e32 27, v13
	s_xor_b32 s22, exec_lo, s22
	s_cbranch_execz .LBB25_2119
; %bb.2118:                             ;   in Loop: Header=BB25_17 Depth=1
	flat_load_b32 v0, v[2:3]
                                        ; implicit-def: $vgpr2_vgpr3
	s_wait_loadcnt_dscnt 0x0
	v_cvt_f32_u32_e32 v0, v0
.LBB25_2119:                            ;   in Loop: Header=BB25_17 Depth=1
	s_wait_xcnt 0x0
	s_and_not1_saveexec_b32 s22, s22
	s_cbranch_execz .LBB25_2121
; %bb.2120:                             ;   in Loop: Header=BB25_17 Depth=1
	flat_load_u16 v0, v[2:3]
	s_wait_loadcnt_dscnt 0x0
	v_cvt_f32_u32_e32 v0, v0
.LBB25_2121:                            ;   in Loop: Header=BB25_17 Depth=1
	s_wait_xcnt 0x0
	s_or_b32 exec_lo, exec_lo, s22
                                        ; implicit-def: $vgpr2_vgpr3
.LBB25_2122:                            ;   in Loop: Header=BB25_17 Depth=1
	s_and_not1_saveexec_b32 s21, s21
	s_cbranch_execz .LBB25_2128
; %bb.2123:                             ;   in Loop: Header=BB25_17 Depth=1
	flat_load_u8 v2, v[2:3]
	s_mov_b32 s22, 0
	s_mov_b32 s23, exec_lo
	s_wait_loadcnt_dscnt 0x0
	v_cmpx_lt_i16_e32 0x7f, v2
	s_xor_b32 s23, exec_lo, s23
	s_cbranch_execnz .LBB25_2654
; %bb.2124:                             ;   in Loop: Header=BB25_17 Depth=1
	s_or_saveexec_b32 s23, s23
	v_mov_b32_e32 v0, 0x7f800001
	s_xor_b32 exec_lo, exec_lo, s23
	s_cbranch_execnz .LBB25_2657
.LBB25_2125:                            ;   in Loop: Header=BB25_17 Depth=1
	s_or_b32 exec_lo, exec_lo, s23
	s_and_saveexec_b32 s23, s22
	s_cbranch_execz .LBB25_2127
.LBB25_2126:                            ;   in Loop: Header=BB25_17 Depth=1
	v_and_b32_e32 v0, 0xffff, v2
	s_delay_alu instid0(VALU_DEP_1) | instskip(SKIP_1) | instid1(VALU_DEP_2)
	v_and_b32_e32 v3, 7, v0
	v_bfe_u32 v15, v0, 3, 4
	v_clz_i32_u32_e32 v13, v3
	s_delay_alu instid0(VALU_DEP_2) | instskip(NEXT) | instid1(VALU_DEP_2)
	v_cmp_eq_u32_e32 vcc_lo, 0, v15
	v_min_u32_e32 v13, 32, v13
	s_delay_alu instid0(VALU_DEP_1) | instskip(NEXT) | instid1(VALU_DEP_1)
	v_subrev_nc_u32_e32 v14, 28, v13
	v_dual_lshlrev_b32 v0, v14, v0 :: v_dual_sub_nc_u32 v13, 29, v13
	s_delay_alu instid0(VALU_DEP_1) | instskip(NEXT) | instid1(VALU_DEP_2)
	v_dual_lshlrev_b32 v2, 24, v2 :: v_dual_bitop2_b32 v0, 7, v0 bitop3:0x40
	v_cndmask_b32_e32 v13, v15, v13, vcc_lo
	s_delay_alu instid0(VALU_DEP_2) | instskip(NEXT) | instid1(VALU_DEP_3)
	v_cndmask_b32_e32 v0, v3, v0, vcc_lo
	v_and_b32_e32 v2, 0x80000000, v2
	s_delay_alu instid0(VALU_DEP_3) | instskip(NEXT) | instid1(VALU_DEP_3)
	v_lshl_add_u32 v3, v13, 23, 0x3b800000
	v_lshlrev_b32_e32 v0, 20, v0
	s_delay_alu instid0(VALU_DEP_1)
	v_or3_b32 v0, v2, v3, v0
.LBB25_2127:                            ;   in Loop: Header=BB25_17 Depth=1
	s_or_b32 exec_lo, exec_lo, s23
.LBB25_2128:                            ;   in Loop: Header=BB25_17 Depth=1
	s_delay_alu instid0(SALU_CYCLE_1) | instskip(NEXT) | instid1(SALU_CYCLE_1)
	s_or_b32 exec_lo, exec_lo, s21
	s_or_b32 s19, s19, exec_lo
.LBB25_2129:                            ;   in Loop: Header=BB25_17 Depth=1
	s_or_b32 exec_lo, exec_lo, s20
	s_delay_alu instid0(SALU_CYCLE_1)
	s_and_b32 s19, s19, exec_lo
                                        ; implicit-def: $vgpr13
                                        ; implicit-def: $vgpr2_vgpr3
.LBB25_2130:                            ;   in Loop: Header=BB25_17 Depth=1
	s_and_not1_saveexec_b32 s18, s18
	s_cbranch_execz .LBB25_2156
; %bb.2131:                             ;   in Loop: Header=BB25_17 Depth=1
	s_mov_b32 s21, s19
	s_mov_b32 s20, exec_lo
                                        ; implicit-def: $vgpr0
	v_cmpx_lt_i16_e32 22, v13
	s_xor_b32 s20, exec_lo, s20
	s_cbranch_execz .LBB25_2145
; %bb.2132:                             ;   in Loop: Header=BB25_17 Depth=1
	s_mov_b32 s21, exec_lo
                                        ; implicit-def: $vgpr0
	v_cmpx_lt_i16_e32 23, v13
	s_xor_b32 s21, exec_lo, s21
	s_cbranch_execz .LBB25_2142
; %bb.2133:                             ;   in Loop: Header=BB25_17 Depth=1
	s_mov_b32 s22, exec_lo
                                        ; implicit-def: $vgpr0
	v_cmpx_lt_i16_e32 24, v13
	s_xor_b32 s22, exec_lo, s22
	s_cbranch_execz .LBB25_2139
; %bb.2134:                             ;   in Loop: Header=BB25_17 Depth=1
	flat_load_u8 v2, v[2:3]
	s_mov_b32 s23, 0
	s_mov_b32 s24, exec_lo
	s_wait_loadcnt_dscnt 0x0
	v_cmpx_lt_i16_e32 0x7f, v2
	s_xor_b32 s24, exec_lo, s24
	s_cbranch_execnz .LBB25_2766
; %bb.2135:                             ;   in Loop: Header=BB25_17 Depth=1
	s_or_saveexec_b32 s24, s24
	v_mov_b32_e32 v0, 0x7f800001
	s_xor_b32 exec_lo, exec_lo, s24
	s_cbranch_execnz .LBB25_2769
.LBB25_2136:                            ;   in Loop: Header=BB25_17 Depth=1
	s_or_b32 exec_lo, exec_lo, s24
	s_and_saveexec_b32 s24, s23
	s_cbranch_execz .LBB25_2138
.LBB25_2137:                            ;   in Loop: Header=BB25_17 Depth=1
	v_and_b32_e32 v0, 0xffff, v2
	s_delay_alu instid0(VALU_DEP_1) | instskip(SKIP_1) | instid1(VALU_DEP_2)
	v_and_b32_e32 v3, 3, v0
	v_bfe_u32 v15, v0, 2, 5
	v_clz_i32_u32_e32 v13, v3
	s_delay_alu instid0(VALU_DEP_2) | instskip(NEXT) | instid1(VALU_DEP_2)
	v_cmp_eq_u32_e32 vcc_lo, 0, v15
	v_min_u32_e32 v13, 32, v13
	s_delay_alu instid0(VALU_DEP_1) | instskip(NEXT) | instid1(VALU_DEP_1)
	v_subrev_nc_u32_e32 v14, 29, v13
	v_dual_lshlrev_b32 v0, v14, v0 :: v_dual_sub_nc_u32 v13, 30, v13
	s_delay_alu instid0(VALU_DEP_1) | instskip(NEXT) | instid1(VALU_DEP_2)
	v_dual_lshlrev_b32 v2, 24, v2 :: v_dual_bitop2_b32 v0, 3, v0 bitop3:0x40
	v_cndmask_b32_e32 v13, v15, v13, vcc_lo
	s_delay_alu instid0(VALU_DEP_2) | instskip(NEXT) | instid1(VALU_DEP_3)
	v_cndmask_b32_e32 v0, v3, v0, vcc_lo
	v_and_b32_e32 v2, 0x80000000, v2
	s_delay_alu instid0(VALU_DEP_3) | instskip(NEXT) | instid1(VALU_DEP_3)
	v_lshl_add_u32 v3, v13, 23, 0x37800000
	v_lshlrev_b32_e32 v0, 21, v0
	s_delay_alu instid0(VALU_DEP_1)
	v_or3_b32 v0, v2, v3, v0
.LBB25_2138:                            ;   in Loop: Header=BB25_17 Depth=1
	s_or_b32 exec_lo, exec_lo, s24
                                        ; implicit-def: $vgpr2_vgpr3
.LBB25_2139:                            ;   in Loop: Header=BB25_17 Depth=1
	s_and_not1_saveexec_b32 s22, s22
	s_cbranch_execz .LBB25_2141
; %bb.2140:                             ;   in Loop: Header=BB25_17 Depth=1
	flat_load_u8 v0, v[2:3]
	s_wait_loadcnt_dscnt 0x0
	v_lshlrev_b32_e32 v0, 24, v0
	s_wait_xcnt 0x0
	s_delay_alu instid0(VALU_DEP_1) | instskip(NEXT) | instid1(VALU_DEP_1)
	v_and_b32_e32 v2, 0x7f000000, v0
	v_clz_i32_u32_e32 v3, v2
	v_add_nc_u32_e32 v14, 0x1000000, v2
	v_cmp_ne_u32_e32 vcc_lo, 0, v2
	s_delay_alu instid0(VALU_DEP_3) | instskip(NEXT) | instid1(VALU_DEP_1)
	v_min_u32_e32 v3, 32, v3
	v_sub_nc_u32_e64 v3, v3, 4 clamp
	s_delay_alu instid0(VALU_DEP_1) | instskip(NEXT) | instid1(VALU_DEP_1)
	v_dual_lshlrev_b32 v13, v3, v2 :: v_dual_lshlrev_b32 v3, 23, v3
	v_lshrrev_b32_e32 v13, 4, v13
	s_delay_alu instid0(VALU_DEP_1) | instskip(NEXT) | instid1(VALU_DEP_1)
	v_dual_sub_nc_u32 v3, v13, v3 :: v_dual_ashrrev_i32 v13, 8, v14
	v_add_nc_u32_e32 v3, 0x3c000000, v3
	s_delay_alu instid0(VALU_DEP_1) | instskip(NEXT) | instid1(VALU_DEP_1)
	v_and_or_b32 v3, 0x7f800000, v13, v3
	v_cndmask_b32_e32 v2, 0, v3, vcc_lo
	s_delay_alu instid0(VALU_DEP_1)
	v_and_or_b32 v0, 0x80000000, v0, v2
.LBB25_2141:                            ;   in Loop: Header=BB25_17 Depth=1
	s_or_b32 exec_lo, exec_lo, s22
                                        ; implicit-def: $vgpr2_vgpr3
.LBB25_2142:                            ;   in Loop: Header=BB25_17 Depth=1
	s_and_not1_saveexec_b32 s21, s21
	s_cbranch_execz .LBB25_2144
; %bb.2143:                             ;   in Loop: Header=BB25_17 Depth=1
	flat_load_u8 v0, v[2:3]
	s_wait_loadcnt_dscnt 0x0
	v_lshlrev_b32_e32 v2, 25, v0
	v_lshlrev_b16 v0, 8, v0
	s_delay_alu instid0(VALU_DEP_1) | instskip(SKIP_1) | instid1(VALU_DEP_2)
	v_and_or_b32 v13, 0x7f00, v0, 0.5
	v_bfe_i32 v0, v0, 0, 16
	v_dual_add_f32 v13, -0.5, v13 :: v_dual_lshrrev_b32 v3, 4, v2
	v_cmp_gt_u32_e32 vcc_lo, 0x8000000, v2
	s_delay_alu instid0(VALU_DEP_2) | instskip(NEXT) | instid1(VALU_DEP_1)
	v_or_b32_e32 v3, 0x70000000, v3
	v_mul_f32_e32 v3, 0x7800000, v3
	s_delay_alu instid0(VALU_DEP_1) | instskip(NEXT) | instid1(VALU_DEP_1)
	v_cndmask_b32_e32 v2, v3, v13, vcc_lo
	v_and_or_b32 v0, 0x80000000, v0, v2
.LBB25_2144:                            ;   in Loop: Header=BB25_17 Depth=1
	s_or_b32 exec_lo, exec_lo, s21
	s_delay_alu instid0(SALU_CYCLE_1)
	s_or_b32 s21, s19, exec_lo
                                        ; implicit-def: $vgpr13
                                        ; implicit-def: $vgpr2_vgpr3
.LBB25_2145:                            ;   in Loop: Header=BB25_17 Depth=1
	s_and_not1_saveexec_b32 s20, s20
	s_cbranch_execz .LBB25_2155
; %bb.2146:                             ;   in Loop: Header=BB25_17 Depth=1
	s_mov_b32 s22, s21
	s_mov_b32 s23, exec_lo
                                        ; implicit-def: $vgpr0
	v_cmpx_lt_i16_e32 14, v13
	s_xor_b32 s23, exec_lo, s23
	s_cbranch_execz .LBB25_2150
; %bb.2147:                             ;   in Loop: Header=BB25_17 Depth=1
	s_mov_b32 s22, s21
	s_mov_b32 s24, exec_lo
                                        ; implicit-def: $vgpr0
	v_cmpx_eq_u16_e32 15, v13
	s_cbranch_execz .LBB25_2149
; %bb.2148:                             ;   in Loop: Header=BB25_17 Depth=1
	flat_load_u16 v0, v[2:3]
	s_or_b32 s22, s21, exec_lo
	s_wait_loadcnt_dscnt 0x0
	v_lshlrev_b32_e32 v0, 16, v0
.LBB25_2149:                            ;   in Loop: Header=BB25_17 Depth=1
	s_wait_xcnt 0x0
	s_or_b32 exec_lo, exec_lo, s24
	s_delay_alu instid0(SALU_CYCLE_1) | instskip(SKIP_1) | instid1(SALU_CYCLE_1)
	s_and_not1_b32 s24, s21, exec_lo
	s_and_b32 s22, s22, exec_lo
                                        ; implicit-def: $vgpr13
                                        ; implicit-def: $vgpr2_vgpr3
	s_or_b32 s22, s24, s22
.LBB25_2150:                            ;   in Loop: Header=BB25_17 Depth=1
	s_and_not1_saveexec_b32 s23, s23
	s_cbranch_execz .LBB25_2154
; %bb.2151:                             ;   in Loop: Header=BB25_17 Depth=1
	s_mov_b32 s24, s22
	s_mov_b32 s25, exec_lo
                                        ; implicit-def: $vgpr0
	v_cmpx_eq_u16_e32 11, v13
	s_cbranch_execz .LBB25_2153
; %bb.2152:                             ;   in Loop: Header=BB25_17 Depth=1
	flat_load_u8 v0, v[2:3]
	s_or_b32 s24, s22, exec_lo
	s_wait_loadcnt_dscnt 0x0
	v_cmp_ne_u16_e32 vcc_lo, 0, v0
	v_cndmask_b32_e64 v0, 0, 1.0, vcc_lo
.LBB25_2153:                            ;   in Loop: Header=BB25_17 Depth=1
	s_wait_xcnt 0x0
	s_or_b32 exec_lo, exec_lo, s25
	s_delay_alu instid0(SALU_CYCLE_1) | instskip(SKIP_1) | instid1(SALU_CYCLE_1)
	s_and_not1_b32 s22, s22, exec_lo
	s_and_b32 s24, s24, exec_lo
	s_or_b32 s22, s22, s24
.LBB25_2154:                            ;   in Loop: Header=BB25_17 Depth=1
	s_or_b32 exec_lo, exec_lo, s23
	s_delay_alu instid0(SALU_CYCLE_1) | instskip(SKIP_1) | instid1(SALU_CYCLE_1)
	s_and_not1_b32 s21, s21, exec_lo
	s_and_b32 s22, s22, exec_lo
	s_or_b32 s21, s21, s22
.LBB25_2155:                            ;   in Loop: Header=BB25_17 Depth=1
	s_or_b32 exec_lo, exec_lo, s20
	s_delay_alu instid0(SALU_CYCLE_1) | instskip(SKIP_1) | instid1(SALU_CYCLE_1)
	s_and_not1_b32 s19, s19, exec_lo
	s_and_b32 s20, s21, exec_lo
	s_or_b32 s19, s19, s20
.LBB25_2156:                            ;   in Loop: Header=BB25_17 Depth=1
	s_or_b32 exec_lo, exec_lo, s18
	s_delay_alu instid0(SALU_CYCLE_1)
	s_and_b32 s18, s19, exec_lo
                                        ; implicit-def: $vgpr13
                                        ; implicit-def: $vgpr2_vgpr3
	s_and_not1_saveexec_b32 s14, s14
	s_cbranch_execz .LBB25_456
.LBB25_2157:                            ;   in Loop: Header=BB25_17 Depth=1
	s_mov_b32 s19, exec_lo
                                        ; implicit-def: $vgpr0
	v_cmpx_lt_i16_e32 4, v13
	s_xor_b32 s19, exec_lo, s19
	s_cbranch_execz .LBB25_2179
; %bb.2158:                             ;   in Loop: Header=BB25_17 Depth=1
	s_mov_b32 s20, exec_lo
                                        ; implicit-def: $vgpr0
	v_cmpx_lt_i16_e32 7, v13
	s_xor_b32 s20, exec_lo, s20
	s_cbranch_execz .LBB25_2168
; %bb.2159:                             ;   in Loop: Header=BB25_17 Depth=1
	;; [unrolled: 6-line block ×4, first 2 shown]
	flat_load_b64 v[2:3], v[2:3]
	s_wait_loadcnt_dscnt 0x0
	v_cvt_f32_f64_e32 v0, v[2:3]
                                        ; implicit-def: $vgpr2_vgpr3
.LBB25_2162:                            ;   in Loop: Header=BB25_17 Depth=1
	s_wait_xcnt 0x0
	s_and_not1_saveexec_b32 s22, s22
	s_cbranch_execz .LBB25_2164
; %bb.2163:                             ;   in Loop: Header=BB25_17 Depth=1
	flat_load_b32 v0, v[2:3]
.LBB25_2164:                            ;   in Loop: Header=BB25_17 Depth=1
	s_wait_xcnt 0x0
	s_or_b32 exec_lo, exec_lo, s22
                                        ; implicit-def: $vgpr2_vgpr3
.LBB25_2165:                            ;   in Loop: Header=BB25_17 Depth=1
	s_and_not1_saveexec_b32 s21, s21
	s_cbranch_execz .LBB25_2167
; %bb.2166:                             ;   in Loop: Header=BB25_17 Depth=1
	s_wait_loadcnt_dscnt 0x0
	flat_load_b32 v0, v[2:3]
	s_wait_loadcnt_dscnt 0x0
	v_cvt_f32_f16_e32 v0, v0
.LBB25_2167:                            ;   in Loop: Header=BB25_17 Depth=1
	s_wait_xcnt 0x0
	s_or_b32 exec_lo, exec_lo, s21
                                        ; implicit-def: $vgpr2_vgpr3
                                        ; implicit-def: $vgpr13
.LBB25_2168:                            ;   in Loop: Header=BB25_17 Depth=1
	s_and_not1_saveexec_b32 s20, s20
	s_cbranch_execz .LBB25_2178
; %bb.2169:                             ;   in Loop: Header=BB25_17 Depth=1
	s_mov_b32 s21, exec_lo
                                        ; implicit-def: $vgpr0
	v_cmpx_lt_i16_e32 5, v13
	s_xor_b32 s21, exec_lo, s21
	s_cbranch_execz .LBB25_2175
; %bb.2170:                             ;   in Loop: Header=BB25_17 Depth=1
	s_mov_b32 s22, exec_lo
                                        ; implicit-def: $vgpr0
	v_cmpx_lt_i16_e32 6, v13
	s_xor_b32 s22, exec_lo, s22
	s_cbranch_execz .LBB25_2172
; %bb.2171:                             ;   in Loop: Header=BB25_17 Depth=1
	flat_load_b64 v[2:3], v[2:3]
	s_wait_loadcnt_dscnt 0x0
	v_cvt_f32_f64_e32 v0, v[2:3]
                                        ; implicit-def: $vgpr2_vgpr3
.LBB25_2172:                            ;   in Loop: Header=BB25_17 Depth=1
	s_wait_xcnt 0x0
	s_and_not1_saveexec_b32 s22, s22
	s_cbranch_execz .LBB25_2174
; %bb.2173:                             ;   in Loop: Header=BB25_17 Depth=1
	s_wait_loadcnt_dscnt 0x0
	flat_load_b32 v0, v[2:3]
.LBB25_2174:                            ;   in Loop: Header=BB25_17 Depth=1
	s_wait_xcnt 0x0
	s_or_b32 exec_lo, exec_lo, s22
                                        ; implicit-def: $vgpr2_vgpr3
.LBB25_2175:                            ;   in Loop: Header=BB25_17 Depth=1
	s_and_not1_saveexec_b32 s21, s21
	s_cbranch_execz .LBB25_2177
; %bb.2176:                             ;   in Loop: Header=BB25_17 Depth=1
	s_wait_loadcnt_dscnt 0x0
	flat_load_u16 v0, v[2:3]
	s_wait_loadcnt_dscnt 0x0
	v_cvt_f32_f16_e32 v0, v0
.LBB25_2177:                            ;   in Loop: Header=BB25_17 Depth=1
	s_wait_xcnt 0x0
	s_or_b32 exec_lo, exec_lo, s21
.LBB25_2178:                            ;   in Loop: Header=BB25_17 Depth=1
	s_delay_alu instid0(SALU_CYCLE_1)
	s_or_b32 exec_lo, exec_lo, s20
                                        ; implicit-def: $vgpr13
                                        ; implicit-def: $vgpr2_vgpr3
.LBB25_2179:                            ;   in Loop: Header=BB25_17 Depth=1
	s_and_not1_saveexec_b32 s19, s19
	s_cbranch_execz .LBB25_2197
; %bb.2180:                             ;   in Loop: Header=BB25_17 Depth=1
	s_mov_b32 s20, exec_lo
                                        ; implicit-def: $vgpr0
	v_cmpx_lt_i16_e32 1, v13
	s_xor_b32 s20, exec_lo, s20
	s_cbranch_execz .LBB25_2190
; %bb.2181:                             ;   in Loop: Header=BB25_17 Depth=1
	s_mov_b32 s21, exec_lo
                                        ; implicit-def: $vgpr0
	v_cmpx_lt_i16_e32 2, v13
	s_xor_b32 s21, exec_lo, s21
	;; [unrolled: 6-line block ×3, first 2 shown]
	s_cbranch_execz .LBB25_2184
; %bb.2183:                             ;   in Loop: Header=BB25_17 Depth=1
	flat_load_b64 v[2:3], v[2:3]
	s_wait_loadcnt_dscnt 0x0
	v_xor_b32_e32 v0, v2, v3
	v_cls_i32_e32 v13, v3
	s_delay_alu instid0(VALU_DEP_2) | instskip(NEXT) | instid1(VALU_DEP_1)
	v_ashrrev_i32_e32 v0, 31, v0
	v_add_nc_u32_e32 v0, 32, v0
	s_delay_alu instid0(VALU_DEP_1) | instskip(SKIP_1) | instid1(VALU_DEP_1)
	v_add_min_u32_e64 v0, v13, -1, v0
	s_wait_xcnt 0x0
	v_lshlrev_b64_e32 v[2:3], v0, v[2:3]
	v_sub_nc_u32_e32 v0, 32, v0
	s_delay_alu instid0(VALU_DEP_2) | instskip(NEXT) | instid1(VALU_DEP_1)
	v_min_u32_e32 v2, 1, v2
	v_or_b32_e32 v2, v3, v2
	s_delay_alu instid0(VALU_DEP_1) | instskip(NEXT) | instid1(VALU_DEP_1)
	v_cvt_f32_i32_e32 v2, v2
	v_ldexp_f32 v0, v2, v0
                                        ; implicit-def: $vgpr2_vgpr3
.LBB25_2184:                            ;   in Loop: Header=BB25_17 Depth=1
	s_and_not1_saveexec_b32 s22, s22
	s_cbranch_execz .LBB25_2186
; %bb.2185:                             ;   in Loop: Header=BB25_17 Depth=1
	s_wait_loadcnt_dscnt 0x0
	flat_load_b32 v0, v[2:3]
	s_wait_loadcnt_dscnt 0x0
	v_cvt_f32_i32_e32 v0, v0
.LBB25_2186:                            ;   in Loop: Header=BB25_17 Depth=1
	s_wait_xcnt 0x0
	s_or_b32 exec_lo, exec_lo, s22
                                        ; implicit-def: $vgpr2_vgpr3
.LBB25_2187:                            ;   in Loop: Header=BB25_17 Depth=1
	s_and_not1_saveexec_b32 s21, s21
	s_cbranch_execz .LBB25_2189
; %bb.2188:                             ;   in Loop: Header=BB25_17 Depth=1
	s_wait_loadcnt_dscnt 0x0
	flat_load_i16 v0, v[2:3]
	s_wait_loadcnt_dscnt 0x0
	v_cvt_f32_i32_e32 v0, v0
.LBB25_2189:                            ;   in Loop: Header=BB25_17 Depth=1
	s_wait_xcnt 0x0
	s_or_b32 exec_lo, exec_lo, s21
                                        ; implicit-def: $vgpr2_vgpr3
                                        ; implicit-def: $vgpr13
.LBB25_2190:                            ;   in Loop: Header=BB25_17 Depth=1
	s_and_not1_saveexec_b32 s20, s20
	s_cbranch_execz .LBB25_2196
; %bb.2191:                             ;   in Loop: Header=BB25_17 Depth=1
	s_mov_b32 s21, exec_lo
                                        ; implicit-def: $vgpr0
	v_cmpx_lt_i16_e32 0, v13
	s_xor_b32 s21, exec_lo, s21
	s_cbranch_execz .LBB25_2193
; %bb.2192:                             ;   in Loop: Header=BB25_17 Depth=1
	s_wait_loadcnt_dscnt 0x0
	flat_load_i8 v0, v[2:3]
                                        ; implicit-def: $vgpr2_vgpr3
	s_wait_loadcnt_dscnt 0x0
	v_cvt_f32_i32_e32 v0, v0
.LBB25_2193:                            ;   in Loop: Header=BB25_17 Depth=1
	s_wait_xcnt 0x0
	s_and_not1_saveexec_b32 s21, s21
	s_cbranch_execz .LBB25_2195
; %bb.2194:                             ;   in Loop: Header=BB25_17 Depth=1
	s_wait_loadcnt_dscnt 0x0
	flat_load_u8 v0, v[2:3]
	s_wait_loadcnt_dscnt 0x0
	v_cvt_f32_ubyte0_e32 v0, v0
.LBB25_2195:                            ;   in Loop: Header=BB25_17 Depth=1
	s_wait_xcnt 0x0
	s_or_b32 exec_lo, exec_lo, s21
.LBB25_2196:                            ;   in Loop: Header=BB25_17 Depth=1
	s_delay_alu instid0(SALU_CYCLE_1)
	s_or_b32 exec_lo, exec_lo, s20
.LBB25_2197:                            ;   in Loop: Header=BB25_17 Depth=1
	s_delay_alu instid0(SALU_CYCLE_1) | instskip(NEXT) | instid1(SALU_CYCLE_1)
	s_or_b32 exec_lo, exec_lo, s19
	s_or_b32 s18, s18, exec_lo
	s_or_b32 exec_lo, exec_lo, s14
	s_mov_b32 s19, 0
	s_and_saveexec_b32 s14, s18
	s_cbranch_execnz .LBB25_457
	s_branch .LBB25_458
.LBB25_2198:                            ;   in Loop: Header=BB25_17 Depth=1
	s_mov_b32 s13, -1
	s_mov_b32 s15, exec_lo
	v_cmpx_eq_u16_e32 0x80, v2
; %bb.2199:                             ;   in Loop: Header=BB25_17 Depth=1
	s_xor_b32 s13, exec_lo, -1
; %bb.2200:                             ;   in Loop: Header=BB25_17 Depth=1
	s_or_b32 exec_lo, exec_lo, s15
	s_delay_alu instid0(SALU_CYCLE_1)
	s_and_b32 s13, s13, exec_lo
	s_or_saveexec_b32 s14, s14
	v_mov_b32_e32 v0, 0x7f800001
	s_xor_b32 exec_lo, exec_lo, s14
	s_cbranch_execz .LBB25_57
.LBB25_2201:                            ;   in Loop: Header=BB25_17 Depth=1
	v_cmp_ne_u16_e32 vcc_lo, 0, v2
	v_mov_b32_e32 v0, 0
	s_and_not1_b32 s13, s13, exec_lo
	s_and_b32 s15, vcc_lo, exec_lo
	s_delay_alu instid0(SALU_CYCLE_1)
	s_or_b32 s13, s13, s15
	s_or_b32 exec_lo, exec_lo, s14
	s_and_saveexec_b32 s14, s13
	s_cbranch_execnz .LBB25_58
	s_branch .LBB25_59
.LBB25_2202:                            ;   in Loop: Header=BB25_17 Depth=1
	s_mov_b32 s14, -1
	s_mov_b32 s16, exec_lo
	v_cmpx_eq_u16_e32 0x80, v2
; %bb.2203:                             ;   in Loop: Header=BB25_17 Depth=1
	s_xor_b32 s14, exec_lo, -1
; %bb.2204:                             ;   in Loop: Header=BB25_17 Depth=1
	s_or_b32 exec_lo, exec_lo, s16
	s_delay_alu instid0(SALU_CYCLE_1)
	s_and_b32 s14, s14, exec_lo
	s_or_saveexec_b32 s15, s15
	v_mov_b32_e32 v0, 0x7f800001
	s_xor_b32 exec_lo, exec_lo, s15
	s_cbranch_execz .LBB25_157
.LBB25_2205:                            ;   in Loop: Header=BB25_17 Depth=1
	v_cmp_ne_u16_e32 vcc_lo, 0, v2
	v_mov_b32_e32 v0, 0
	s_and_not1_b32 s14, s14, exec_lo
	s_and_b32 s16, vcc_lo, exec_lo
	s_delay_alu instid0(SALU_CYCLE_1)
	s_or_b32 s14, s14, s16
	s_or_b32 exec_lo, exec_lo, s15
	s_and_saveexec_b32 s15, s14
	s_cbranch_execnz .LBB25_158
	s_branch .LBB25_159
.LBB25_2206:                            ;   in Loop: Header=BB25_17 Depth=1
	s_mov_b32 s21, exec_lo
                                        ; implicit-def: $vgpr0
	v_cmpx_lt_i16_e32 25, v13
	s_xor_b32 s21, exec_lo, s21
	s_cbranch_execz .LBB25_2238
; %bb.2207:                             ;   in Loop: Header=BB25_17 Depth=1
	s_mov_b32 s23, exec_lo
                                        ; implicit-def: $vgpr0
	v_cmpx_lt_i16_e32 28, v13
	s_xor_b32 s23, exec_lo, s23
	s_cbranch_execz .LBB25_2223
; %bb.2208:                             ;   in Loop: Header=BB25_17 Depth=1
	s_mov_b32 s24, 0
	s_mov_b32 s22, exec_lo
                                        ; implicit-def: $vgpr0
	v_cmpx_lt_i16_e32 43, v13
	s_xor_b32 s22, exec_lo, s22
	s_cbranch_execz .LBB25_2218
; %bb.2209:                             ;   in Loop: Header=BB25_17 Depth=1
	s_mov_b32 s25, exec_lo
                                        ; implicit-def: $vgpr0
	v_cmpx_lt_i16_e32 45, v13
	s_xor_b32 s25, exec_lo, s25
	s_cbranch_execz .LBB25_2213
; %bb.2210:                             ;   in Loop: Header=BB25_17 Depth=1
	s_mov_b32 s26, exec_lo
                                        ; implicit-def: $vgpr0
	v_cmpx_eq_u16_e32 46, v13
	s_cbranch_execz .LBB25_2212
; %bb.2211:                             ;   in Loop: Header=BB25_17 Depth=1
	flat_load_b32 v0, v[2:3]
	s_mov_b32 s24, exec_lo
	s_wait_loadcnt_dscnt 0x0
	v_lshlrev_b32_e32 v0, 16, v0
.LBB25_2212:                            ;   in Loop: Header=BB25_17 Depth=1
	s_wait_xcnt 0x0
	s_or_b32 exec_lo, exec_lo, s26
	s_delay_alu instid0(SALU_CYCLE_1)
	s_and_b32 s24, s24, exec_lo
                                        ; implicit-def: $vgpr13
                                        ; implicit-def: $vgpr2_vgpr3
.LBB25_2213:                            ;   in Loop: Header=BB25_17 Depth=1
	s_and_not1_saveexec_b32 s25, s25
	s_cbranch_execz .LBB25_2217
; %bb.2214:                             ;   in Loop: Header=BB25_17 Depth=1
	s_mov_b32 s27, s24
	s_mov_b32 s26, exec_lo
                                        ; implicit-def: $vgpr0
	v_cmpx_eq_u16_e32 44, v13
	s_cbranch_execz .LBB25_2216
; %bb.2215:                             ;   in Loop: Header=BB25_17 Depth=1
	flat_load_u8 v0, v[2:3]
	s_or_b32 s27, s24, exec_lo
	s_wait_loadcnt_dscnt 0x0
	v_lshlrev_b32_e32 v2, 23, v0
	v_cmp_ne_u32_e32 vcc_lo, 0xff, v0
	s_delay_alu instid0(VALU_DEP_2) | instskip(SKIP_1) | instid1(VALU_DEP_2)
	v_cndmask_b32_e32 v2, 0x7f800001, v2, vcc_lo
	v_cmp_ne_u32_e32 vcc_lo, 0, v0
	v_cndmask_b32_e32 v0, 0x400000, v2, vcc_lo
.LBB25_2216:                            ;   in Loop: Header=BB25_17 Depth=1
	s_or_b32 exec_lo, exec_lo, s26
	s_delay_alu instid0(SALU_CYCLE_1) | instskip(SKIP_1) | instid1(SALU_CYCLE_1)
	s_and_not1_b32 s24, s24, exec_lo
	s_and_b32 s26, s27, exec_lo
	s_or_b32 s24, s24, s26
.LBB25_2217:                            ;   in Loop: Header=BB25_17 Depth=1
	s_or_b32 exec_lo, exec_lo, s25
	s_delay_alu instid0(SALU_CYCLE_1)
	s_and_b32 s24, s24, exec_lo
                                        ; implicit-def: $vgpr13
                                        ; implicit-def: $vgpr2_vgpr3
.LBB25_2218:                            ;   in Loop: Header=BB25_17 Depth=1
	s_and_not1_saveexec_b32 s22, s22
	s_cbranch_execz .LBB25_2222
; %bb.2219:                             ;   in Loop: Header=BB25_17 Depth=1
	s_mov_b32 s26, s24
	s_mov_b32 s25, exec_lo
                                        ; implicit-def: $vgpr0
	v_cmpx_eq_u16_e32 29, v13
	s_cbranch_execz .LBB25_2221
; %bb.2220:                             ;   in Loop: Header=BB25_17 Depth=1
	flat_load_b64 v[2:3], v[2:3]
	s_or_b32 s26, s24, exec_lo
	s_wait_loadcnt_dscnt 0x0
	v_clz_i32_u32_e32 v0, v3
	s_delay_alu instid0(VALU_DEP_1) | instskip(SKIP_1) | instid1(VALU_DEP_1)
	v_min_u32_e32 v0, 32, v0
	s_wait_xcnt 0x0
	v_lshlrev_b64_e32 v[2:3], v0, v[2:3]
	v_sub_nc_u32_e32 v0, 32, v0
	s_delay_alu instid0(VALU_DEP_2) | instskip(NEXT) | instid1(VALU_DEP_1)
	v_min_u32_e32 v2, 1, v2
	v_or_b32_e32 v2, v3, v2
	s_delay_alu instid0(VALU_DEP_1) | instskip(NEXT) | instid1(VALU_DEP_1)
	v_cvt_f32_u32_e32 v2, v2
	v_ldexp_f32 v0, v2, v0
.LBB25_2221:                            ;   in Loop: Header=BB25_17 Depth=1
	s_or_b32 exec_lo, exec_lo, s25
	s_delay_alu instid0(SALU_CYCLE_1) | instskip(SKIP_1) | instid1(SALU_CYCLE_1)
	s_and_not1_b32 s24, s24, exec_lo
	s_and_b32 s25, s26, exec_lo
	s_or_b32 s24, s24, s25
.LBB25_2222:                            ;   in Loop: Header=BB25_17 Depth=1
	s_or_b32 exec_lo, exec_lo, s22
	s_delay_alu instid0(SALU_CYCLE_1)
	s_and_b32 s22, s24, exec_lo
                                        ; implicit-def: $vgpr13
                                        ; implicit-def: $vgpr2_vgpr3
.LBB25_2223:                            ;   in Loop: Header=BB25_17 Depth=1
	s_and_not1_saveexec_b32 s23, s23
	s_cbranch_execz .LBB25_2237
; %bb.2224:                             ;   in Loop: Header=BB25_17 Depth=1
	s_mov_b32 s24, exec_lo
                                        ; implicit-def: $vgpr0
	v_cmpx_lt_i16_e32 26, v13
	s_xor_b32 s24, exec_lo, s24
	s_cbranch_execz .LBB25_2230
; %bb.2225:                             ;   in Loop: Header=BB25_17 Depth=1
	s_mov_b32 s25, exec_lo
                                        ; implicit-def: $vgpr0
	v_cmpx_lt_i16_e32 27, v13
	s_xor_b32 s25, exec_lo, s25
	s_cbranch_execz .LBB25_2227
; %bb.2226:                             ;   in Loop: Header=BB25_17 Depth=1
	flat_load_b32 v0, v[2:3]
                                        ; implicit-def: $vgpr2_vgpr3
	s_wait_loadcnt_dscnt 0x0
	v_cvt_f32_u32_e32 v0, v0
.LBB25_2227:                            ;   in Loop: Header=BB25_17 Depth=1
	s_wait_xcnt 0x0
	s_and_not1_saveexec_b32 s25, s25
	s_cbranch_execz .LBB25_2229
; %bb.2228:                             ;   in Loop: Header=BB25_17 Depth=1
	flat_load_u16 v0, v[2:3]
	s_wait_loadcnt_dscnt 0x0
	v_cvt_f32_u32_e32 v0, v0
.LBB25_2229:                            ;   in Loop: Header=BB25_17 Depth=1
	s_wait_xcnt 0x0
	s_or_b32 exec_lo, exec_lo, s25
                                        ; implicit-def: $vgpr2_vgpr3
.LBB25_2230:                            ;   in Loop: Header=BB25_17 Depth=1
	s_and_not1_saveexec_b32 s24, s24
	s_cbranch_execz .LBB25_2236
; %bb.2231:                             ;   in Loop: Header=BB25_17 Depth=1
	flat_load_u8 v2, v[2:3]
	s_mov_b32 s25, 0
	s_mov_b32 s26, exec_lo
	s_wait_loadcnt_dscnt 0x0
	v_cmpx_lt_i16_e32 0x7f, v2
	s_xor_b32 s26, exec_lo, s26
	s_cbranch_execnz .LBB25_2770
; %bb.2232:                             ;   in Loop: Header=BB25_17 Depth=1
	s_or_saveexec_b32 s26, s26
	v_mov_b32_e32 v0, 0x7f800001
	s_xor_b32 exec_lo, exec_lo, s26
	s_cbranch_execnz .LBB25_2773
.LBB25_2233:                            ;   in Loop: Header=BB25_17 Depth=1
	s_or_b32 exec_lo, exec_lo, s26
	s_and_saveexec_b32 s26, s25
	s_cbranch_execz .LBB25_2235
.LBB25_2234:                            ;   in Loop: Header=BB25_17 Depth=1
	v_and_b32_e32 v0, 0xffff, v2
	s_delay_alu instid0(VALU_DEP_1) | instskip(SKIP_1) | instid1(VALU_DEP_2)
	v_and_b32_e32 v3, 7, v0
	v_bfe_u32 v15, v0, 3, 4
	v_clz_i32_u32_e32 v13, v3
	s_delay_alu instid0(VALU_DEP_2) | instskip(NEXT) | instid1(VALU_DEP_2)
	v_cmp_eq_u32_e32 vcc_lo, 0, v15
	v_min_u32_e32 v13, 32, v13
	s_delay_alu instid0(VALU_DEP_1) | instskip(NEXT) | instid1(VALU_DEP_1)
	v_subrev_nc_u32_e32 v14, 28, v13
	v_dual_lshlrev_b32 v0, v14, v0 :: v_dual_sub_nc_u32 v13, 29, v13
	s_delay_alu instid0(VALU_DEP_1) | instskip(NEXT) | instid1(VALU_DEP_2)
	v_dual_lshlrev_b32 v2, 24, v2 :: v_dual_bitop2_b32 v0, 7, v0 bitop3:0x40
	v_cndmask_b32_e32 v13, v15, v13, vcc_lo
	s_delay_alu instid0(VALU_DEP_2) | instskip(NEXT) | instid1(VALU_DEP_3)
	v_cndmask_b32_e32 v0, v3, v0, vcc_lo
	v_and_b32_e32 v2, 0x80000000, v2
	s_delay_alu instid0(VALU_DEP_3) | instskip(NEXT) | instid1(VALU_DEP_3)
	v_lshl_add_u32 v3, v13, 23, 0x3b800000
	v_lshlrev_b32_e32 v0, 20, v0
	s_delay_alu instid0(VALU_DEP_1)
	v_or3_b32 v0, v2, v3, v0
.LBB25_2235:                            ;   in Loop: Header=BB25_17 Depth=1
	s_or_b32 exec_lo, exec_lo, s26
.LBB25_2236:                            ;   in Loop: Header=BB25_17 Depth=1
	s_delay_alu instid0(SALU_CYCLE_1) | instskip(NEXT) | instid1(SALU_CYCLE_1)
	s_or_b32 exec_lo, exec_lo, s24
	s_or_b32 s22, s22, exec_lo
.LBB25_2237:                            ;   in Loop: Header=BB25_17 Depth=1
	s_or_b32 exec_lo, exec_lo, s23
	s_delay_alu instid0(SALU_CYCLE_1)
	s_and_b32 s22, s22, exec_lo
                                        ; implicit-def: $vgpr13
                                        ; implicit-def: $vgpr2_vgpr3
.LBB25_2238:                            ;   in Loop: Header=BB25_17 Depth=1
	s_and_not1_saveexec_b32 s21, s21
	s_cbranch_execz .LBB25_2264
; %bb.2239:                             ;   in Loop: Header=BB25_17 Depth=1
	s_mov_b32 s24, s22
	s_mov_b32 s23, exec_lo
                                        ; implicit-def: $vgpr0
	v_cmpx_lt_i16_e32 22, v13
	s_xor_b32 s23, exec_lo, s23
	s_cbranch_execz .LBB25_2253
; %bb.2240:                             ;   in Loop: Header=BB25_17 Depth=1
	s_mov_b32 s24, exec_lo
                                        ; implicit-def: $vgpr0
	v_cmpx_lt_i16_e32 23, v13
	s_xor_b32 s24, exec_lo, s24
	s_cbranch_execz .LBB25_2250
; %bb.2241:                             ;   in Loop: Header=BB25_17 Depth=1
	;; [unrolled: 6-line block ×3, first 2 shown]
	flat_load_u8 v2, v[2:3]
	s_mov_b32 s26, 0
	s_mov_b32 s27, exec_lo
	s_wait_loadcnt_dscnt 0x0
	v_cmpx_lt_i16_e32 0x7f, v2
	s_xor_b32 s27, exec_lo, s27
	s_cbranch_execnz .LBB25_2882
; %bb.2243:                             ;   in Loop: Header=BB25_17 Depth=1
	s_or_saveexec_b32 s27, s27
	v_mov_b32_e32 v0, 0x7f800001
	s_xor_b32 exec_lo, exec_lo, s27
	s_cbranch_execnz .LBB25_2885
.LBB25_2244:                            ;   in Loop: Header=BB25_17 Depth=1
	s_or_b32 exec_lo, exec_lo, s27
	s_and_saveexec_b32 s27, s26
	s_cbranch_execz .LBB25_2246
.LBB25_2245:                            ;   in Loop: Header=BB25_17 Depth=1
	v_and_b32_e32 v0, 0xffff, v2
	s_delay_alu instid0(VALU_DEP_1) | instskip(SKIP_1) | instid1(VALU_DEP_2)
	v_and_b32_e32 v3, 3, v0
	v_bfe_u32 v15, v0, 2, 5
	v_clz_i32_u32_e32 v13, v3
	s_delay_alu instid0(VALU_DEP_2) | instskip(NEXT) | instid1(VALU_DEP_2)
	v_cmp_eq_u32_e32 vcc_lo, 0, v15
	v_min_u32_e32 v13, 32, v13
	s_delay_alu instid0(VALU_DEP_1) | instskip(NEXT) | instid1(VALU_DEP_1)
	v_subrev_nc_u32_e32 v14, 29, v13
	v_dual_lshlrev_b32 v0, v14, v0 :: v_dual_sub_nc_u32 v13, 30, v13
	s_delay_alu instid0(VALU_DEP_1) | instskip(NEXT) | instid1(VALU_DEP_2)
	v_dual_lshlrev_b32 v2, 24, v2 :: v_dual_bitop2_b32 v0, 3, v0 bitop3:0x40
	v_cndmask_b32_e32 v13, v15, v13, vcc_lo
	s_delay_alu instid0(VALU_DEP_2) | instskip(NEXT) | instid1(VALU_DEP_3)
	v_cndmask_b32_e32 v0, v3, v0, vcc_lo
	v_and_b32_e32 v2, 0x80000000, v2
	s_delay_alu instid0(VALU_DEP_3) | instskip(NEXT) | instid1(VALU_DEP_3)
	v_lshl_add_u32 v3, v13, 23, 0x37800000
	v_lshlrev_b32_e32 v0, 21, v0
	s_delay_alu instid0(VALU_DEP_1)
	v_or3_b32 v0, v2, v3, v0
.LBB25_2246:                            ;   in Loop: Header=BB25_17 Depth=1
	s_or_b32 exec_lo, exec_lo, s27
                                        ; implicit-def: $vgpr2_vgpr3
.LBB25_2247:                            ;   in Loop: Header=BB25_17 Depth=1
	s_and_not1_saveexec_b32 s25, s25
	s_cbranch_execz .LBB25_2249
; %bb.2248:                             ;   in Loop: Header=BB25_17 Depth=1
	flat_load_u8 v0, v[2:3]
	s_wait_loadcnt_dscnt 0x0
	v_lshlrev_b32_e32 v0, 24, v0
	s_wait_xcnt 0x0
	s_delay_alu instid0(VALU_DEP_1) | instskip(NEXT) | instid1(VALU_DEP_1)
	v_and_b32_e32 v2, 0x7f000000, v0
	v_clz_i32_u32_e32 v3, v2
	v_add_nc_u32_e32 v14, 0x1000000, v2
	v_cmp_ne_u32_e32 vcc_lo, 0, v2
	s_delay_alu instid0(VALU_DEP_3) | instskip(NEXT) | instid1(VALU_DEP_1)
	v_min_u32_e32 v3, 32, v3
	v_sub_nc_u32_e64 v3, v3, 4 clamp
	s_delay_alu instid0(VALU_DEP_1) | instskip(NEXT) | instid1(VALU_DEP_1)
	v_dual_lshlrev_b32 v13, v3, v2 :: v_dual_lshlrev_b32 v3, 23, v3
	v_lshrrev_b32_e32 v13, 4, v13
	s_delay_alu instid0(VALU_DEP_1) | instskip(NEXT) | instid1(VALU_DEP_1)
	v_dual_sub_nc_u32 v3, v13, v3 :: v_dual_ashrrev_i32 v13, 8, v14
	v_add_nc_u32_e32 v3, 0x3c000000, v3
	s_delay_alu instid0(VALU_DEP_1) | instskip(NEXT) | instid1(VALU_DEP_1)
	v_and_or_b32 v3, 0x7f800000, v13, v3
	v_cndmask_b32_e32 v2, 0, v3, vcc_lo
	s_delay_alu instid0(VALU_DEP_1)
	v_and_or_b32 v0, 0x80000000, v0, v2
.LBB25_2249:                            ;   in Loop: Header=BB25_17 Depth=1
	s_or_b32 exec_lo, exec_lo, s25
                                        ; implicit-def: $vgpr2_vgpr3
.LBB25_2250:                            ;   in Loop: Header=BB25_17 Depth=1
	s_and_not1_saveexec_b32 s24, s24
	s_cbranch_execz .LBB25_2252
; %bb.2251:                             ;   in Loop: Header=BB25_17 Depth=1
	flat_load_u8 v0, v[2:3]
	s_wait_loadcnt_dscnt 0x0
	v_lshlrev_b32_e32 v2, 25, v0
	v_lshlrev_b16 v0, 8, v0
	s_delay_alu instid0(VALU_DEP_1) | instskip(SKIP_1) | instid1(VALU_DEP_2)
	v_and_or_b32 v13, 0x7f00, v0, 0.5
	v_bfe_i32 v0, v0, 0, 16
	v_dual_add_f32 v13, -0.5, v13 :: v_dual_lshrrev_b32 v3, 4, v2
	v_cmp_gt_u32_e32 vcc_lo, 0x8000000, v2
	s_delay_alu instid0(VALU_DEP_2) | instskip(NEXT) | instid1(VALU_DEP_1)
	v_or_b32_e32 v3, 0x70000000, v3
	v_mul_f32_e32 v3, 0x7800000, v3
	s_delay_alu instid0(VALU_DEP_1) | instskip(NEXT) | instid1(VALU_DEP_1)
	v_cndmask_b32_e32 v2, v3, v13, vcc_lo
	v_and_or_b32 v0, 0x80000000, v0, v2
.LBB25_2252:                            ;   in Loop: Header=BB25_17 Depth=1
	s_or_b32 exec_lo, exec_lo, s24
	s_delay_alu instid0(SALU_CYCLE_1)
	s_or_b32 s24, s22, exec_lo
                                        ; implicit-def: $vgpr13
                                        ; implicit-def: $vgpr2_vgpr3
.LBB25_2253:                            ;   in Loop: Header=BB25_17 Depth=1
	s_and_not1_saveexec_b32 s23, s23
	s_cbranch_execz .LBB25_2263
; %bb.2254:                             ;   in Loop: Header=BB25_17 Depth=1
	s_mov_b32 s25, s24
	s_mov_b32 s26, exec_lo
                                        ; implicit-def: $vgpr0
	v_cmpx_lt_i16_e32 14, v13
	s_xor_b32 s26, exec_lo, s26
	s_cbranch_execz .LBB25_2258
; %bb.2255:                             ;   in Loop: Header=BB25_17 Depth=1
	s_mov_b32 s25, s24
	s_mov_b32 s27, exec_lo
                                        ; implicit-def: $vgpr0
	v_cmpx_eq_u16_e32 15, v13
	s_cbranch_execz .LBB25_2257
; %bb.2256:                             ;   in Loop: Header=BB25_17 Depth=1
	flat_load_u16 v0, v[2:3]
	s_or_b32 s25, s24, exec_lo
	s_wait_loadcnt_dscnt 0x0
	v_lshlrev_b32_e32 v0, 16, v0
.LBB25_2257:                            ;   in Loop: Header=BB25_17 Depth=1
	s_wait_xcnt 0x0
	s_or_b32 exec_lo, exec_lo, s27
	s_delay_alu instid0(SALU_CYCLE_1) | instskip(SKIP_1) | instid1(SALU_CYCLE_1)
	s_and_not1_b32 s27, s24, exec_lo
	s_and_b32 s25, s25, exec_lo
                                        ; implicit-def: $vgpr13
                                        ; implicit-def: $vgpr2_vgpr3
	s_or_b32 s25, s27, s25
.LBB25_2258:                            ;   in Loop: Header=BB25_17 Depth=1
	s_and_not1_saveexec_b32 s26, s26
	s_cbranch_execz .LBB25_2262
; %bb.2259:                             ;   in Loop: Header=BB25_17 Depth=1
	s_mov_b32 s27, s25
	s_mov_b32 s28, exec_lo
                                        ; implicit-def: $vgpr0
	v_cmpx_eq_u16_e32 11, v13
	s_cbranch_execz .LBB25_2261
; %bb.2260:                             ;   in Loop: Header=BB25_17 Depth=1
	flat_load_u8 v0, v[2:3]
	s_or_b32 s27, s25, exec_lo
	s_wait_loadcnt_dscnt 0x0
	v_cmp_ne_u16_e32 vcc_lo, 0, v0
	v_cndmask_b32_e64 v0, 0, 1.0, vcc_lo
.LBB25_2261:                            ;   in Loop: Header=BB25_17 Depth=1
	s_wait_xcnt 0x0
	s_or_b32 exec_lo, exec_lo, s28
	s_delay_alu instid0(SALU_CYCLE_1) | instskip(SKIP_1) | instid1(SALU_CYCLE_1)
	s_and_not1_b32 s25, s25, exec_lo
	s_and_b32 s27, s27, exec_lo
	s_or_b32 s25, s25, s27
.LBB25_2262:                            ;   in Loop: Header=BB25_17 Depth=1
	s_or_b32 exec_lo, exec_lo, s26
	s_delay_alu instid0(SALU_CYCLE_1) | instskip(SKIP_1) | instid1(SALU_CYCLE_1)
	s_and_not1_b32 s24, s24, exec_lo
	s_and_b32 s25, s25, exec_lo
	s_or_b32 s24, s24, s25
.LBB25_2263:                            ;   in Loop: Header=BB25_17 Depth=1
	s_or_b32 exec_lo, exec_lo, s23
	s_delay_alu instid0(SALU_CYCLE_1) | instskip(SKIP_1) | instid1(SALU_CYCLE_1)
	s_and_not1_b32 s22, s22, exec_lo
	s_and_b32 s23, s24, exec_lo
	s_or_b32 s22, s22, s23
.LBB25_2264:                            ;   in Loop: Header=BB25_17 Depth=1
	s_or_b32 exec_lo, exec_lo, s21
	s_delay_alu instid0(SALU_CYCLE_1)
	s_and_b32 s21, s22, exec_lo
                                        ; implicit-def: $vgpr13
                                        ; implicit-def: $vgpr2_vgpr3
	s_and_not1_saveexec_b32 s17, s17
	s_cbranch_execz .LBB25_567
.LBB25_2265:                            ;   in Loop: Header=BB25_17 Depth=1
	s_mov_b32 s22, exec_lo
                                        ; implicit-def: $vgpr0
	v_cmpx_lt_i16_e32 4, v13
	s_xor_b32 s22, exec_lo, s22
	s_cbranch_execz .LBB25_2287
; %bb.2266:                             ;   in Loop: Header=BB25_17 Depth=1
	s_mov_b32 s23, exec_lo
                                        ; implicit-def: $vgpr0
	v_cmpx_lt_i16_e32 7, v13
	s_xor_b32 s23, exec_lo, s23
	s_cbranch_execz .LBB25_2276
; %bb.2267:                             ;   in Loop: Header=BB25_17 Depth=1
	;; [unrolled: 6-line block ×4, first 2 shown]
	flat_load_b64 v[2:3], v[2:3]
	s_wait_loadcnt_dscnt 0x0
	v_cvt_f32_f64_e32 v0, v[2:3]
                                        ; implicit-def: $vgpr2_vgpr3
.LBB25_2270:                            ;   in Loop: Header=BB25_17 Depth=1
	s_wait_xcnt 0x0
	s_and_not1_saveexec_b32 s25, s25
	s_cbranch_execz .LBB25_2272
; %bb.2271:                             ;   in Loop: Header=BB25_17 Depth=1
	flat_load_b32 v0, v[2:3]
.LBB25_2272:                            ;   in Loop: Header=BB25_17 Depth=1
	s_wait_xcnt 0x0
	s_or_b32 exec_lo, exec_lo, s25
                                        ; implicit-def: $vgpr2_vgpr3
.LBB25_2273:                            ;   in Loop: Header=BB25_17 Depth=1
	s_and_not1_saveexec_b32 s24, s24
	s_cbranch_execz .LBB25_2275
; %bb.2274:                             ;   in Loop: Header=BB25_17 Depth=1
	s_wait_loadcnt_dscnt 0x0
	flat_load_b32 v0, v[2:3]
	s_wait_loadcnt_dscnt 0x0
	v_cvt_f32_f16_e32 v0, v0
.LBB25_2275:                            ;   in Loop: Header=BB25_17 Depth=1
	s_wait_xcnt 0x0
	s_or_b32 exec_lo, exec_lo, s24
                                        ; implicit-def: $vgpr2_vgpr3
                                        ; implicit-def: $vgpr13
.LBB25_2276:                            ;   in Loop: Header=BB25_17 Depth=1
	s_and_not1_saveexec_b32 s23, s23
	s_cbranch_execz .LBB25_2286
; %bb.2277:                             ;   in Loop: Header=BB25_17 Depth=1
	s_mov_b32 s24, exec_lo
                                        ; implicit-def: $vgpr0
	v_cmpx_lt_i16_e32 5, v13
	s_xor_b32 s24, exec_lo, s24
	s_cbranch_execz .LBB25_2283
; %bb.2278:                             ;   in Loop: Header=BB25_17 Depth=1
	s_mov_b32 s25, exec_lo
                                        ; implicit-def: $vgpr0
	v_cmpx_lt_i16_e32 6, v13
	s_xor_b32 s25, exec_lo, s25
	s_cbranch_execz .LBB25_2280
; %bb.2279:                             ;   in Loop: Header=BB25_17 Depth=1
	flat_load_b64 v[2:3], v[2:3]
	s_wait_loadcnt_dscnt 0x0
	v_cvt_f32_f64_e32 v0, v[2:3]
                                        ; implicit-def: $vgpr2_vgpr3
.LBB25_2280:                            ;   in Loop: Header=BB25_17 Depth=1
	s_wait_xcnt 0x0
	s_and_not1_saveexec_b32 s25, s25
	s_cbranch_execz .LBB25_2282
; %bb.2281:                             ;   in Loop: Header=BB25_17 Depth=1
	s_wait_loadcnt_dscnt 0x0
	flat_load_b32 v0, v[2:3]
.LBB25_2282:                            ;   in Loop: Header=BB25_17 Depth=1
	s_wait_xcnt 0x0
	s_or_b32 exec_lo, exec_lo, s25
                                        ; implicit-def: $vgpr2_vgpr3
.LBB25_2283:                            ;   in Loop: Header=BB25_17 Depth=1
	s_and_not1_saveexec_b32 s24, s24
	s_cbranch_execz .LBB25_2285
; %bb.2284:                             ;   in Loop: Header=BB25_17 Depth=1
	s_wait_loadcnt_dscnt 0x0
	flat_load_u16 v0, v[2:3]
	s_wait_loadcnt_dscnt 0x0
	v_cvt_f32_f16_e32 v0, v0
.LBB25_2285:                            ;   in Loop: Header=BB25_17 Depth=1
	s_wait_xcnt 0x0
	s_or_b32 exec_lo, exec_lo, s24
.LBB25_2286:                            ;   in Loop: Header=BB25_17 Depth=1
	s_delay_alu instid0(SALU_CYCLE_1)
	s_or_b32 exec_lo, exec_lo, s23
                                        ; implicit-def: $vgpr13
                                        ; implicit-def: $vgpr2_vgpr3
.LBB25_2287:                            ;   in Loop: Header=BB25_17 Depth=1
	s_and_not1_saveexec_b32 s22, s22
	s_cbranch_execz .LBB25_2305
; %bb.2288:                             ;   in Loop: Header=BB25_17 Depth=1
	s_mov_b32 s23, exec_lo
                                        ; implicit-def: $vgpr0
	v_cmpx_lt_i16_e32 1, v13
	s_xor_b32 s23, exec_lo, s23
	s_cbranch_execz .LBB25_2298
; %bb.2289:                             ;   in Loop: Header=BB25_17 Depth=1
	s_mov_b32 s24, exec_lo
                                        ; implicit-def: $vgpr0
	v_cmpx_lt_i16_e32 2, v13
	s_xor_b32 s24, exec_lo, s24
	;; [unrolled: 6-line block ×3, first 2 shown]
	s_cbranch_execz .LBB25_2292
; %bb.2291:                             ;   in Loop: Header=BB25_17 Depth=1
	flat_load_b64 v[2:3], v[2:3]
	s_wait_loadcnt_dscnt 0x0
	v_xor_b32_e32 v0, v2, v3
	v_cls_i32_e32 v13, v3
	s_delay_alu instid0(VALU_DEP_2) | instskip(NEXT) | instid1(VALU_DEP_1)
	v_ashrrev_i32_e32 v0, 31, v0
	v_add_nc_u32_e32 v0, 32, v0
	s_delay_alu instid0(VALU_DEP_1) | instskip(SKIP_1) | instid1(VALU_DEP_1)
	v_add_min_u32_e64 v0, v13, -1, v0
	s_wait_xcnt 0x0
	v_lshlrev_b64_e32 v[2:3], v0, v[2:3]
	v_sub_nc_u32_e32 v0, 32, v0
	s_delay_alu instid0(VALU_DEP_2) | instskip(NEXT) | instid1(VALU_DEP_1)
	v_min_u32_e32 v2, 1, v2
	v_or_b32_e32 v2, v3, v2
	s_delay_alu instid0(VALU_DEP_1) | instskip(NEXT) | instid1(VALU_DEP_1)
	v_cvt_f32_i32_e32 v2, v2
	v_ldexp_f32 v0, v2, v0
                                        ; implicit-def: $vgpr2_vgpr3
.LBB25_2292:                            ;   in Loop: Header=BB25_17 Depth=1
	s_and_not1_saveexec_b32 s25, s25
	s_cbranch_execz .LBB25_2294
; %bb.2293:                             ;   in Loop: Header=BB25_17 Depth=1
	s_wait_loadcnt_dscnt 0x0
	flat_load_b32 v0, v[2:3]
	s_wait_loadcnt_dscnt 0x0
	v_cvt_f32_i32_e32 v0, v0
.LBB25_2294:                            ;   in Loop: Header=BB25_17 Depth=1
	s_wait_xcnt 0x0
	s_or_b32 exec_lo, exec_lo, s25
                                        ; implicit-def: $vgpr2_vgpr3
.LBB25_2295:                            ;   in Loop: Header=BB25_17 Depth=1
	s_and_not1_saveexec_b32 s24, s24
	s_cbranch_execz .LBB25_2297
; %bb.2296:                             ;   in Loop: Header=BB25_17 Depth=1
	s_wait_loadcnt_dscnt 0x0
	flat_load_i16 v0, v[2:3]
	s_wait_loadcnt_dscnt 0x0
	v_cvt_f32_i32_e32 v0, v0
.LBB25_2297:                            ;   in Loop: Header=BB25_17 Depth=1
	s_wait_xcnt 0x0
	s_or_b32 exec_lo, exec_lo, s24
                                        ; implicit-def: $vgpr2_vgpr3
                                        ; implicit-def: $vgpr13
.LBB25_2298:                            ;   in Loop: Header=BB25_17 Depth=1
	s_and_not1_saveexec_b32 s23, s23
	s_cbranch_execz .LBB25_2304
; %bb.2299:                             ;   in Loop: Header=BB25_17 Depth=1
	s_mov_b32 s24, exec_lo
                                        ; implicit-def: $vgpr0
	v_cmpx_lt_i16_e32 0, v13
	s_xor_b32 s24, exec_lo, s24
	s_cbranch_execz .LBB25_2301
; %bb.2300:                             ;   in Loop: Header=BB25_17 Depth=1
	s_wait_loadcnt_dscnt 0x0
	flat_load_i8 v0, v[2:3]
                                        ; implicit-def: $vgpr2_vgpr3
	s_wait_loadcnt_dscnt 0x0
	v_cvt_f32_i32_e32 v0, v0
.LBB25_2301:                            ;   in Loop: Header=BB25_17 Depth=1
	s_wait_xcnt 0x0
	s_and_not1_saveexec_b32 s24, s24
	s_cbranch_execz .LBB25_2303
; %bb.2302:                             ;   in Loop: Header=BB25_17 Depth=1
	s_wait_loadcnt_dscnt 0x0
	flat_load_u8 v0, v[2:3]
	s_wait_loadcnt_dscnt 0x0
	v_cvt_f32_ubyte0_e32 v0, v0
.LBB25_2303:                            ;   in Loop: Header=BB25_17 Depth=1
	s_wait_xcnt 0x0
	s_or_b32 exec_lo, exec_lo, s24
.LBB25_2304:                            ;   in Loop: Header=BB25_17 Depth=1
	s_delay_alu instid0(SALU_CYCLE_1)
	s_or_b32 exec_lo, exec_lo, s23
.LBB25_2305:                            ;   in Loop: Header=BB25_17 Depth=1
	s_delay_alu instid0(SALU_CYCLE_1) | instskip(NEXT) | instid1(SALU_CYCLE_1)
	s_or_b32 exec_lo, exec_lo, s22
	s_or_b32 s21, s21, exec_lo
	s_or_b32 exec_lo, exec_lo, s17
	s_mov_b32 s22, 0
	s_and_saveexec_b32 s17, s21
	s_cbranch_execnz .LBB25_568
	s_branch .LBB25_569
.LBB25_2306:                            ;   in Loop: Header=BB25_17 Depth=1
	s_mov_b32 s14, -1
	s_mov_b32 s16, exec_lo
	v_cmpx_eq_u16_e32 0x80, v2
; %bb.2307:                             ;   in Loop: Header=BB25_17 Depth=1
	s_xor_b32 s14, exec_lo, -1
; %bb.2308:                             ;   in Loop: Header=BB25_17 Depth=1
	s_or_b32 exec_lo, exec_lo, s16
	s_delay_alu instid0(SALU_CYCLE_1)
	s_and_b32 s14, s14, exec_lo
	s_or_saveexec_b32 s15, s15
	v_mov_b32_e32 v0, 0x7f800001
	s_xor_b32 exec_lo, exec_lo, s15
	s_cbranch_execz .LBB25_1821
.LBB25_2309:                            ;   in Loop: Header=BB25_17 Depth=1
	v_cmp_ne_u16_e32 vcc_lo, 0, v2
	v_mov_b32_e32 v0, 0
	s_and_not1_b32 s14, s14, exec_lo
	s_and_b32 s16, vcc_lo, exec_lo
	s_delay_alu instid0(SALU_CYCLE_1)
	s_or_b32 s14, s14, s16
	s_or_b32 exec_lo, exec_lo, s15
	s_and_saveexec_b32 s15, s14
	s_cbranch_execnz .LBB25_1822
	s_branch .LBB25_1823
.LBB25_2310:                            ;   in Loop: Header=BB25_17 Depth=1
	s_mov_b32 s15, -1
	s_mov_b32 s17, exec_lo
	v_cmpx_eq_u16_e32 0x80, v2
; %bb.2311:                             ;   in Loop: Header=BB25_17 Depth=1
	s_xor_b32 s15, exec_lo, -1
; %bb.2312:                             ;   in Loop: Header=BB25_17 Depth=1
	s_or_b32 exec_lo, exec_lo, s17
	s_delay_alu instid0(SALU_CYCLE_1)
	s_and_b32 s15, s15, exec_lo
	s_or_saveexec_b32 s16, s16
	v_mov_b32_e32 v0, 0x7f800001
	s_xor_b32 exec_lo, exec_lo, s16
	s_cbranch_execz .LBB25_168
.LBB25_2313:                            ;   in Loop: Header=BB25_17 Depth=1
	v_cmp_ne_u16_e32 vcc_lo, 0, v2
	v_mov_b32_e32 v0, 0
	s_and_not1_b32 s15, s15, exec_lo
	s_and_b32 s17, vcc_lo, exec_lo
	s_delay_alu instid0(SALU_CYCLE_1)
	s_or_b32 s15, s15, s17
	s_or_b32 exec_lo, exec_lo, s16
	s_and_saveexec_b32 s16, s15
	s_cbranch_execnz .LBB25_169
	s_branch .LBB25_170
.LBB25_2314:                            ;   in Loop: Header=BB25_17 Depth=1
	s_mov_b32 s17, -1
	s_mov_b32 s19, exec_lo
	v_cmpx_eq_u16_e32 0x80, v2
; %bb.2315:                             ;   in Loop: Header=BB25_17 Depth=1
	s_xor_b32 s17, exec_lo, -1
; %bb.2316:                             ;   in Loop: Header=BB25_17 Depth=1
	s_or_b32 exec_lo, exec_lo, s19
	s_delay_alu instid0(SALU_CYCLE_1)
	s_and_b32 s17, s17, exec_lo
	s_or_saveexec_b32 s18, s18
	v_mov_b32_e32 v0, 0x7f800001
	s_xor_b32 exec_lo, exec_lo, s18
	s_cbranch_execz .LBB25_268
.LBB25_2317:                            ;   in Loop: Header=BB25_17 Depth=1
	v_cmp_ne_u16_e32 vcc_lo, 0, v2
	v_mov_b32_e32 v0, 0
	s_and_not1_b32 s17, s17, exec_lo
	s_and_b32 s19, vcc_lo, exec_lo
	s_delay_alu instid0(SALU_CYCLE_1)
	s_or_b32 s17, s17, s19
	s_or_b32 exec_lo, exec_lo, s18
	s_and_saveexec_b32 s18, s17
	s_cbranch_execnz .LBB25_269
	s_branch .LBB25_270
.LBB25_2318:                            ;   in Loop: Header=BB25_17 Depth=1
	s_mov_b32 s24, exec_lo
                                        ; implicit-def: $vgpr0
	v_cmpx_lt_i16_e32 25, v13
	s_xor_b32 s24, exec_lo, s24
	s_cbranch_execz .LBB25_2350
; %bb.2319:                             ;   in Loop: Header=BB25_17 Depth=1
	s_mov_b32 s26, exec_lo
                                        ; implicit-def: $vgpr0
	v_cmpx_lt_i16_e32 28, v13
	s_xor_b32 s26, exec_lo, s26
	s_cbranch_execz .LBB25_2335
; %bb.2320:                             ;   in Loop: Header=BB25_17 Depth=1
	s_mov_b32 s27, 0
	s_mov_b32 s25, exec_lo
                                        ; implicit-def: $vgpr0
	v_cmpx_lt_i16_e32 43, v13
	s_xor_b32 s25, exec_lo, s25
	s_cbranch_execz .LBB25_2330
; %bb.2321:                             ;   in Loop: Header=BB25_17 Depth=1
	s_mov_b32 s28, exec_lo
                                        ; implicit-def: $vgpr0
	v_cmpx_lt_i16_e32 45, v13
	s_xor_b32 s28, exec_lo, s28
	s_cbranch_execz .LBB25_2325
; %bb.2322:                             ;   in Loop: Header=BB25_17 Depth=1
	s_mov_b32 s29, exec_lo
                                        ; implicit-def: $vgpr0
	v_cmpx_eq_u16_e32 46, v13
	s_cbranch_execz .LBB25_2324
; %bb.2323:                             ;   in Loop: Header=BB25_17 Depth=1
	flat_load_b32 v0, v[2:3]
	s_mov_b32 s27, exec_lo
	s_wait_loadcnt_dscnt 0x0
	v_lshlrev_b32_e32 v0, 16, v0
.LBB25_2324:                            ;   in Loop: Header=BB25_17 Depth=1
	s_wait_xcnt 0x0
	s_or_b32 exec_lo, exec_lo, s29
	s_delay_alu instid0(SALU_CYCLE_1)
	s_and_b32 s27, s27, exec_lo
                                        ; implicit-def: $vgpr13
                                        ; implicit-def: $vgpr2_vgpr3
.LBB25_2325:                            ;   in Loop: Header=BB25_17 Depth=1
	s_and_not1_saveexec_b32 s28, s28
	s_cbranch_execz .LBB25_2329
; %bb.2326:                             ;   in Loop: Header=BB25_17 Depth=1
	s_mov_b32 s40, s27
	s_mov_b32 s29, exec_lo
                                        ; implicit-def: $vgpr0
	v_cmpx_eq_u16_e32 44, v13
	s_cbranch_execz .LBB25_2328
; %bb.2327:                             ;   in Loop: Header=BB25_17 Depth=1
	flat_load_u8 v0, v[2:3]
	s_or_b32 s40, s27, exec_lo
	s_wait_loadcnt_dscnt 0x0
	v_lshlrev_b32_e32 v2, 23, v0
	v_cmp_ne_u32_e32 vcc_lo, 0xff, v0
	s_delay_alu instid0(VALU_DEP_2) | instskip(SKIP_1) | instid1(VALU_DEP_2)
	v_cndmask_b32_e32 v2, 0x7f800001, v2, vcc_lo
	v_cmp_ne_u32_e32 vcc_lo, 0, v0
	v_cndmask_b32_e32 v0, 0x400000, v2, vcc_lo
.LBB25_2328:                            ;   in Loop: Header=BB25_17 Depth=1
	s_or_b32 exec_lo, exec_lo, s29
	s_delay_alu instid0(SALU_CYCLE_1) | instskip(SKIP_1) | instid1(SALU_CYCLE_1)
	s_and_not1_b32 s27, s27, exec_lo
	s_and_b32 s29, s40, exec_lo
	s_or_b32 s27, s27, s29
.LBB25_2329:                            ;   in Loop: Header=BB25_17 Depth=1
	s_or_b32 exec_lo, exec_lo, s28
	s_delay_alu instid0(SALU_CYCLE_1)
	s_and_b32 s27, s27, exec_lo
                                        ; implicit-def: $vgpr13
                                        ; implicit-def: $vgpr2_vgpr3
.LBB25_2330:                            ;   in Loop: Header=BB25_17 Depth=1
	s_and_not1_saveexec_b32 s25, s25
	s_cbranch_execz .LBB25_2334
; %bb.2331:                             ;   in Loop: Header=BB25_17 Depth=1
	s_mov_b32 s29, s27
	s_mov_b32 s28, exec_lo
                                        ; implicit-def: $vgpr0
	v_cmpx_eq_u16_e32 29, v13
	s_cbranch_execz .LBB25_2333
; %bb.2332:                             ;   in Loop: Header=BB25_17 Depth=1
	flat_load_b64 v[2:3], v[2:3]
	s_or_b32 s29, s27, exec_lo
	s_wait_loadcnt_dscnt 0x0
	v_clz_i32_u32_e32 v0, v3
	s_delay_alu instid0(VALU_DEP_1) | instskip(SKIP_1) | instid1(VALU_DEP_1)
	v_min_u32_e32 v0, 32, v0
	s_wait_xcnt 0x0
	v_lshlrev_b64_e32 v[2:3], v0, v[2:3]
	v_sub_nc_u32_e32 v0, 32, v0
	s_delay_alu instid0(VALU_DEP_2) | instskip(NEXT) | instid1(VALU_DEP_1)
	v_min_u32_e32 v2, 1, v2
	v_or_b32_e32 v2, v3, v2
	s_delay_alu instid0(VALU_DEP_1) | instskip(NEXT) | instid1(VALU_DEP_1)
	v_cvt_f32_u32_e32 v2, v2
	v_ldexp_f32 v0, v2, v0
.LBB25_2333:                            ;   in Loop: Header=BB25_17 Depth=1
	s_or_b32 exec_lo, exec_lo, s28
	s_delay_alu instid0(SALU_CYCLE_1) | instskip(SKIP_1) | instid1(SALU_CYCLE_1)
	s_and_not1_b32 s27, s27, exec_lo
	s_and_b32 s28, s29, exec_lo
	s_or_b32 s27, s27, s28
.LBB25_2334:                            ;   in Loop: Header=BB25_17 Depth=1
	s_or_b32 exec_lo, exec_lo, s25
	s_delay_alu instid0(SALU_CYCLE_1)
	s_and_b32 s25, s27, exec_lo
                                        ; implicit-def: $vgpr13
                                        ; implicit-def: $vgpr2_vgpr3
.LBB25_2335:                            ;   in Loop: Header=BB25_17 Depth=1
	s_and_not1_saveexec_b32 s26, s26
	s_cbranch_execz .LBB25_2349
; %bb.2336:                             ;   in Loop: Header=BB25_17 Depth=1
	s_mov_b32 s27, exec_lo
                                        ; implicit-def: $vgpr0
	v_cmpx_lt_i16_e32 26, v13
	s_xor_b32 s27, exec_lo, s27
	s_cbranch_execz .LBB25_2342
; %bb.2337:                             ;   in Loop: Header=BB25_17 Depth=1
	s_mov_b32 s28, exec_lo
                                        ; implicit-def: $vgpr0
	v_cmpx_lt_i16_e32 27, v13
	s_xor_b32 s28, exec_lo, s28
	s_cbranch_execz .LBB25_2339
; %bb.2338:                             ;   in Loop: Header=BB25_17 Depth=1
	flat_load_b32 v0, v[2:3]
                                        ; implicit-def: $vgpr2_vgpr3
	s_wait_loadcnt_dscnt 0x0
	v_cvt_f32_u32_e32 v0, v0
.LBB25_2339:                            ;   in Loop: Header=BB25_17 Depth=1
	s_wait_xcnt 0x0
	s_and_not1_saveexec_b32 s28, s28
	s_cbranch_execz .LBB25_2341
; %bb.2340:                             ;   in Loop: Header=BB25_17 Depth=1
	flat_load_u16 v0, v[2:3]
	s_wait_loadcnt_dscnt 0x0
	v_cvt_f32_u32_e32 v0, v0
.LBB25_2341:                            ;   in Loop: Header=BB25_17 Depth=1
	s_wait_xcnt 0x0
	s_or_b32 exec_lo, exec_lo, s28
                                        ; implicit-def: $vgpr2_vgpr3
.LBB25_2342:                            ;   in Loop: Header=BB25_17 Depth=1
	s_and_not1_saveexec_b32 s27, s27
	s_cbranch_execz .LBB25_2348
; %bb.2343:                             ;   in Loop: Header=BB25_17 Depth=1
	flat_load_u8 v2, v[2:3]
	s_mov_b32 s28, 0
	s_mov_b32 s29, exec_lo
	s_wait_loadcnt_dscnt 0x0
	v_cmpx_lt_i16_e32 0x7f, v2
	s_xor_b32 s29, exec_lo, s29
	s_cbranch_execnz .LBB25_2886
; %bb.2344:                             ;   in Loop: Header=BB25_17 Depth=1
	s_or_saveexec_b32 s29, s29
	v_mov_b32_e32 v0, 0x7f800001
	s_xor_b32 exec_lo, exec_lo, s29
	s_cbranch_execnz .LBB25_2889
.LBB25_2345:                            ;   in Loop: Header=BB25_17 Depth=1
	s_or_b32 exec_lo, exec_lo, s29
	s_and_saveexec_b32 s29, s28
	s_cbranch_execz .LBB25_2347
.LBB25_2346:                            ;   in Loop: Header=BB25_17 Depth=1
	v_and_b32_e32 v0, 0xffff, v2
	s_delay_alu instid0(VALU_DEP_1) | instskip(SKIP_1) | instid1(VALU_DEP_2)
	v_and_b32_e32 v3, 7, v0
	v_bfe_u32 v15, v0, 3, 4
	v_clz_i32_u32_e32 v13, v3
	s_delay_alu instid0(VALU_DEP_2) | instskip(NEXT) | instid1(VALU_DEP_2)
	v_cmp_eq_u32_e32 vcc_lo, 0, v15
	v_min_u32_e32 v13, 32, v13
	s_delay_alu instid0(VALU_DEP_1) | instskip(NEXT) | instid1(VALU_DEP_1)
	v_subrev_nc_u32_e32 v14, 28, v13
	v_dual_lshlrev_b32 v0, v14, v0 :: v_dual_sub_nc_u32 v13, 29, v13
	s_delay_alu instid0(VALU_DEP_1) | instskip(NEXT) | instid1(VALU_DEP_2)
	v_dual_lshlrev_b32 v2, 24, v2 :: v_dual_bitop2_b32 v0, 7, v0 bitop3:0x40
	v_cndmask_b32_e32 v13, v15, v13, vcc_lo
	s_delay_alu instid0(VALU_DEP_2) | instskip(NEXT) | instid1(VALU_DEP_3)
	v_cndmask_b32_e32 v0, v3, v0, vcc_lo
	v_and_b32_e32 v2, 0x80000000, v2
	s_delay_alu instid0(VALU_DEP_3) | instskip(NEXT) | instid1(VALU_DEP_3)
	v_lshl_add_u32 v3, v13, 23, 0x3b800000
	v_lshlrev_b32_e32 v0, 20, v0
	s_delay_alu instid0(VALU_DEP_1)
	v_or3_b32 v0, v2, v3, v0
.LBB25_2347:                            ;   in Loop: Header=BB25_17 Depth=1
	s_or_b32 exec_lo, exec_lo, s29
.LBB25_2348:                            ;   in Loop: Header=BB25_17 Depth=1
	s_delay_alu instid0(SALU_CYCLE_1) | instskip(NEXT) | instid1(SALU_CYCLE_1)
	s_or_b32 exec_lo, exec_lo, s27
	s_or_b32 s25, s25, exec_lo
.LBB25_2349:                            ;   in Loop: Header=BB25_17 Depth=1
	s_or_b32 exec_lo, exec_lo, s26
	s_delay_alu instid0(SALU_CYCLE_1)
	s_and_b32 s25, s25, exec_lo
                                        ; implicit-def: $vgpr13
                                        ; implicit-def: $vgpr2_vgpr3
.LBB25_2350:                            ;   in Loop: Header=BB25_17 Depth=1
	s_and_not1_saveexec_b32 s24, s24
	s_cbranch_execz .LBB25_2376
; %bb.2351:                             ;   in Loop: Header=BB25_17 Depth=1
	s_mov_b32 s27, s25
	s_mov_b32 s26, exec_lo
                                        ; implicit-def: $vgpr0
	v_cmpx_lt_i16_e32 22, v13
	s_xor_b32 s26, exec_lo, s26
	s_cbranch_execz .LBB25_2365
; %bb.2352:                             ;   in Loop: Header=BB25_17 Depth=1
	s_mov_b32 s27, exec_lo
                                        ; implicit-def: $vgpr0
	v_cmpx_lt_i16_e32 23, v13
	s_xor_b32 s27, exec_lo, s27
	s_cbranch_execz .LBB25_2362
; %bb.2353:                             ;   in Loop: Header=BB25_17 Depth=1
	;; [unrolled: 6-line block ×3, first 2 shown]
	flat_load_u8 v2, v[2:3]
	s_mov_b32 s29, 0
	s_mov_b32 s40, exec_lo
	s_wait_loadcnt_dscnt 0x0
	v_cmpx_lt_i16_e32 0x7f, v2
	s_xor_b32 s40, exec_lo, s40
	s_cbranch_execnz .LBB25_2998
; %bb.2355:                             ;   in Loop: Header=BB25_17 Depth=1
	s_or_saveexec_b32 s40, s40
	v_mov_b32_e32 v0, 0x7f800001
	s_xor_b32 exec_lo, exec_lo, s40
	s_cbranch_execnz .LBB25_3001
.LBB25_2356:                            ;   in Loop: Header=BB25_17 Depth=1
	s_or_b32 exec_lo, exec_lo, s40
	s_and_saveexec_b32 s40, s29
	s_cbranch_execz .LBB25_2358
.LBB25_2357:                            ;   in Loop: Header=BB25_17 Depth=1
	v_and_b32_e32 v0, 0xffff, v2
	s_delay_alu instid0(VALU_DEP_1) | instskip(SKIP_1) | instid1(VALU_DEP_2)
	v_and_b32_e32 v3, 3, v0
	v_bfe_u32 v15, v0, 2, 5
	v_clz_i32_u32_e32 v13, v3
	s_delay_alu instid0(VALU_DEP_2) | instskip(NEXT) | instid1(VALU_DEP_2)
	v_cmp_eq_u32_e32 vcc_lo, 0, v15
	v_min_u32_e32 v13, 32, v13
	s_delay_alu instid0(VALU_DEP_1) | instskip(NEXT) | instid1(VALU_DEP_1)
	v_subrev_nc_u32_e32 v14, 29, v13
	v_dual_lshlrev_b32 v0, v14, v0 :: v_dual_sub_nc_u32 v13, 30, v13
	s_delay_alu instid0(VALU_DEP_1) | instskip(NEXT) | instid1(VALU_DEP_2)
	v_dual_lshlrev_b32 v2, 24, v2 :: v_dual_bitop2_b32 v0, 3, v0 bitop3:0x40
	v_cndmask_b32_e32 v13, v15, v13, vcc_lo
	s_delay_alu instid0(VALU_DEP_2) | instskip(NEXT) | instid1(VALU_DEP_3)
	v_cndmask_b32_e32 v0, v3, v0, vcc_lo
	v_and_b32_e32 v2, 0x80000000, v2
	s_delay_alu instid0(VALU_DEP_3) | instskip(NEXT) | instid1(VALU_DEP_3)
	v_lshl_add_u32 v3, v13, 23, 0x37800000
	v_lshlrev_b32_e32 v0, 21, v0
	s_delay_alu instid0(VALU_DEP_1)
	v_or3_b32 v0, v2, v3, v0
.LBB25_2358:                            ;   in Loop: Header=BB25_17 Depth=1
	s_or_b32 exec_lo, exec_lo, s40
                                        ; implicit-def: $vgpr2_vgpr3
.LBB25_2359:                            ;   in Loop: Header=BB25_17 Depth=1
	s_and_not1_saveexec_b32 s28, s28
	s_cbranch_execz .LBB25_2361
; %bb.2360:                             ;   in Loop: Header=BB25_17 Depth=1
	flat_load_u8 v0, v[2:3]
	s_wait_loadcnt_dscnt 0x0
	v_lshlrev_b32_e32 v0, 24, v0
	s_wait_xcnt 0x0
	s_delay_alu instid0(VALU_DEP_1) | instskip(NEXT) | instid1(VALU_DEP_1)
	v_and_b32_e32 v2, 0x7f000000, v0
	v_clz_i32_u32_e32 v3, v2
	v_add_nc_u32_e32 v14, 0x1000000, v2
	v_cmp_ne_u32_e32 vcc_lo, 0, v2
	s_delay_alu instid0(VALU_DEP_3) | instskip(NEXT) | instid1(VALU_DEP_1)
	v_min_u32_e32 v3, 32, v3
	v_sub_nc_u32_e64 v3, v3, 4 clamp
	s_delay_alu instid0(VALU_DEP_1) | instskip(NEXT) | instid1(VALU_DEP_1)
	v_dual_lshlrev_b32 v13, v3, v2 :: v_dual_lshlrev_b32 v3, 23, v3
	v_lshrrev_b32_e32 v13, 4, v13
	s_delay_alu instid0(VALU_DEP_1) | instskip(NEXT) | instid1(VALU_DEP_1)
	v_dual_sub_nc_u32 v3, v13, v3 :: v_dual_ashrrev_i32 v13, 8, v14
	v_add_nc_u32_e32 v3, 0x3c000000, v3
	s_delay_alu instid0(VALU_DEP_1) | instskip(NEXT) | instid1(VALU_DEP_1)
	v_and_or_b32 v3, 0x7f800000, v13, v3
	v_cndmask_b32_e32 v2, 0, v3, vcc_lo
	s_delay_alu instid0(VALU_DEP_1)
	v_and_or_b32 v0, 0x80000000, v0, v2
.LBB25_2361:                            ;   in Loop: Header=BB25_17 Depth=1
	s_or_b32 exec_lo, exec_lo, s28
                                        ; implicit-def: $vgpr2_vgpr3
.LBB25_2362:                            ;   in Loop: Header=BB25_17 Depth=1
	s_and_not1_saveexec_b32 s27, s27
	s_cbranch_execz .LBB25_2364
; %bb.2363:                             ;   in Loop: Header=BB25_17 Depth=1
	flat_load_u8 v0, v[2:3]
	s_wait_loadcnt_dscnt 0x0
	v_lshlrev_b32_e32 v2, 25, v0
	v_lshlrev_b16 v0, 8, v0
	s_delay_alu instid0(VALU_DEP_1) | instskip(SKIP_1) | instid1(VALU_DEP_2)
	v_and_or_b32 v13, 0x7f00, v0, 0.5
	v_bfe_i32 v0, v0, 0, 16
	v_dual_add_f32 v13, -0.5, v13 :: v_dual_lshrrev_b32 v3, 4, v2
	v_cmp_gt_u32_e32 vcc_lo, 0x8000000, v2
	s_delay_alu instid0(VALU_DEP_2) | instskip(NEXT) | instid1(VALU_DEP_1)
	v_or_b32_e32 v3, 0x70000000, v3
	v_mul_f32_e32 v3, 0x7800000, v3
	s_delay_alu instid0(VALU_DEP_1) | instskip(NEXT) | instid1(VALU_DEP_1)
	v_cndmask_b32_e32 v2, v3, v13, vcc_lo
	v_and_or_b32 v0, 0x80000000, v0, v2
.LBB25_2364:                            ;   in Loop: Header=BB25_17 Depth=1
	s_or_b32 exec_lo, exec_lo, s27
	s_delay_alu instid0(SALU_CYCLE_1)
	s_or_b32 s27, s25, exec_lo
                                        ; implicit-def: $vgpr13
                                        ; implicit-def: $vgpr2_vgpr3
.LBB25_2365:                            ;   in Loop: Header=BB25_17 Depth=1
	s_and_not1_saveexec_b32 s26, s26
	s_cbranch_execz .LBB25_2375
; %bb.2366:                             ;   in Loop: Header=BB25_17 Depth=1
	s_mov_b32 s28, s27
	s_mov_b32 s29, exec_lo
                                        ; implicit-def: $vgpr0
	v_cmpx_lt_i16_e32 14, v13
	s_xor_b32 s29, exec_lo, s29
	s_cbranch_execz .LBB25_2370
; %bb.2367:                             ;   in Loop: Header=BB25_17 Depth=1
	s_mov_b32 s28, s27
	s_mov_b32 s40, exec_lo
                                        ; implicit-def: $vgpr0
	v_cmpx_eq_u16_e32 15, v13
	s_cbranch_execz .LBB25_2369
; %bb.2368:                             ;   in Loop: Header=BB25_17 Depth=1
	flat_load_u16 v0, v[2:3]
	s_or_b32 s28, s27, exec_lo
	s_wait_loadcnt_dscnt 0x0
	v_lshlrev_b32_e32 v0, 16, v0
.LBB25_2369:                            ;   in Loop: Header=BB25_17 Depth=1
	s_wait_xcnt 0x0
	s_or_b32 exec_lo, exec_lo, s40
	s_delay_alu instid0(SALU_CYCLE_1) | instskip(SKIP_1) | instid1(SALU_CYCLE_1)
	s_and_not1_b32 s40, s27, exec_lo
	s_and_b32 s28, s28, exec_lo
                                        ; implicit-def: $vgpr13
                                        ; implicit-def: $vgpr2_vgpr3
	s_or_b32 s28, s40, s28
.LBB25_2370:                            ;   in Loop: Header=BB25_17 Depth=1
	s_and_not1_saveexec_b32 s29, s29
	s_cbranch_execz .LBB25_2374
; %bb.2371:                             ;   in Loop: Header=BB25_17 Depth=1
	s_mov_b32 s40, s28
	s_mov_b32 s41, exec_lo
                                        ; implicit-def: $vgpr0
	v_cmpx_eq_u16_e32 11, v13
	s_cbranch_execz .LBB25_2373
; %bb.2372:                             ;   in Loop: Header=BB25_17 Depth=1
	flat_load_u8 v0, v[2:3]
	s_or_b32 s40, s28, exec_lo
	s_wait_loadcnt_dscnt 0x0
	v_cmp_ne_u16_e32 vcc_lo, 0, v0
	v_cndmask_b32_e64 v0, 0, 1.0, vcc_lo
.LBB25_2373:                            ;   in Loop: Header=BB25_17 Depth=1
	s_wait_xcnt 0x0
	s_or_b32 exec_lo, exec_lo, s41
	s_delay_alu instid0(SALU_CYCLE_1) | instskip(SKIP_1) | instid1(SALU_CYCLE_1)
	s_and_not1_b32 s28, s28, exec_lo
	s_and_b32 s40, s40, exec_lo
	s_or_b32 s28, s28, s40
.LBB25_2374:                            ;   in Loop: Header=BB25_17 Depth=1
	s_or_b32 exec_lo, exec_lo, s29
	s_delay_alu instid0(SALU_CYCLE_1) | instskip(SKIP_1) | instid1(SALU_CYCLE_1)
	s_and_not1_b32 s27, s27, exec_lo
	s_and_b32 s28, s28, exec_lo
	s_or_b32 s27, s27, s28
.LBB25_2375:                            ;   in Loop: Header=BB25_17 Depth=1
	s_or_b32 exec_lo, exec_lo, s26
	s_delay_alu instid0(SALU_CYCLE_1) | instskip(SKIP_1) | instid1(SALU_CYCLE_1)
	s_and_not1_b32 s25, s25, exec_lo
	s_and_b32 s26, s27, exec_lo
	s_or_b32 s25, s25, s26
.LBB25_2376:                            ;   in Loop: Header=BB25_17 Depth=1
	s_or_b32 exec_lo, exec_lo, s24
	s_delay_alu instid0(SALU_CYCLE_1)
	s_and_b32 s24, s25, exec_lo
                                        ; implicit-def: $vgpr13
                                        ; implicit-def: $vgpr2_vgpr3
	s_and_not1_saveexec_b32 s20, s20
	s_cbranch_execz .LBB25_678
.LBB25_2377:                            ;   in Loop: Header=BB25_17 Depth=1
	s_mov_b32 s25, exec_lo
                                        ; implicit-def: $vgpr0
	v_cmpx_lt_i16_e32 4, v13
	s_xor_b32 s25, exec_lo, s25
	s_cbranch_execz .LBB25_2399
; %bb.2378:                             ;   in Loop: Header=BB25_17 Depth=1
	s_mov_b32 s26, exec_lo
                                        ; implicit-def: $vgpr0
	v_cmpx_lt_i16_e32 7, v13
	s_xor_b32 s26, exec_lo, s26
	s_cbranch_execz .LBB25_2388
; %bb.2379:                             ;   in Loop: Header=BB25_17 Depth=1
	;; [unrolled: 6-line block ×4, first 2 shown]
	flat_load_b64 v[2:3], v[2:3]
	s_wait_loadcnt_dscnt 0x0
	v_cvt_f32_f64_e32 v0, v[2:3]
                                        ; implicit-def: $vgpr2_vgpr3
.LBB25_2382:                            ;   in Loop: Header=BB25_17 Depth=1
	s_wait_xcnt 0x0
	s_and_not1_saveexec_b32 s28, s28
	s_cbranch_execz .LBB25_2384
; %bb.2383:                             ;   in Loop: Header=BB25_17 Depth=1
	flat_load_b32 v0, v[2:3]
.LBB25_2384:                            ;   in Loop: Header=BB25_17 Depth=1
	s_wait_xcnt 0x0
	s_or_b32 exec_lo, exec_lo, s28
                                        ; implicit-def: $vgpr2_vgpr3
.LBB25_2385:                            ;   in Loop: Header=BB25_17 Depth=1
	s_and_not1_saveexec_b32 s27, s27
	s_cbranch_execz .LBB25_2387
; %bb.2386:                             ;   in Loop: Header=BB25_17 Depth=1
	s_wait_loadcnt_dscnt 0x0
	flat_load_b32 v0, v[2:3]
	s_wait_loadcnt_dscnt 0x0
	v_cvt_f32_f16_e32 v0, v0
.LBB25_2387:                            ;   in Loop: Header=BB25_17 Depth=1
	s_wait_xcnt 0x0
	s_or_b32 exec_lo, exec_lo, s27
                                        ; implicit-def: $vgpr2_vgpr3
                                        ; implicit-def: $vgpr13
.LBB25_2388:                            ;   in Loop: Header=BB25_17 Depth=1
	s_and_not1_saveexec_b32 s26, s26
	s_cbranch_execz .LBB25_2398
; %bb.2389:                             ;   in Loop: Header=BB25_17 Depth=1
	s_mov_b32 s27, exec_lo
                                        ; implicit-def: $vgpr0
	v_cmpx_lt_i16_e32 5, v13
	s_xor_b32 s27, exec_lo, s27
	s_cbranch_execz .LBB25_2395
; %bb.2390:                             ;   in Loop: Header=BB25_17 Depth=1
	s_mov_b32 s28, exec_lo
                                        ; implicit-def: $vgpr0
	v_cmpx_lt_i16_e32 6, v13
	s_xor_b32 s28, exec_lo, s28
	s_cbranch_execz .LBB25_2392
; %bb.2391:                             ;   in Loop: Header=BB25_17 Depth=1
	flat_load_b64 v[2:3], v[2:3]
	s_wait_loadcnt_dscnt 0x0
	v_cvt_f32_f64_e32 v0, v[2:3]
                                        ; implicit-def: $vgpr2_vgpr3
.LBB25_2392:                            ;   in Loop: Header=BB25_17 Depth=1
	s_wait_xcnt 0x0
	s_and_not1_saveexec_b32 s28, s28
	s_cbranch_execz .LBB25_2394
; %bb.2393:                             ;   in Loop: Header=BB25_17 Depth=1
	s_wait_loadcnt_dscnt 0x0
	flat_load_b32 v0, v[2:3]
.LBB25_2394:                            ;   in Loop: Header=BB25_17 Depth=1
	s_wait_xcnt 0x0
	s_or_b32 exec_lo, exec_lo, s28
                                        ; implicit-def: $vgpr2_vgpr3
.LBB25_2395:                            ;   in Loop: Header=BB25_17 Depth=1
	s_and_not1_saveexec_b32 s27, s27
	s_cbranch_execz .LBB25_2397
; %bb.2396:                             ;   in Loop: Header=BB25_17 Depth=1
	s_wait_loadcnt_dscnt 0x0
	flat_load_u16 v0, v[2:3]
	s_wait_loadcnt_dscnt 0x0
	v_cvt_f32_f16_e32 v0, v0
.LBB25_2397:                            ;   in Loop: Header=BB25_17 Depth=1
	s_wait_xcnt 0x0
	s_or_b32 exec_lo, exec_lo, s27
.LBB25_2398:                            ;   in Loop: Header=BB25_17 Depth=1
	s_delay_alu instid0(SALU_CYCLE_1)
	s_or_b32 exec_lo, exec_lo, s26
                                        ; implicit-def: $vgpr13
                                        ; implicit-def: $vgpr2_vgpr3
.LBB25_2399:                            ;   in Loop: Header=BB25_17 Depth=1
	s_and_not1_saveexec_b32 s25, s25
	s_cbranch_execz .LBB25_2417
; %bb.2400:                             ;   in Loop: Header=BB25_17 Depth=1
	s_mov_b32 s26, exec_lo
                                        ; implicit-def: $vgpr0
	v_cmpx_lt_i16_e32 1, v13
	s_xor_b32 s26, exec_lo, s26
	s_cbranch_execz .LBB25_2410
; %bb.2401:                             ;   in Loop: Header=BB25_17 Depth=1
	s_mov_b32 s27, exec_lo
                                        ; implicit-def: $vgpr0
	v_cmpx_lt_i16_e32 2, v13
	s_xor_b32 s27, exec_lo, s27
	;; [unrolled: 6-line block ×3, first 2 shown]
	s_cbranch_execz .LBB25_2404
; %bb.2403:                             ;   in Loop: Header=BB25_17 Depth=1
	flat_load_b64 v[2:3], v[2:3]
	s_wait_loadcnt_dscnt 0x0
	v_xor_b32_e32 v0, v2, v3
	v_cls_i32_e32 v13, v3
	s_delay_alu instid0(VALU_DEP_2) | instskip(NEXT) | instid1(VALU_DEP_1)
	v_ashrrev_i32_e32 v0, 31, v0
	v_add_nc_u32_e32 v0, 32, v0
	s_delay_alu instid0(VALU_DEP_1) | instskip(SKIP_1) | instid1(VALU_DEP_1)
	v_add_min_u32_e64 v0, v13, -1, v0
	s_wait_xcnt 0x0
	v_lshlrev_b64_e32 v[2:3], v0, v[2:3]
	v_sub_nc_u32_e32 v0, 32, v0
	s_delay_alu instid0(VALU_DEP_2) | instskip(NEXT) | instid1(VALU_DEP_1)
	v_min_u32_e32 v2, 1, v2
	v_or_b32_e32 v2, v3, v2
	s_delay_alu instid0(VALU_DEP_1) | instskip(NEXT) | instid1(VALU_DEP_1)
	v_cvt_f32_i32_e32 v2, v2
	v_ldexp_f32 v0, v2, v0
                                        ; implicit-def: $vgpr2_vgpr3
.LBB25_2404:                            ;   in Loop: Header=BB25_17 Depth=1
	s_and_not1_saveexec_b32 s28, s28
	s_cbranch_execz .LBB25_2406
; %bb.2405:                             ;   in Loop: Header=BB25_17 Depth=1
	s_wait_loadcnt_dscnt 0x0
	flat_load_b32 v0, v[2:3]
	s_wait_loadcnt_dscnt 0x0
	v_cvt_f32_i32_e32 v0, v0
.LBB25_2406:                            ;   in Loop: Header=BB25_17 Depth=1
	s_wait_xcnt 0x0
	s_or_b32 exec_lo, exec_lo, s28
                                        ; implicit-def: $vgpr2_vgpr3
.LBB25_2407:                            ;   in Loop: Header=BB25_17 Depth=1
	s_and_not1_saveexec_b32 s27, s27
	s_cbranch_execz .LBB25_2409
; %bb.2408:                             ;   in Loop: Header=BB25_17 Depth=1
	s_wait_loadcnt_dscnt 0x0
	flat_load_i16 v0, v[2:3]
	s_wait_loadcnt_dscnt 0x0
	v_cvt_f32_i32_e32 v0, v0
.LBB25_2409:                            ;   in Loop: Header=BB25_17 Depth=1
	s_wait_xcnt 0x0
	s_or_b32 exec_lo, exec_lo, s27
                                        ; implicit-def: $vgpr2_vgpr3
                                        ; implicit-def: $vgpr13
.LBB25_2410:                            ;   in Loop: Header=BB25_17 Depth=1
	s_and_not1_saveexec_b32 s26, s26
	s_cbranch_execz .LBB25_2416
; %bb.2411:                             ;   in Loop: Header=BB25_17 Depth=1
	s_mov_b32 s27, exec_lo
                                        ; implicit-def: $vgpr0
	v_cmpx_lt_i16_e32 0, v13
	s_xor_b32 s27, exec_lo, s27
	s_cbranch_execz .LBB25_2413
; %bb.2412:                             ;   in Loop: Header=BB25_17 Depth=1
	s_wait_loadcnt_dscnt 0x0
	flat_load_i8 v0, v[2:3]
                                        ; implicit-def: $vgpr2_vgpr3
	s_wait_loadcnt_dscnt 0x0
	v_cvt_f32_i32_e32 v0, v0
.LBB25_2413:                            ;   in Loop: Header=BB25_17 Depth=1
	s_wait_xcnt 0x0
	s_and_not1_saveexec_b32 s27, s27
	s_cbranch_execz .LBB25_2415
; %bb.2414:                             ;   in Loop: Header=BB25_17 Depth=1
	s_wait_loadcnt_dscnt 0x0
	flat_load_u8 v0, v[2:3]
	s_wait_loadcnt_dscnt 0x0
	v_cvt_f32_ubyte0_e32 v0, v0
.LBB25_2415:                            ;   in Loop: Header=BB25_17 Depth=1
	s_wait_xcnt 0x0
	s_or_b32 exec_lo, exec_lo, s27
.LBB25_2416:                            ;   in Loop: Header=BB25_17 Depth=1
	s_delay_alu instid0(SALU_CYCLE_1)
	s_or_b32 exec_lo, exec_lo, s26
.LBB25_2417:                            ;   in Loop: Header=BB25_17 Depth=1
	s_delay_alu instid0(SALU_CYCLE_1) | instskip(NEXT) | instid1(SALU_CYCLE_1)
	s_or_b32 exec_lo, exec_lo, s25
	s_or_b32 s24, s24, exec_lo
	s_or_b32 exec_lo, exec_lo, s20
	s_mov_b32 s25, 0
	s_and_saveexec_b32 s20, s24
	s_cbranch_execnz .LBB25_679
	s_branch .LBB25_680
.LBB25_2418:                            ;   in Loop: Header=BB25_17 Depth=1
	s_mov_b32 s15, -1
	s_mov_b32 s17, exec_lo
	v_cmpx_eq_u16_e32 0x80, v2
; %bb.2419:                             ;   in Loop: Header=BB25_17 Depth=1
	s_xor_b32 s15, exec_lo, -1
; %bb.2420:                             ;   in Loop: Header=BB25_17 Depth=1
	s_or_b32 exec_lo, exec_lo, s17
	s_delay_alu instid0(SALU_CYCLE_1)
	s_and_b32 s15, s15, exec_lo
	s_or_saveexec_b32 s16, s16
	v_mov_b32_e32 v0, 0x7f800001
	s_xor_b32 exec_lo, exec_lo, s16
	s_cbranch_execz .LBB25_1832
.LBB25_2421:                            ;   in Loop: Header=BB25_17 Depth=1
	v_cmp_ne_u16_e32 vcc_lo, 0, v2
	v_mov_b32_e32 v0, 0
	s_and_not1_b32 s15, s15, exec_lo
	s_and_b32 s17, vcc_lo, exec_lo
	s_delay_alu instid0(SALU_CYCLE_1)
	s_or_b32 s15, s15, s17
	s_or_b32 exec_lo, exec_lo, s16
	s_and_saveexec_b32 s16, s15
	s_cbranch_execnz .LBB25_1833
	s_branch .LBB25_1834
.LBB25_2422:                            ;   in Loop: Header=BB25_17 Depth=1
	s_mov_b32 s16, -1
	s_mov_b32 s18, exec_lo
	v_cmpx_eq_u16_e32 0x80, v2
; %bb.2423:                             ;   in Loop: Header=BB25_17 Depth=1
	s_xor_b32 s16, exec_lo, -1
; %bb.2424:                             ;   in Loop: Header=BB25_17 Depth=1
	s_or_b32 exec_lo, exec_lo, s18
	s_delay_alu instid0(SALU_CYCLE_1)
	s_and_b32 s16, s16, exec_lo
	s_or_saveexec_b32 s17, s17
	v_mov_b32_e32 v0, 0x7f800001
	s_xor_b32 exec_lo, exec_lo, s17
	s_cbranch_execz .LBB25_1921
.LBB25_2425:                            ;   in Loop: Header=BB25_17 Depth=1
	v_cmp_ne_u16_e32 vcc_lo, 0, v2
	v_mov_b32_e32 v0, 0
	s_and_not1_b32 s16, s16, exec_lo
	s_and_b32 s18, vcc_lo, exec_lo
	s_delay_alu instid0(SALU_CYCLE_1)
	s_or_b32 s16, s16, s18
	s_or_b32 exec_lo, exec_lo, s17
	s_and_saveexec_b32 s17, s16
	s_cbranch_execnz .LBB25_1922
	s_branch .LBB25_1923
.LBB25_2426:                            ;   in Loop: Header=BB25_17 Depth=1
	s_mov_b32 s18, -1
	s_mov_b32 s20, exec_lo
	v_cmpx_eq_u16_e32 0x80, v2
; %bb.2427:                             ;   in Loop: Header=BB25_17 Depth=1
	s_xor_b32 s18, exec_lo, -1
; %bb.2428:                             ;   in Loop: Header=BB25_17 Depth=1
	s_or_b32 exec_lo, exec_lo, s20
	s_delay_alu instid0(SALU_CYCLE_1)
	s_and_b32 s18, s18, exec_lo
	s_or_saveexec_b32 s19, s19
	v_mov_b32_e32 v0, 0x7f800001
	s_xor_b32 exec_lo, exec_lo, s19
	s_cbranch_execz .LBB25_279
.LBB25_2429:                            ;   in Loop: Header=BB25_17 Depth=1
	v_cmp_ne_u16_e32 vcc_lo, 0, v2
	v_mov_b32_e32 v0, 0
	s_and_not1_b32 s18, s18, exec_lo
	s_and_b32 s20, vcc_lo, exec_lo
	s_delay_alu instid0(SALU_CYCLE_1)
	s_or_b32 s18, s18, s20
	s_or_b32 exec_lo, exec_lo, s19
	s_and_saveexec_b32 s19, s18
	s_cbranch_execnz .LBB25_280
	s_branch .LBB25_281
.LBB25_2430:                            ;   in Loop: Header=BB25_17 Depth=1
	s_mov_b32 s20, -1
	s_mov_b32 s22, exec_lo
	v_cmpx_eq_u16_e32 0x80, v2
; %bb.2431:                             ;   in Loop: Header=BB25_17 Depth=1
	s_xor_b32 s20, exec_lo, -1
; %bb.2432:                             ;   in Loop: Header=BB25_17 Depth=1
	s_or_b32 exec_lo, exec_lo, s22
	s_delay_alu instid0(SALU_CYCLE_1)
	s_and_b32 s20, s20, exec_lo
	s_or_saveexec_b32 s21, s21
	v_mov_b32_e32 v0, 0x7f800001
	s_xor_b32 exec_lo, exec_lo, s21
	s_cbranch_execz .LBB25_379
.LBB25_2433:                            ;   in Loop: Header=BB25_17 Depth=1
	v_cmp_ne_u16_e32 vcc_lo, 0, v2
	v_mov_b32_e32 v0, 0
	s_and_not1_b32 s20, s20, exec_lo
	s_and_b32 s22, vcc_lo, exec_lo
	s_delay_alu instid0(SALU_CYCLE_1)
	s_or_b32 s20, s20, s22
	s_or_b32 exec_lo, exec_lo, s21
	s_and_saveexec_b32 s21, s20
	s_cbranch_execnz .LBB25_380
	s_branch .LBB25_381
.LBB25_2434:                            ;   in Loop: Header=BB25_17 Depth=1
	s_mov_b32 s27, exec_lo
                                        ; implicit-def: $vgpr0
	v_cmpx_lt_i16_e32 25, v13
	s_xor_b32 s27, exec_lo, s27
	s_cbranch_execz .LBB25_2466
; %bb.2435:                             ;   in Loop: Header=BB25_17 Depth=1
	s_mov_b32 s29, exec_lo
                                        ; implicit-def: $vgpr0
	v_cmpx_lt_i16_e32 28, v13
	s_xor_b32 s29, exec_lo, s29
	s_cbranch_execz .LBB25_2451
; %bb.2436:                             ;   in Loop: Header=BB25_17 Depth=1
	s_mov_b32 s40, 0
	s_mov_b32 s28, exec_lo
                                        ; implicit-def: $vgpr0
	v_cmpx_lt_i16_e32 43, v13
	s_xor_b32 s28, exec_lo, s28
	s_cbranch_execz .LBB25_2446
; %bb.2437:                             ;   in Loop: Header=BB25_17 Depth=1
	s_mov_b32 s41, exec_lo
                                        ; implicit-def: $vgpr0
	v_cmpx_lt_i16_e32 45, v13
	s_xor_b32 s41, exec_lo, s41
	s_cbranch_execz .LBB25_2441
; %bb.2438:                             ;   in Loop: Header=BB25_17 Depth=1
	s_mov_b32 s42, exec_lo
                                        ; implicit-def: $vgpr0
	v_cmpx_eq_u16_e32 46, v13
	s_cbranch_execz .LBB25_2440
; %bb.2439:                             ;   in Loop: Header=BB25_17 Depth=1
	flat_load_b32 v0, v[2:3]
	s_mov_b32 s40, exec_lo
	s_wait_loadcnt_dscnt 0x0
	v_lshlrev_b32_e32 v0, 16, v0
.LBB25_2440:                            ;   in Loop: Header=BB25_17 Depth=1
	s_wait_xcnt 0x0
	s_or_b32 exec_lo, exec_lo, s42
	s_delay_alu instid0(SALU_CYCLE_1)
	s_and_b32 s40, s40, exec_lo
                                        ; implicit-def: $vgpr13
                                        ; implicit-def: $vgpr2_vgpr3
.LBB25_2441:                            ;   in Loop: Header=BB25_17 Depth=1
	s_and_not1_saveexec_b32 s41, s41
	s_cbranch_execz .LBB25_2445
; %bb.2442:                             ;   in Loop: Header=BB25_17 Depth=1
	s_mov_b32 s43, s40
	s_mov_b32 s42, exec_lo
                                        ; implicit-def: $vgpr0
	v_cmpx_eq_u16_e32 44, v13
	s_cbranch_execz .LBB25_2444
; %bb.2443:                             ;   in Loop: Header=BB25_17 Depth=1
	flat_load_u8 v0, v[2:3]
	s_or_b32 s43, s40, exec_lo
	s_wait_loadcnt_dscnt 0x0
	v_lshlrev_b32_e32 v2, 23, v0
	v_cmp_ne_u32_e32 vcc_lo, 0xff, v0
	s_delay_alu instid0(VALU_DEP_2) | instskip(SKIP_1) | instid1(VALU_DEP_2)
	v_cndmask_b32_e32 v2, 0x7f800001, v2, vcc_lo
	v_cmp_ne_u32_e32 vcc_lo, 0, v0
	v_cndmask_b32_e32 v0, 0x400000, v2, vcc_lo
.LBB25_2444:                            ;   in Loop: Header=BB25_17 Depth=1
	s_or_b32 exec_lo, exec_lo, s42
	s_delay_alu instid0(SALU_CYCLE_1) | instskip(SKIP_1) | instid1(SALU_CYCLE_1)
	s_and_not1_b32 s40, s40, exec_lo
	s_and_b32 s42, s43, exec_lo
	s_or_b32 s40, s40, s42
.LBB25_2445:                            ;   in Loop: Header=BB25_17 Depth=1
	s_or_b32 exec_lo, exec_lo, s41
	s_delay_alu instid0(SALU_CYCLE_1)
	s_and_b32 s40, s40, exec_lo
                                        ; implicit-def: $vgpr13
                                        ; implicit-def: $vgpr2_vgpr3
.LBB25_2446:                            ;   in Loop: Header=BB25_17 Depth=1
	s_and_not1_saveexec_b32 s28, s28
	s_cbranch_execz .LBB25_2450
; %bb.2447:                             ;   in Loop: Header=BB25_17 Depth=1
	s_mov_b32 s42, s40
	s_mov_b32 s41, exec_lo
                                        ; implicit-def: $vgpr0
	v_cmpx_eq_u16_e32 29, v13
	s_cbranch_execz .LBB25_2449
; %bb.2448:                             ;   in Loop: Header=BB25_17 Depth=1
	flat_load_b64 v[2:3], v[2:3]
	s_or_b32 s42, s40, exec_lo
	s_wait_loadcnt_dscnt 0x0
	v_clz_i32_u32_e32 v0, v3
	s_delay_alu instid0(VALU_DEP_1) | instskip(SKIP_1) | instid1(VALU_DEP_1)
	v_min_u32_e32 v0, 32, v0
	s_wait_xcnt 0x0
	v_lshlrev_b64_e32 v[2:3], v0, v[2:3]
	v_sub_nc_u32_e32 v0, 32, v0
	s_delay_alu instid0(VALU_DEP_2) | instskip(NEXT) | instid1(VALU_DEP_1)
	v_min_u32_e32 v2, 1, v2
	v_or_b32_e32 v2, v3, v2
	s_delay_alu instid0(VALU_DEP_1) | instskip(NEXT) | instid1(VALU_DEP_1)
	v_cvt_f32_u32_e32 v2, v2
	v_ldexp_f32 v0, v2, v0
.LBB25_2449:                            ;   in Loop: Header=BB25_17 Depth=1
	s_or_b32 exec_lo, exec_lo, s41
	s_delay_alu instid0(SALU_CYCLE_1) | instskip(SKIP_1) | instid1(SALU_CYCLE_1)
	s_and_not1_b32 s40, s40, exec_lo
	s_and_b32 s41, s42, exec_lo
	s_or_b32 s40, s40, s41
.LBB25_2450:                            ;   in Loop: Header=BB25_17 Depth=1
	s_or_b32 exec_lo, exec_lo, s28
	s_delay_alu instid0(SALU_CYCLE_1)
	s_and_b32 s28, s40, exec_lo
                                        ; implicit-def: $vgpr13
                                        ; implicit-def: $vgpr2_vgpr3
.LBB25_2451:                            ;   in Loop: Header=BB25_17 Depth=1
	s_and_not1_saveexec_b32 s29, s29
	s_cbranch_execz .LBB25_2465
; %bb.2452:                             ;   in Loop: Header=BB25_17 Depth=1
	s_mov_b32 s40, exec_lo
                                        ; implicit-def: $vgpr0
	v_cmpx_lt_i16_e32 26, v13
	s_xor_b32 s40, exec_lo, s40
	s_cbranch_execz .LBB25_2458
; %bb.2453:                             ;   in Loop: Header=BB25_17 Depth=1
	s_mov_b32 s41, exec_lo
                                        ; implicit-def: $vgpr0
	v_cmpx_lt_i16_e32 27, v13
	s_xor_b32 s41, exec_lo, s41
	s_cbranch_execz .LBB25_2455
; %bb.2454:                             ;   in Loop: Header=BB25_17 Depth=1
	flat_load_b32 v0, v[2:3]
                                        ; implicit-def: $vgpr2_vgpr3
	s_wait_loadcnt_dscnt 0x0
	v_cvt_f32_u32_e32 v0, v0
.LBB25_2455:                            ;   in Loop: Header=BB25_17 Depth=1
	s_wait_xcnt 0x0
	s_and_not1_saveexec_b32 s41, s41
	s_cbranch_execz .LBB25_2457
; %bb.2456:                             ;   in Loop: Header=BB25_17 Depth=1
	flat_load_u16 v0, v[2:3]
	s_wait_loadcnt_dscnt 0x0
	v_cvt_f32_u32_e32 v0, v0
.LBB25_2457:                            ;   in Loop: Header=BB25_17 Depth=1
	s_wait_xcnt 0x0
	s_or_b32 exec_lo, exec_lo, s41
                                        ; implicit-def: $vgpr2_vgpr3
.LBB25_2458:                            ;   in Loop: Header=BB25_17 Depth=1
	s_and_not1_saveexec_b32 s40, s40
	s_cbranch_execz .LBB25_2464
; %bb.2459:                             ;   in Loop: Header=BB25_17 Depth=1
	flat_load_u8 v2, v[2:3]
	s_mov_b32 s41, 0
	s_mov_b32 s42, exec_lo
	s_wait_loadcnt_dscnt 0x0
	v_cmpx_lt_i16_e32 0x7f, v2
	s_xor_b32 s42, exec_lo, s42
	s_cbranch_execnz .LBB25_3002
; %bb.2460:                             ;   in Loop: Header=BB25_17 Depth=1
	s_or_saveexec_b32 s42, s42
	v_mov_b32_e32 v0, 0x7f800001
	s_xor_b32 exec_lo, exec_lo, s42
	s_cbranch_execnz .LBB25_3005
.LBB25_2461:                            ;   in Loop: Header=BB25_17 Depth=1
	s_or_b32 exec_lo, exec_lo, s42
	s_and_saveexec_b32 s42, s41
	s_cbranch_execz .LBB25_2463
.LBB25_2462:                            ;   in Loop: Header=BB25_17 Depth=1
	v_and_b32_e32 v0, 0xffff, v2
	s_delay_alu instid0(VALU_DEP_1) | instskip(SKIP_1) | instid1(VALU_DEP_2)
	v_and_b32_e32 v3, 7, v0
	v_bfe_u32 v15, v0, 3, 4
	v_clz_i32_u32_e32 v13, v3
	s_delay_alu instid0(VALU_DEP_2) | instskip(NEXT) | instid1(VALU_DEP_2)
	v_cmp_eq_u32_e32 vcc_lo, 0, v15
	v_min_u32_e32 v13, 32, v13
	s_delay_alu instid0(VALU_DEP_1) | instskip(NEXT) | instid1(VALU_DEP_1)
	v_subrev_nc_u32_e32 v14, 28, v13
	v_dual_lshlrev_b32 v0, v14, v0 :: v_dual_sub_nc_u32 v13, 29, v13
	s_delay_alu instid0(VALU_DEP_1) | instskip(NEXT) | instid1(VALU_DEP_2)
	v_dual_lshlrev_b32 v2, 24, v2 :: v_dual_bitop2_b32 v0, 7, v0 bitop3:0x40
	v_cndmask_b32_e32 v13, v15, v13, vcc_lo
	s_delay_alu instid0(VALU_DEP_2) | instskip(NEXT) | instid1(VALU_DEP_3)
	v_cndmask_b32_e32 v0, v3, v0, vcc_lo
	v_and_b32_e32 v2, 0x80000000, v2
	s_delay_alu instid0(VALU_DEP_3) | instskip(NEXT) | instid1(VALU_DEP_3)
	v_lshl_add_u32 v3, v13, 23, 0x3b800000
	v_lshlrev_b32_e32 v0, 20, v0
	s_delay_alu instid0(VALU_DEP_1)
	v_or3_b32 v0, v2, v3, v0
.LBB25_2463:                            ;   in Loop: Header=BB25_17 Depth=1
	s_or_b32 exec_lo, exec_lo, s42
.LBB25_2464:                            ;   in Loop: Header=BB25_17 Depth=1
	s_delay_alu instid0(SALU_CYCLE_1) | instskip(NEXT) | instid1(SALU_CYCLE_1)
	s_or_b32 exec_lo, exec_lo, s40
	s_or_b32 s28, s28, exec_lo
.LBB25_2465:                            ;   in Loop: Header=BB25_17 Depth=1
	s_or_b32 exec_lo, exec_lo, s29
	s_delay_alu instid0(SALU_CYCLE_1)
	s_and_b32 s28, s28, exec_lo
                                        ; implicit-def: $vgpr13
                                        ; implicit-def: $vgpr2_vgpr3
.LBB25_2466:                            ;   in Loop: Header=BB25_17 Depth=1
	s_and_not1_saveexec_b32 s27, s27
	s_cbranch_execz .LBB25_2492
; %bb.2467:                             ;   in Loop: Header=BB25_17 Depth=1
	s_mov_b32 s40, s28
	s_mov_b32 s29, exec_lo
                                        ; implicit-def: $vgpr0
	v_cmpx_lt_i16_e32 22, v13
	s_xor_b32 s29, exec_lo, s29
	s_cbranch_execz .LBB25_2481
; %bb.2468:                             ;   in Loop: Header=BB25_17 Depth=1
	s_mov_b32 s40, exec_lo
                                        ; implicit-def: $vgpr0
	v_cmpx_lt_i16_e32 23, v13
	s_xor_b32 s40, exec_lo, s40
	s_cbranch_execz .LBB25_2478
; %bb.2469:                             ;   in Loop: Header=BB25_17 Depth=1
	;; [unrolled: 6-line block ×3, first 2 shown]
	flat_load_u8 v2, v[2:3]
	s_mov_b32 s42, 0
	s_mov_b32 s43, exec_lo
	s_wait_loadcnt_dscnt 0x0
	v_cmpx_lt_i16_e32 0x7f, v2
	s_xor_b32 s43, exec_lo, s43
	s_cbranch_execnz .LBB25_3114
; %bb.2471:                             ;   in Loop: Header=BB25_17 Depth=1
	s_or_saveexec_b32 s43, s43
	v_mov_b32_e32 v0, 0x7f800001
	s_xor_b32 exec_lo, exec_lo, s43
	s_cbranch_execnz .LBB25_3117
.LBB25_2472:                            ;   in Loop: Header=BB25_17 Depth=1
	s_or_b32 exec_lo, exec_lo, s43
	s_and_saveexec_b32 s43, s42
	s_cbranch_execz .LBB25_2474
.LBB25_2473:                            ;   in Loop: Header=BB25_17 Depth=1
	v_and_b32_e32 v0, 0xffff, v2
	s_delay_alu instid0(VALU_DEP_1) | instskip(SKIP_1) | instid1(VALU_DEP_2)
	v_and_b32_e32 v3, 3, v0
	v_bfe_u32 v15, v0, 2, 5
	v_clz_i32_u32_e32 v13, v3
	s_delay_alu instid0(VALU_DEP_2) | instskip(NEXT) | instid1(VALU_DEP_2)
	v_cmp_eq_u32_e32 vcc_lo, 0, v15
	v_min_u32_e32 v13, 32, v13
	s_delay_alu instid0(VALU_DEP_1) | instskip(NEXT) | instid1(VALU_DEP_1)
	v_subrev_nc_u32_e32 v14, 29, v13
	v_dual_lshlrev_b32 v0, v14, v0 :: v_dual_sub_nc_u32 v13, 30, v13
	s_delay_alu instid0(VALU_DEP_1) | instskip(NEXT) | instid1(VALU_DEP_2)
	v_dual_lshlrev_b32 v2, 24, v2 :: v_dual_bitop2_b32 v0, 3, v0 bitop3:0x40
	v_cndmask_b32_e32 v13, v15, v13, vcc_lo
	s_delay_alu instid0(VALU_DEP_2) | instskip(NEXT) | instid1(VALU_DEP_3)
	v_cndmask_b32_e32 v0, v3, v0, vcc_lo
	v_and_b32_e32 v2, 0x80000000, v2
	s_delay_alu instid0(VALU_DEP_3) | instskip(NEXT) | instid1(VALU_DEP_3)
	v_lshl_add_u32 v3, v13, 23, 0x37800000
	v_lshlrev_b32_e32 v0, 21, v0
	s_delay_alu instid0(VALU_DEP_1)
	v_or3_b32 v0, v2, v3, v0
.LBB25_2474:                            ;   in Loop: Header=BB25_17 Depth=1
	s_or_b32 exec_lo, exec_lo, s43
                                        ; implicit-def: $vgpr2_vgpr3
.LBB25_2475:                            ;   in Loop: Header=BB25_17 Depth=1
	s_and_not1_saveexec_b32 s41, s41
	s_cbranch_execz .LBB25_2477
; %bb.2476:                             ;   in Loop: Header=BB25_17 Depth=1
	flat_load_u8 v0, v[2:3]
	s_wait_loadcnt_dscnt 0x0
	v_lshlrev_b32_e32 v0, 24, v0
	s_wait_xcnt 0x0
	s_delay_alu instid0(VALU_DEP_1) | instskip(NEXT) | instid1(VALU_DEP_1)
	v_and_b32_e32 v2, 0x7f000000, v0
	v_clz_i32_u32_e32 v3, v2
	v_add_nc_u32_e32 v14, 0x1000000, v2
	v_cmp_ne_u32_e32 vcc_lo, 0, v2
	s_delay_alu instid0(VALU_DEP_3) | instskip(NEXT) | instid1(VALU_DEP_1)
	v_min_u32_e32 v3, 32, v3
	v_sub_nc_u32_e64 v3, v3, 4 clamp
	s_delay_alu instid0(VALU_DEP_1) | instskip(NEXT) | instid1(VALU_DEP_1)
	v_dual_lshlrev_b32 v13, v3, v2 :: v_dual_lshlrev_b32 v3, 23, v3
	v_lshrrev_b32_e32 v13, 4, v13
	s_delay_alu instid0(VALU_DEP_1) | instskip(NEXT) | instid1(VALU_DEP_1)
	v_dual_sub_nc_u32 v3, v13, v3 :: v_dual_ashrrev_i32 v13, 8, v14
	v_add_nc_u32_e32 v3, 0x3c000000, v3
	s_delay_alu instid0(VALU_DEP_1) | instskip(NEXT) | instid1(VALU_DEP_1)
	v_and_or_b32 v3, 0x7f800000, v13, v3
	v_cndmask_b32_e32 v2, 0, v3, vcc_lo
	s_delay_alu instid0(VALU_DEP_1)
	v_and_or_b32 v0, 0x80000000, v0, v2
.LBB25_2477:                            ;   in Loop: Header=BB25_17 Depth=1
	s_or_b32 exec_lo, exec_lo, s41
                                        ; implicit-def: $vgpr2_vgpr3
.LBB25_2478:                            ;   in Loop: Header=BB25_17 Depth=1
	s_and_not1_saveexec_b32 s40, s40
	s_cbranch_execz .LBB25_2480
; %bb.2479:                             ;   in Loop: Header=BB25_17 Depth=1
	flat_load_u8 v0, v[2:3]
	s_wait_loadcnt_dscnt 0x0
	v_lshlrev_b32_e32 v2, 25, v0
	v_lshlrev_b16 v0, 8, v0
	s_delay_alu instid0(VALU_DEP_1) | instskip(SKIP_1) | instid1(VALU_DEP_2)
	v_and_or_b32 v13, 0x7f00, v0, 0.5
	v_bfe_i32 v0, v0, 0, 16
	v_dual_add_f32 v13, -0.5, v13 :: v_dual_lshrrev_b32 v3, 4, v2
	v_cmp_gt_u32_e32 vcc_lo, 0x8000000, v2
	s_delay_alu instid0(VALU_DEP_2) | instskip(NEXT) | instid1(VALU_DEP_1)
	v_or_b32_e32 v3, 0x70000000, v3
	v_mul_f32_e32 v3, 0x7800000, v3
	s_delay_alu instid0(VALU_DEP_1) | instskip(NEXT) | instid1(VALU_DEP_1)
	v_cndmask_b32_e32 v2, v3, v13, vcc_lo
	v_and_or_b32 v0, 0x80000000, v0, v2
.LBB25_2480:                            ;   in Loop: Header=BB25_17 Depth=1
	s_or_b32 exec_lo, exec_lo, s40
	s_delay_alu instid0(SALU_CYCLE_1)
	s_or_b32 s40, s28, exec_lo
                                        ; implicit-def: $vgpr13
                                        ; implicit-def: $vgpr2_vgpr3
.LBB25_2481:                            ;   in Loop: Header=BB25_17 Depth=1
	s_and_not1_saveexec_b32 s29, s29
	s_cbranch_execz .LBB25_2491
; %bb.2482:                             ;   in Loop: Header=BB25_17 Depth=1
	s_mov_b32 s41, s40
	s_mov_b32 s42, exec_lo
                                        ; implicit-def: $vgpr0
	v_cmpx_lt_i16_e32 14, v13
	s_xor_b32 s42, exec_lo, s42
	s_cbranch_execz .LBB25_2486
; %bb.2483:                             ;   in Loop: Header=BB25_17 Depth=1
	s_mov_b32 s41, s40
	s_mov_b32 s43, exec_lo
                                        ; implicit-def: $vgpr0
	v_cmpx_eq_u16_e32 15, v13
	s_cbranch_execz .LBB25_2485
; %bb.2484:                             ;   in Loop: Header=BB25_17 Depth=1
	flat_load_u16 v0, v[2:3]
	s_or_b32 s41, s40, exec_lo
	s_wait_loadcnt_dscnt 0x0
	v_lshlrev_b32_e32 v0, 16, v0
.LBB25_2485:                            ;   in Loop: Header=BB25_17 Depth=1
	s_wait_xcnt 0x0
	s_or_b32 exec_lo, exec_lo, s43
	s_delay_alu instid0(SALU_CYCLE_1) | instskip(SKIP_1) | instid1(SALU_CYCLE_1)
	s_and_not1_b32 s43, s40, exec_lo
	s_and_b32 s41, s41, exec_lo
                                        ; implicit-def: $vgpr13
                                        ; implicit-def: $vgpr2_vgpr3
	s_or_b32 s41, s43, s41
.LBB25_2486:                            ;   in Loop: Header=BB25_17 Depth=1
	s_and_not1_saveexec_b32 s42, s42
	s_cbranch_execz .LBB25_2490
; %bb.2487:                             ;   in Loop: Header=BB25_17 Depth=1
	s_mov_b32 s43, s41
	s_mov_b32 s44, exec_lo
                                        ; implicit-def: $vgpr0
	v_cmpx_eq_u16_e32 11, v13
	s_cbranch_execz .LBB25_2489
; %bb.2488:                             ;   in Loop: Header=BB25_17 Depth=1
	flat_load_u8 v0, v[2:3]
	s_or_b32 s43, s41, exec_lo
	s_wait_loadcnt_dscnt 0x0
	v_cmp_ne_u16_e32 vcc_lo, 0, v0
	v_cndmask_b32_e64 v0, 0, 1.0, vcc_lo
.LBB25_2489:                            ;   in Loop: Header=BB25_17 Depth=1
	s_wait_xcnt 0x0
	s_or_b32 exec_lo, exec_lo, s44
	s_delay_alu instid0(SALU_CYCLE_1) | instskip(SKIP_1) | instid1(SALU_CYCLE_1)
	s_and_not1_b32 s41, s41, exec_lo
	s_and_b32 s43, s43, exec_lo
	s_or_b32 s41, s41, s43
.LBB25_2490:                            ;   in Loop: Header=BB25_17 Depth=1
	s_or_b32 exec_lo, exec_lo, s42
	s_delay_alu instid0(SALU_CYCLE_1) | instskip(SKIP_1) | instid1(SALU_CYCLE_1)
	s_and_not1_b32 s40, s40, exec_lo
	s_and_b32 s41, s41, exec_lo
	s_or_b32 s40, s40, s41
.LBB25_2491:                            ;   in Loop: Header=BB25_17 Depth=1
	s_or_b32 exec_lo, exec_lo, s29
	s_delay_alu instid0(SALU_CYCLE_1) | instskip(SKIP_1) | instid1(SALU_CYCLE_1)
	s_and_not1_b32 s28, s28, exec_lo
	s_and_b32 s29, s40, exec_lo
	s_or_b32 s28, s28, s29
.LBB25_2492:                            ;   in Loop: Header=BB25_17 Depth=1
	s_or_b32 exec_lo, exec_lo, s27
	s_delay_alu instid0(SALU_CYCLE_1)
	s_and_b32 s27, s28, exec_lo
                                        ; implicit-def: $vgpr13
                                        ; implicit-def: $vgpr2_vgpr3
	s_and_not1_saveexec_b32 s23, s23
	s_cbranch_execz .LBB25_789
.LBB25_2493:                            ;   in Loop: Header=BB25_17 Depth=1
	s_mov_b32 s28, exec_lo
                                        ; implicit-def: $vgpr0
	v_cmpx_lt_i16_e32 4, v13
	s_xor_b32 s28, exec_lo, s28
	s_cbranch_execz .LBB25_2515
; %bb.2494:                             ;   in Loop: Header=BB25_17 Depth=1
	s_mov_b32 s29, exec_lo
                                        ; implicit-def: $vgpr0
	v_cmpx_lt_i16_e32 7, v13
	s_xor_b32 s29, exec_lo, s29
	s_cbranch_execz .LBB25_2504
; %bb.2495:                             ;   in Loop: Header=BB25_17 Depth=1
	;; [unrolled: 6-line block ×4, first 2 shown]
	flat_load_b64 v[2:3], v[2:3]
	s_wait_loadcnt_dscnt 0x0
	v_cvt_f32_f64_e32 v0, v[2:3]
                                        ; implicit-def: $vgpr2_vgpr3
.LBB25_2498:                            ;   in Loop: Header=BB25_17 Depth=1
	s_wait_xcnt 0x0
	s_and_not1_saveexec_b32 s41, s41
	s_cbranch_execz .LBB25_2500
; %bb.2499:                             ;   in Loop: Header=BB25_17 Depth=1
	flat_load_b32 v0, v[2:3]
.LBB25_2500:                            ;   in Loop: Header=BB25_17 Depth=1
	s_wait_xcnt 0x0
	s_or_b32 exec_lo, exec_lo, s41
                                        ; implicit-def: $vgpr2_vgpr3
.LBB25_2501:                            ;   in Loop: Header=BB25_17 Depth=1
	s_and_not1_saveexec_b32 s40, s40
	s_cbranch_execz .LBB25_2503
; %bb.2502:                             ;   in Loop: Header=BB25_17 Depth=1
	s_wait_loadcnt_dscnt 0x0
	flat_load_b32 v0, v[2:3]
	s_wait_loadcnt_dscnt 0x0
	v_cvt_f32_f16_e32 v0, v0
.LBB25_2503:                            ;   in Loop: Header=BB25_17 Depth=1
	s_wait_xcnt 0x0
	s_or_b32 exec_lo, exec_lo, s40
                                        ; implicit-def: $vgpr2_vgpr3
                                        ; implicit-def: $vgpr13
.LBB25_2504:                            ;   in Loop: Header=BB25_17 Depth=1
	s_and_not1_saveexec_b32 s29, s29
	s_cbranch_execz .LBB25_2514
; %bb.2505:                             ;   in Loop: Header=BB25_17 Depth=1
	s_mov_b32 s40, exec_lo
                                        ; implicit-def: $vgpr0
	v_cmpx_lt_i16_e32 5, v13
	s_xor_b32 s40, exec_lo, s40
	s_cbranch_execz .LBB25_2511
; %bb.2506:                             ;   in Loop: Header=BB25_17 Depth=1
	s_mov_b32 s41, exec_lo
                                        ; implicit-def: $vgpr0
	v_cmpx_lt_i16_e32 6, v13
	s_xor_b32 s41, exec_lo, s41
	s_cbranch_execz .LBB25_2508
; %bb.2507:                             ;   in Loop: Header=BB25_17 Depth=1
	flat_load_b64 v[2:3], v[2:3]
	s_wait_loadcnt_dscnt 0x0
	v_cvt_f32_f64_e32 v0, v[2:3]
                                        ; implicit-def: $vgpr2_vgpr3
.LBB25_2508:                            ;   in Loop: Header=BB25_17 Depth=1
	s_wait_xcnt 0x0
	s_and_not1_saveexec_b32 s41, s41
	s_cbranch_execz .LBB25_2510
; %bb.2509:                             ;   in Loop: Header=BB25_17 Depth=1
	s_wait_loadcnt_dscnt 0x0
	flat_load_b32 v0, v[2:3]
.LBB25_2510:                            ;   in Loop: Header=BB25_17 Depth=1
	s_wait_xcnt 0x0
	s_or_b32 exec_lo, exec_lo, s41
                                        ; implicit-def: $vgpr2_vgpr3
.LBB25_2511:                            ;   in Loop: Header=BB25_17 Depth=1
	s_and_not1_saveexec_b32 s40, s40
	s_cbranch_execz .LBB25_2513
; %bb.2512:                             ;   in Loop: Header=BB25_17 Depth=1
	s_wait_loadcnt_dscnt 0x0
	flat_load_u16 v0, v[2:3]
	s_wait_loadcnt_dscnt 0x0
	v_cvt_f32_f16_e32 v0, v0
.LBB25_2513:                            ;   in Loop: Header=BB25_17 Depth=1
	s_wait_xcnt 0x0
	s_or_b32 exec_lo, exec_lo, s40
.LBB25_2514:                            ;   in Loop: Header=BB25_17 Depth=1
	s_delay_alu instid0(SALU_CYCLE_1)
	s_or_b32 exec_lo, exec_lo, s29
                                        ; implicit-def: $vgpr13
                                        ; implicit-def: $vgpr2_vgpr3
.LBB25_2515:                            ;   in Loop: Header=BB25_17 Depth=1
	s_and_not1_saveexec_b32 s28, s28
	s_cbranch_execz .LBB25_2533
; %bb.2516:                             ;   in Loop: Header=BB25_17 Depth=1
	s_mov_b32 s29, exec_lo
                                        ; implicit-def: $vgpr0
	v_cmpx_lt_i16_e32 1, v13
	s_xor_b32 s29, exec_lo, s29
	s_cbranch_execz .LBB25_2526
; %bb.2517:                             ;   in Loop: Header=BB25_17 Depth=1
	s_mov_b32 s40, exec_lo
                                        ; implicit-def: $vgpr0
	v_cmpx_lt_i16_e32 2, v13
	s_xor_b32 s40, exec_lo, s40
	;; [unrolled: 6-line block ×3, first 2 shown]
	s_cbranch_execz .LBB25_2520
; %bb.2519:                             ;   in Loop: Header=BB25_17 Depth=1
	flat_load_b64 v[2:3], v[2:3]
	s_wait_loadcnt_dscnt 0x0
	v_xor_b32_e32 v0, v2, v3
	v_cls_i32_e32 v13, v3
	s_delay_alu instid0(VALU_DEP_2) | instskip(NEXT) | instid1(VALU_DEP_1)
	v_ashrrev_i32_e32 v0, 31, v0
	v_add_nc_u32_e32 v0, 32, v0
	s_delay_alu instid0(VALU_DEP_1) | instskip(SKIP_1) | instid1(VALU_DEP_1)
	v_add_min_u32_e64 v0, v13, -1, v0
	s_wait_xcnt 0x0
	v_lshlrev_b64_e32 v[2:3], v0, v[2:3]
	v_sub_nc_u32_e32 v0, 32, v0
	s_delay_alu instid0(VALU_DEP_2) | instskip(NEXT) | instid1(VALU_DEP_1)
	v_min_u32_e32 v2, 1, v2
	v_or_b32_e32 v2, v3, v2
	s_delay_alu instid0(VALU_DEP_1) | instskip(NEXT) | instid1(VALU_DEP_1)
	v_cvt_f32_i32_e32 v2, v2
	v_ldexp_f32 v0, v2, v0
                                        ; implicit-def: $vgpr2_vgpr3
.LBB25_2520:                            ;   in Loop: Header=BB25_17 Depth=1
	s_and_not1_saveexec_b32 s41, s41
	s_cbranch_execz .LBB25_2522
; %bb.2521:                             ;   in Loop: Header=BB25_17 Depth=1
	s_wait_loadcnt_dscnt 0x0
	flat_load_b32 v0, v[2:3]
	s_wait_loadcnt_dscnt 0x0
	v_cvt_f32_i32_e32 v0, v0
.LBB25_2522:                            ;   in Loop: Header=BB25_17 Depth=1
	s_wait_xcnt 0x0
	s_or_b32 exec_lo, exec_lo, s41
                                        ; implicit-def: $vgpr2_vgpr3
.LBB25_2523:                            ;   in Loop: Header=BB25_17 Depth=1
	s_and_not1_saveexec_b32 s40, s40
	s_cbranch_execz .LBB25_2525
; %bb.2524:                             ;   in Loop: Header=BB25_17 Depth=1
	s_wait_loadcnt_dscnt 0x0
	flat_load_i16 v0, v[2:3]
	s_wait_loadcnt_dscnt 0x0
	v_cvt_f32_i32_e32 v0, v0
.LBB25_2525:                            ;   in Loop: Header=BB25_17 Depth=1
	s_wait_xcnt 0x0
	s_or_b32 exec_lo, exec_lo, s40
                                        ; implicit-def: $vgpr2_vgpr3
                                        ; implicit-def: $vgpr13
.LBB25_2526:                            ;   in Loop: Header=BB25_17 Depth=1
	s_and_not1_saveexec_b32 s29, s29
	s_cbranch_execz .LBB25_2532
; %bb.2527:                             ;   in Loop: Header=BB25_17 Depth=1
	s_mov_b32 s40, exec_lo
                                        ; implicit-def: $vgpr0
	v_cmpx_lt_i16_e32 0, v13
	s_xor_b32 s40, exec_lo, s40
	s_cbranch_execz .LBB25_2529
; %bb.2528:                             ;   in Loop: Header=BB25_17 Depth=1
	s_wait_loadcnt_dscnt 0x0
	flat_load_i8 v0, v[2:3]
                                        ; implicit-def: $vgpr2_vgpr3
	s_wait_loadcnt_dscnt 0x0
	v_cvt_f32_i32_e32 v0, v0
.LBB25_2529:                            ;   in Loop: Header=BB25_17 Depth=1
	s_wait_xcnt 0x0
	s_and_not1_saveexec_b32 s40, s40
	s_cbranch_execz .LBB25_2531
; %bb.2530:                             ;   in Loop: Header=BB25_17 Depth=1
	s_wait_loadcnt_dscnt 0x0
	flat_load_u8 v0, v[2:3]
	s_wait_loadcnt_dscnt 0x0
	v_cvt_f32_ubyte0_e32 v0, v0
.LBB25_2531:                            ;   in Loop: Header=BB25_17 Depth=1
	s_wait_xcnt 0x0
	s_or_b32 exec_lo, exec_lo, s40
.LBB25_2532:                            ;   in Loop: Header=BB25_17 Depth=1
	s_delay_alu instid0(SALU_CYCLE_1)
	s_or_b32 exec_lo, exec_lo, s29
.LBB25_2533:                            ;   in Loop: Header=BB25_17 Depth=1
	s_delay_alu instid0(SALU_CYCLE_1) | instskip(NEXT) | instid1(SALU_CYCLE_1)
	s_or_b32 exec_lo, exec_lo, s28
	s_or_b32 s27, s27, exec_lo
	s_or_b32 exec_lo, exec_lo, s23
	s_mov_b32 s28, 0
	s_and_saveexec_b32 s23, s27
	s_cbranch_execnz .LBB25_790
	s_branch .LBB25_791
.LBB25_2534:                            ;   in Loop: Header=BB25_17 Depth=1
	s_mov_b32 s17, -1
	s_mov_b32 s19, exec_lo
	v_cmpx_eq_u16_e32 0x80, v2
; %bb.2535:                             ;   in Loop: Header=BB25_17 Depth=1
	s_xor_b32 s17, exec_lo, -1
; %bb.2536:                             ;   in Loop: Header=BB25_17 Depth=1
	s_or_b32 exec_lo, exec_lo, s19
	s_delay_alu instid0(SALU_CYCLE_1)
	s_and_b32 s17, s17, exec_lo
	s_or_saveexec_b32 s18, s18
	v_mov_b32_e32 v0, 0x7f800001
	s_xor_b32 exec_lo, exec_lo, s18
	s_cbranch_execz .LBB25_1932
.LBB25_2537:                            ;   in Loop: Header=BB25_17 Depth=1
	v_cmp_ne_u16_e32 vcc_lo, 0, v2
	v_mov_b32_e32 v0, 0
	s_and_not1_b32 s17, s17, exec_lo
	s_and_b32 s19, vcc_lo, exec_lo
	s_delay_alu instid0(SALU_CYCLE_1)
	s_or_b32 s17, s17, s19
	s_or_b32 exec_lo, exec_lo, s18
	s_and_saveexec_b32 s18, s17
	s_cbranch_execnz .LBB25_1933
	s_branch .LBB25_1934
.LBB25_2538:                            ;   in Loop: Header=BB25_17 Depth=1
	s_mov_b32 s19, -1
	s_mov_b32 s21, exec_lo
	v_cmpx_eq_u16_e32 0x80, v2
; %bb.2539:                             ;   in Loop: Header=BB25_17 Depth=1
	s_xor_b32 s19, exec_lo, -1
; %bb.2540:                             ;   in Loop: Header=BB25_17 Depth=1
	s_or_b32 exec_lo, exec_lo, s21
	s_delay_alu instid0(SALU_CYCLE_1)
	s_and_b32 s19, s19, exec_lo
	s_or_saveexec_b32 s20, s20
	v_mov_b32_e32 v0, 0x7f800001
	s_xor_b32 exec_lo, exec_lo, s20
	s_cbranch_execz .LBB25_2021
.LBB25_2541:                            ;   in Loop: Header=BB25_17 Depth=1
	v_cmp_ne_u16_e32 vcc_lo, 0, v2
	v_mov_b32_e32 v0, 0
	s_and_not1_b32 s19, s19, exec_lo
	s_and_b32 s21, vcc_lo, exec_lo
	s_delay_alu instid0(SALU_CYCLE_1)
	s_or_b32 s19, s19, s21
	s_or_b32 exec_lo, exec_lo, s20
	s_and_saveexec_b32 s20, s19
	s_cbranch_execnz .LBB25_2022
	s_branch .LBB25_2023
.LBB25_2542:                            ;   in Loop: Header=BB25_17 Depth=1
	s_mov_b32 s21, -1
	s_mov_b32 s23, exec_lo
	v_cmpx_eq_u16_e32 0x80, v2
; %bb.2543:                             ;   in Loop: Header=BB25_17 Depth=1
	s_xor_b32 s21, exec_lo, -1
; %bb.2544:                             ;   in Loop: Header=BB25_17 Depth=1
	s_or_b32 exec_lo, exec_lo, s23
	s_delay_alu instid0(SALU_CYCLE_1)
	s_and_b32 s21, s21, exec_lo
	s_or_saveexec_b32 s22, s22
	v_mov_b32_e32 v0, 0x7f800001
	s_xor_b32 exec_lo, exec_lo, s22
	s_cbranch_execz .LBB25_390
.LBB25_2545:                            ;   in Loop: Header=BB25_17 Depth=1
	v_cmp_ne_u16_e32 vcc_lo, 0, v2
	v_mov_b32_e32 v0, 0
	s_and_not1_b32 s21, s21, exec_lo
	s_and_b32 s23, vcc_lo, exec_lo
	s_delay_alu instid0(SALU_CYCLE_1)
	s_or_b32 s21, s21, s23
	s_or_b32 exec_lo, exec_lo, s22
	s_and_saveexec_b32 s22, s21
	s_cbranch_execnz .LBB25_391
	s_branch .LBB25_392
.LBB25_2546:                            ;   in Loop: Header=BB25_17 Depth=1
	s_mov_b32 s23, -1
	s_mov_b32 s25, exec_lo
	v_cmpx_eq_u16_e32 0x80, v2
; %bb.2547:                             ;   in Loop: Header=BB25_17 Depth=1
	s_xor_b32 s23, exec_lo, -1
; %bb.2548:                             ;   in Loop: Header=BB25_17 Depth=1
	s_or_b32 exec_lo, exec_lo, s25
	s_delay_alu instid0(SALU_CYCLE_1)
	s_and_b32 s23, s23, exec_lo
	s_or_saveexec_b32 s24, s24
	v_mov_b32_e32 v0, 0x7f800001
	s_xor_b32 exec_lo, exec_lo, s24
	s_cbranch_execz .LBB25_490
.LBB25_2549:                            ;   in Loop: Header=BB25_17 Depth=1
	v_cmp_ne_u16_e32 vcc_lo, 0, v2
	v_mov_b32_e32 v0, 0
	s_and_not1_b32 s23, s23, exec_lo
	s_and_b32 s25, vcc_lo, exec_lo
	s_delay_alu instid0(SALU_CYCLE_1)
	s_or_b32 s23, s23, s25
	s_or_b32 exec_lo, exec_lo, s24
	s_and_saveexec_b32 s24, s23
	s_cbranch_execnz .LBB25_491
	s_branch .LBB25_492
.LBB25_2550:                            ;   in Loop: Header=BB25_17 Depth=1
	s_mov_b32 s40, exec_lo
                                        ; implicit-def: $vgpr0
	v_cmpx_lt_i16_e32 25, v13
	s_xor_b32 s40, exec_lo, s40
	s_cbranch_execz .LBB25_2582
; %bb.2551:                             ;   in Loop: Header=BB25_17 Depth=1
	s_mov_b32 s42, exec_lo
                                        ; implicit-def: $vgpr0
	v_cmpx_lt_i16_e32 28, v13
	s_xor_b32 s42, exec_lo, s42
	s_cbranch_execz .LBB25_2567
; %bb.2552:                             ;   in Loop: Header=BB25_17 Depth=1
	s_mov_b32 s43, 0
	s_mov_b32 s41, exec_lo
                                        ; implicit-def: $vgpr0
	v_cmpx_lt_i16_e32 43, v13
	s_xor_b32 s41, exec_lo, s41
	s_cbranch_execz .LBB25_2562
; %bb.2553:                             ;   in Loop: Header=BB25_17 Depth=1
	s_mov_b32 s44, exec_lo
                                        ; implicit-def: $vgpr0
	v_cmpx_lt_i16_e32 45, v13
	s_xor_b32 s44, exec_lo, s44
	s_cbranch_execz .LBB25_2557
; %bb.2554:                             ;   in Loop: Header=BB25_17 Depth=1
	s_mov_b32 s45, exec_lo
                                        ; implicit-def: $vgpr0
	v_cmpx_eq_u16_e32 46, v13
	s_cbranch_execz .LBB25_2556
; %bb.2555:                             ;   in Loop: Header=BB25_17 Depth=1
	flat_load_b32 v0, v[2:3]
	s_mov_b32 s43, exec_lo
	s_wait_loadcnt_dscnt 0x0
	v_lshlrev_b32_e32 v0, 16, v0
.LBB25_2556:                            ;   in Loop: Header=BB25_17 Depth=1
	s_wait_xcnt 0x0
	s_or_b32 exec_lo, exec_lo, s45
	s_delay_alu instid0(SALU_CYCLE_1)
	s_and_b32 s43, s43, exec_lo
                                        ; implicit-def: $vgpr13
                                        ; implicit-def: $vgpr2_vgpr3
.LBB25_2557:                            ;   in Loop: Header=BB25_17 Depth=1
	s_and_not1_saveexec_b32 s44, s44
	s_cbranch_execz .LBB25_2561
; %bb.2558:                             ;   in Loop: Header=BB25_17 Depth=1
	s_mov_b32 s46, s43
	s_mov_b32 s45, exec_lo
                                        ; implicit-def: $vgpr0
	v_cmpx_eq_u16_e32 44, v13
	s_cbranch_execz .LBB25_2560
; %bb.2559:                             ;   in Loop: Header=BB25_17 Depth=1
	flat_load_u8 v0, v[2:3]
	s_or_b32 s46, s43, exec_lo
	s_wait_loadcnt_dscnt 0x0
	v_lshlrev_b32_e32 v2, 23, v0
	v_cmp_ne_u32_e32 vcc_lo, 0xff, v0
	s_delay_alu instid0(VALU_DEP_2) | instskip(SKIP_1) | instid1(VALU_DEP_2)
	v_cndmask_b32_e32 v2, 0x7f800001, v2, vcc_lo
	v_cmp_ne_u32_e32 vcc_lo, 0, v0
	v_cndmask_b32_e32 v0, 0x400000, v2, vcc_lo
.LBB25_2560:                            ;   in Loop: Header=BB25_17 Depth=1
	s_or_b32 exec_lo, exec_lo, s45
	s_delay_alu instid0(SALU_CYCLE_1) | instskip(SKIP_1) | instid1(SALU_CYCLE_1)
	s_and_not1_b32 s43, s43, exec_lo
	s_and_b32 s45, s46, exec_lo
	s_or_b32 s43, s43, s45
.LBB25_2561:                            ;   in Loop: Header=BB25_17 Depth=1
	s_or_b32 exec_lo, exec_lo, s44
	s_delay_alu instid0(SALU_CYCLE_1)
	s_and_b32 s43, s43, exec_lo
                                        ; implicit-def: $vgpr13
                                        ; implicit-def: $vgpr2_vgpr3
.LBB25_2562:                            ;   in Loop: Header=BB25_17 Depth=1
	s_and_not1_saveexec_b32 s41, s41
	s_cbranch_execz .LBB25_2566
; %bb.2563:                             ;   in Loop: Header=BB25_17 Depth=1
	s_mov_b32 s45, s43
	s_mov_b32 s44, exec_lo
                                        ; implicit-def: $vgpr0
	v_cmpx_eq_u16_e32 29, v13
	s_cbranch_execz .LBB25_2565
; %bb.2564:                             ;   in Loop: Header=BB25_17 Depth=1
	flat_load_b64 v[2:3], v[2:3]
	s_or_b32 s45, s43, exec_lo
	s_wait_loadcnt_dscnt 0x0
	v_clz_i32_u32_e32 v0, v3
	s_delay_alu instid0(VALU_DEP_1) | instskip(SKIP_1) | instid1(VALU_DEP_1)
	v_min_u32_e32 v0, 32, v0
	s_wait_xcnt 0x0
	v_lshlrev_b64_e32 v[2:3], v0, v[2:3]
	v_sub_nc_u32_e32 v0, 32, v0
	s_delay_alu instid0(VALU_DEP_2) | instskip(NEXT) | instid1(VALU_DEP_1)
	v_min_u32_e32 v2, 1, v2
	v_or_b32_e32 v2, v3, v2
	s_delay_alu instid0(VALU_DEP_1) | instskip(NEXT) | instid1(VALU_DEP_1)
	v_cvt_f32_u32_e32 v2, v2
	v_ldexp_f32 v0, v2, v0
.LBB25_2565:                            ;   in Loop: Header=BB25_17 Depth=1
	s_or_b32 exec_lo, exec_lo, s44
	s_delay_alu instid0(SALU_CYCLE_1) | instskip(SKIP_1) | instid1(SALU_CYCLE_1)
	s_and_not1_b32 s43, s43, exec_lo
	s_and_b32 s44, s45, exec_lo
	s_or_b32 s43, s43, s44
.LBB25_2566:                            ;   in Loop: Header=BB25_17 Depth=1
	s_or_b32 exec_lo, exec_lo, s41
	s_delay_alu instid0(SALU_CYCLE_1)
	s_and_b32 s41, s43, exec_lo
                                        ; implicit-def: $vgpr13
                                        ; implicit-def: $vgpr2_vgpr3
.LBB25_2567:                            ;   in Loop: Header=BB25_17 Depth=1
	s_and_not1_saveexec_b32 s42, s42
	s_cbranch_execz .LBB25_2581
; %bb.2568:                             ;   in Loop: Header=BB25_17 Depth=1
	s_mov_b32 s43, exec_lo
                                        ; implicit-def: $vgpr0
	v_cmpx_lt_i16_e32 26, v13
	s_xor_b32 s43, exec_lo, s43
	s_cbranch_execz .LBB25_2574
; %bb.2569:                             ;   in Loop: Header=BB25_17 Depth=1
	s_mov_b32 s44, exec_lo
                                        ; implicit-def: $vgpr0
	v_cmpx_lt_i16_e32 27, v13
	s_xor_b32 s44, exec_lo, s44
	s_cbranch_execz .LBB25_2571
; %bb.2570:                             ;   in Loop: Header=BB25_17 Depth=1
	flat_load_b32 v0, v[2:3]
                                        ; implicit-def: $vgpr2_vgpr3
	s_wait_loadcnt_dscnt 0x0
	v_cvt_f32_u32_e32 v0, v0
.LBB25_2571:                            ;   in Loop: Header=BB25_17 Depth=1
	s_wait_xcnt 0x0
	s_and_not1_saveexec_b32 s44, s44
	s_cbranch_execz .LBB25_2573
; %bb.2572:                             ;   in Loop: Header=BB25_17 Depth=1
	flat_load_u16 v0, v[2:3]
	s_wait_loadcnt_dscnt 0x0
	v_cvt_f32_u32_e32 v0, v0
.LBB25_2573:                            ;   in Loop: Header=BB25_17 Depth=1
	s_wait_xcnt 0x0
	s_or_b32 exec_lo, exec_lo, s44
                                        ; implicit-def: $vgpr2_vgpr3
.LBB25_2574:                            ;   in Loop: Header=BB25_17 Depth=1
	s_and_not1_saveexec_b32 s43, s43
	s_cbranch_execz .LBB25_2580
; %bb.2575:                             ;   in Loop: Header=BB25_17 Depth=1
	flat_load_u8 v2, v[2:3]
	s_mov_b32 s44, 0
	s_mov_b32 s45, exec_lo
	s_wait_loadcnt_dscnt 0x0
	v_cmpx_lt_i16_e32 0x7f, v2
	s_xor_b32 s45, exec_lo, s45
	s_cbranch_execnz .LBB25_3118
; %bb.2576:                             ;   in Loop: Header=BB25_17 Depth=1
	s_or_saveexec_b32 s45, s45
	v_mov_b32_e32 v0, 0x7f800001
	s_xor_b32 exec_lo, exec_lo, s45
	s_cbranch_execnz .LBB25_3121
.LBB25_2577:                            ;   in Loop: Header=BB25_17 Depth=1
	s_or_b32 exec_lo, exec_lo, s45
	s_and_saveexec_b32 s45, s44
	s_cbranch_execz .LBB25_2579
.LBB25_2578:                            ;   in Loop: Header=BB25_17 Depth=1
	v_and_b32_e32 v0, 0xffff, v2
	s_delay_alu instid0(VALU_DEP_1) | instskip(SKIP_1) | instid1(VALU_DEP_2)
	v_and_b32_e32 v3, 7, v0
	v_bfe_u32 v15, v0, 3, 4
	v_clz_i32_u32_e32 v13, v3
	s_delay_alu instid0(VALU_DEP_2) | instskip(NEXT) | instid1(VALU_DEP_2)
	v_cmp_eq_u32_e32 vcc_lo, 0, v15
	v_min_u32_e32 v13, 32, v13
	s_delay_alu instid0(VALU_DEP_1) | instskip(NEXT) | instid1(VALU_DEP_1)
	v_subrev_nc_u32_e32 v14, 28, v13
	v_dual_lshlrev_b32 v0, v14, v0 :: v_dual_sub_nc_u32 v13, 29, v13
	s_delay_alu instid0(VALU_DEP_1) | instskip(NEXT) | instid1(VALU_DEP_2)
	v_dual_lshlrev_b32 v2, 24, v2 :: v_dual_bitop2_b32 v0, 7, v0 bitop3:0x40
	v_cndmask_b32_e32 v13, v15, v13, vcc_lo
	s_delay_alu instid0(VALU_DEP_2) | instskip(NEXT) | instid1(VALU_DEP_3)
	v_cndmask_b32_e32 v0, v3, v0, vcc_lo
	v_and_b32_e32 v2, 0x80000000, v2
	s_delay_alu instid0(VALU_DEP_3) | instskip(NEXT) | instid1(VALU_DEP_3)
	v_lshl_add_u32 v3, v13, 23, 0x3b800000
	v_lshlrev_b32_e32 v0, 20, v0
	s_delay_alu instid0(VALU_DEP_1)
	v_or3_b32 v0, v2, v3, v0
.LBB25_2579:                            ;   in Loop: Header=BB25_17 Depth=1
	s_or_b32 exec_lo, exec_lo, s45
.LBB25_2580:                            ;   in Loop: Header=BB25_17 Depth=1
	s_delay_alu instid0(SALU_CYCLE_1) | instskip(NEXT) | instid1(SALU_CYCLE_1)
	s_or_b32 exec_lo, exec_lo, s43
	s_or_b32 s41, s41, exec_lo
.LBB25_2581:                            ;   in Loop: Header=BB25_17 Depth=1
	s_or_b32 exec_lo, exec_lo, s42
	s_delay_alu instid0(SALU_CYCLE_1)
	s_and_b32 s41, s41, exec_lo
                                        ; implicit-def: $vgpr13
                                        ; implicit-def: $vgpr2_vgpr3
.LBB25_2582:                            ;   in Loop: Header=BB25_17 Depth=1
	s_and_not1_saveexec_b32 s40, s40
	s_cbranch_execz .LBB25_2608
; %bb.2583:                             ;   in Loop: Header=BB25_17 Depth=1
	s_mov_b32 s43, s41
	s_mov_b32 s42, exec_lo
                                        ; implicit-def: $vgpr0
	v_cmpx_lt_i16_e32 22, v13
	s_xor_b32 s42, exec_lo, s42
	s_cbranch_execz .LBB25_2597
; %bb.2584:                             ;   in Loop: Header=BB25_17 Depth=1
	s_mov_b32 s43, exec_lo
                                        ; implicit-def: $vgpr0
	v_cmpx_lt_i16_e32 23, v13
	s_xor_b32 s43, exec_lo, s43
	s_cbranch_execz .LBB25_2594
; %bb.2585:                             ;   in Loop: Header=BB25_17 Depth=1
	;; [unrolled: 6-line block ×3, first 2 shown]
	flat_load_u8 v2, v[2:3]
	s_mov_b32 s45, 0
	s_mov_b32 s46, exec_lo
	s_wait_loadcnt_dscnt 0x0
	v_cmpx_lt_i16_e32 0x7f, v2
	s_xor_b32 s46, exec_lo, s46
	s_cbranch_execnz .LBB25_3230
; %bb.2587:                             ;   in Loop: Header=BB25_17 Depth=1
	s_or_saveexec_b32 s46, s46
	v_mov_b32_e32 v0, 0x7f800001
	s_xor_b32 exec_lo, exec_lo, s46
	s_cbranch_execnz .LBB25_3233
.LBB25_2588:                            ;   in Loop: Header=BB25_17 Depth=1
	s_or_b32 exec_lo, exec_lo, s46
	s_and_saveexec_b32 s46, s45
	s_cbranch_execz .LBB25_2590
.LBB25_2589:                            ;   in Loop: Header=BB25_17 Depth=1
	v_and_b32_e32 v0, 0xffff, v2
	s_delay_alu instid0(VALU_DEP_1) | instskip(SKIP_1) | instid1(VALU_DEP_2)
	v_and_b32_e32 v3, 3, v0
	v_bfe_u32 v15, v0, 2, 5
	v_clz_i32_u32_e32 v13, v3
	s_delay_alu instid0(VALU_DEP_2) | instskip(NEXT) | instid1(VALU_DEP_2)
	v_cmp_eq_u32_e32 vcc_lo, 0, v15
	v_min_u32_e32 v13, 32, v13
	s_delay_alu instid0(VALU_DEP_1) | instskip(NEXT) | instid1(VALU_DEP_1)
	v_subrev_nc_u32_e32 v14, 29, v13
	v_dual_lshlrev_b32 v0, v14, v0 :: v_dual_sub_nc_u32 v13, 30, v13
	s_delay_alu instid0(VALU_DEP_1) | instskip(NEXT) | instid1(VALU_DEP_2)
	v_dual_lshlrev_b32 v2, 24, v2 :: v_dual_bitop2_b32 v0, 3, v0 bitop3:0x40
	v_cndmask_b32_e32 v13, v15, v13, vcc_lo
	s_delay_alu instid0(VALU_DEP_2) | instskip(NEXT) | instid1(VALU_DEP_3)
	v_cndmask_b32_e32 v0, v3, v0, vcc_lo
	v_and_b32_e32 v2, 0x80000000, v2
	s_delay_alu instid0(VALU_DEP_3) | instskip(NEXT) | instid1(VALU_DEP_3)
	v_lshl_add_u32 v3, v13, 23, 0x37800000
	v_lshlrev_b32_e32 v0, 21, v0
	s_delay_alu instid0(VALU_DEP_1)
	v_or3_b32 v0, v2, v3, v0
.LBB25_2590:                            ;   in Loop: Header=BB25_17 Depth=1
	s_or_b32 exec_lo, exec_lo, s46
                                        ; implicit-def: $vgpr2_vgpr3
.LBB25_2591:                            ;   in Loop: Header=BB25_17 Depth=1
	s_and_not1_saveexec_b32 s44, s44
	s_cbranch_execz .LBB25_2593
; %bb.2592:                             ;   in Loop: Header=BB25_17 Depth=1
	flat_load_u8 v0, v[2:3]
	s_wait_loadcnt_dscnt 0x0
	v_lshlrev_b32_e32 v0, 24, v0
	s_wait_xcnt 0x0
	s_delay_alu instid0(VALU_DEP_1) | instskip(NEXT) | instid1(VALU_DEP_1)
	v_and_b32_e32 v2, 0x7f000000, v0
	v_clz_i32_u32_e32 v3, v2
	v_add_nc_u32_e32 v14, 0x1000000, v2
	v_cmp_ne_u32_e32 vcc_lo, 0, v2
	s_delay_alu instid0(VALU_DEP_3) | instskip(NEXT) | instid1(VALU_DEP_1)
	v_min_u32_e32 v3, 32, v3
	v_sub_nc_u32_e64 v3, v3, 4 clamp
	s_delay_alu instid0(VALU_DEP_1) | instskip(NEXT) | instid1(VALU_DEP_1)
	v_dual_lshlrev_b32 v13, v3, v2 :: v_dual_lshlrev_b32 v3, 23, v3
	v_lshrrev_b32_e32 v13, 4, v13
	s_delay_alu instid0(VALU_DEP_1) | instskip(NEXT) | instid1(VALU_DEP_1)
	v_dual_sub_nc_u32 v3, v13, v3 :: v_dual_ashrrev_i32 v13, 8, v14
	v_add_nc_u32_e32 v3, 0x3c000000, v3
	s_delay_alu instid0(VALU_DEP_1) | instskip(NEXT) | instid1(VALU_DEP_1)
	v_and_or_b32 v3, 0x7f800000, v13, v3
	v_cndmask_b32_e32 v2, 0, v3, vcc_lo
	s_delay_alu instid0(VALU_DEP_1)
	v_and_or_b32 v0, 0x80000000, v0, v2
.LBB25_2593:                            ;   in Loop: Header=BB25_17 Depth=1
	s_or_b32 exec_lo, exec_lo, s44
                                        ; implicit-def: $vgpr2_vgpr3
.LBB25_2594:                            ;   in Loop: Header=BB25_17 Depth=1
	s_and_not1_saveexec_b32 s43, s43
	s_cbranch_execz .LBB25_2596
; %bb.2595:                             ;   in Loop: Header=BB25_17 Depth=1
	flat_load_u8 v0, v[2:3]
	s_wait_loadcnt_dscnt 0x0
	v_lshlrev_b32_e32 v2, 25, v0
	v_lshlrev_b16 v0, 8, v0
	s_delay_alu instid0(VALU_DEP_1) | instskip(SKIP_1) | instid1(VALU_DEP_2)
	v_and_or_b32 v13, 0x7f00, v0, 0.5
	v_bfe_i32 v0, v0, 0, 16
	v_dual_add_f32 v13, -0.5, v13 :: v_dual_lshrrev_b32 v3, 4, v2
	v_cmp_gt_u32_e32 vcc_lo, 0x8000000, v2
	s_delay_alu instid0(VALU_DEP_2) | instskip(NEXT) | instid1(VALU_DEP_1)
	v_or_b32_e32 v3, 0x70000000, v3
	v_mul_f32_e32 v3, 0x7800000, v3
	s_delay_alu instid0(VALU_DEP_1) | instskip(NEXT) | instid1(VALU_DEP_1)
	v_cndmask_b32_e32 v2, v3, v13, vcc_lo
	v_and_or_b32 v0, 0x80000000, v0, v2
.LBB25_2596:                            ;   in Loop: Header=BB25_17 Depth=1
	s_or_b32 exec_lo, exec_lo, s43
	s_delay_alu instid0(SALU_CYCLE_1)
	s_or_b32 s43, s41, exec_lo
                                        ; implicit-def: $vgpr13
                                        ; implicit-def: $vgpr2_vgpr3
.LBB25_2597:                            ;   in Loop: Header=BB25_17 Depth=1
	s_and_not1_saveexec_b32 s42, s42
	s_cbranch_execz .LBB25_2607
; %bb.2598:                             ;   in Loop: Header=BB25_17 Depth=1
	s_mov_b32 s44, s43
	s_mov_b32 s45, exec_lo
                                        ; implicit-def: $vgpr0
	v_cmpx_lt_i16_e32 14, v13
	s_xor_b32 s45, exec_lo, s45
	s_cbranch_execz .LBB25_2602
; %bb.2599:                             ;   in Loop: Header=BB25_17 Depth=1
	s_mov_b32 s44, s43
	s_mov_b32 s46, exec_lo
                                        ; implicit-def: $vgpr0
	v_cmpx_eq_u16_e32 15, v13
	s_cbranch_execz .LBB25_2601
; %bb.2600:                             ;   in Loop: Header=BB25_17 Depth=1
	flat_load_u16 v0, v[2:3]
	s_or_b32 s44, s43, exec_lo
	s_wait_loadcnt_dscnt 0x0
	v_lshlrev_b32_e32 v0, 16, v0
.LBB25_2601:                            ;   in Loop: Header=BB25_17 Depth=1
	s_wait_xcnt 0x0
	s_or_b32 exec_lo, exec_lo, s46
	s_delay_alu instid0(SALU_CYCLE_1) | instskip(SKIP_1) | instid1(SALU_CYCLE_1)
	s_and_not1_b32 s46, s43, exec_lo
	s_and_b32 s44, s44, exec_lo
                                        ; implicit-def: $vgpr13
                                        ; implicit-def: $vgpr2_vgpr3
	s_or_b32 s44, s46, s44
.LBB25_2602:                            ;   in Loop: Header=BB25_17 Depth=1
	s_and_not1_saveexec_b32 s45, s45
	s_cbranch_execz .LBB25_2606
; %bb.2603:                             ;   in Loop: Header=BB25_17 Depth=1
	s_mov_b32 s46, s44
	s_mov_b32 s47, exec_lo
                                        ; implicit-def: $vgpr0
	v_cmpx_eq_u16_e32 11, v13
	s_cbranch_execz .LBB25_2605
; %bb.2604:                             ;   in Loop: Header=BB25_17 Depth=1
	flat_load_u8 v0, v[2:3]
	s_or_b32 s46, s44, exec_lo
	s_wait_loadcnt_dscnt 0x0
	v_cmp_ne_u16_e32 vcc_lo, 0, v0
	v_cndmask_b32_e64 v0, 0, 1.0, vcc_lo
.LBB25_2605:                            ;   in Loop: Header=BB25_17 Depth=1
	s_wait_xcnt 0x0
	s_or_b32 exec_lo, exec_lo, s47
	s_delay_alu instid0(SALU_CYCLE_1) | instskip(SKIP_1) | instid1(SALU_CYCLE_1)
	s_and_not1_b32 s44, s44, exec_lo
	s_and_b32 s46, s46, exec_lo
	s_or_b32 s44, s44, s46
.LBB25_2606:                            ;   in Loop: Header=BB25_17 Depth=1
	s_or_b32 exec_lo, exec_lo, s45
	s_delay_alu instid0(SALU_CYCLE_1) | instskip(SKIP_1) | instid1(SALU_CYCLE_1)
	s_and_not1_b32 s43, s43, exec_lo
	s_and_b32 s44, s44, exec_lo
	s_or_b32 s43, s43, s44
.LBB25_2607:                            ;   in Loop: Header=BB25_17 Depth=1
	s_or_b32 exec_lo, exec_lo, s42
	s_delay_alu instid0(SALU_CYCLE_1) | instskip(SKIP_1) | instid1(SALU_CYCLE_1)
	s_and_not1_b32 s41, s41, exec_lo
	s_and_b32 s42, s43, exec_lo
	s_or_b32 s41, s41, s42
.LBB25_2608:                            ;   in Loop: Header=BB25_17 Depth=1
	s_or_b32 exec_lo, exec_lo, s40
	s_delay_alu instid0(SALU_CYCLE_1)
	s_and_b32 s40, s41, exec_lo
                                        ; implicit-def: $vgpr13
                                        ; implicit-def: $vgpr2_vgpr3
	s_and_not1_saveexec_b32 s26, s26
	s_cbranch_execz .LBB25_900
.LBB25_2609:                            ;   in Loop: Header=BB25_17 Depth=1
	s_mov_b32 s41, exec_lo
                                        ; implicit-def: $vgpr0
	v_cmpx_lt_i16_e32 4, v13
	s_xor_b32 s41, exec_lo, s41
	s_cbranch_execz .LBB25_2631
; %bb.2610:                             ;   in Loop: Header=BB25_17 Depth=1
	s_mov_b32 s42, exec_lo
                                        ; implicit-def: $vgpr0
	v_cmpx_lt_i16_e32 7, v13
	s_xor_b32 s42, exec_lo, s42
	s_cbranch_execz .LBB25_2620
; %bb.2611:                             ;   in Loop: Header=BB25_17 Depth=1
	;; [unrolled: 6-line block ×4, first 2 shown]
	flat_load_b64 v[2:3], v[2:3]
	s_wait_loadcnt_dscnt 0x0
	v_cvt_f32_f64_e32 v0, v[2:3]
                                        ; implicit-def: $vgpr2_vgpr3
.LBB25_2614:                            ;   in Loop: Header=BB25_17 Depth=1
	s_wait_xcnt 0x0
	s_and_not1_saveexec_b32 s44, s44
	s_cbranch_execz .LBB25_2616
; %bb.2615:                             ;   in Loop: Header=BB25_17 Depth=1
	flat_load_b32 v0, v[2:3]
.LBB25_2616:                            ;   in Loop: Header=BB25_17 Depth=1
	s_wait_xcnt 0x0
	s_or_b32 exec_lo, exec_lo, s44
                                        ; implicit-def: $vgpr2_vgpr3
.LBB25_2617:                            ;   in Loop: Header=BB25_17 Depth=1
	s_and_not1_saveexec_b32 s43, s43
	s_cbranch_execz .LBB25_2619
; %bb.2618:                             ;   in Loop: Header=BB25_17 Depth=1
	s_wait_loadcnt_dscnt 0x0
	flat_load_b32 v0, v[2:3]
	s_wait_loadcnt_dscnt 0x0
	v_cvt_f32_f16_e32 v0, v0
.LBB25_2619:                            ;   in Loop: Header=BB25_17 Depth=1
	s_wait_xcnt 0x0
	s_or_b32 exec_lo, exec_lo, s43
                                        ; implicit-def: $vgpr2_vgpr3
                                        ; implicit-def: $vgpr13
.LBB25_2620:                            ;   in Loop: Header=BB25_17 Depth=1
	s_and_not1_saveexec_b32 s42, s42
	s_cbranch_execz .LBB25_2630
; %bb.2621:                             ;   in Loop: Header=BB25_17 Depth=1
	s_mov_b32 s43, exec_lo
                                        ; implicit-def: $vgpr0
	v_cmpx_lt_i16_e32 5, v13
	s_xor_b32 s43, exec_lo, s43
	s_cbranch_execz .LBB25_2627
; %bb.2622:                             ;   in Loop: Header=BB25_17 Depth=1
	s_mov_b32 s44, exec_lo
                                        ; implicit-def: $vgpr0
	v_cmpx_lt_i16_e32 6, v13
	s_xor_b32 s44, exec_lo, s44
	s_cbranch_execz .LBB25_2624
; %bb.2623:                             ;   in Loop: Header=BB25_17 Depth=1
	flat_load_b64 v[2:3], v[2:3]
	s_wait_loadcnt_dscnt 0x0
	v_cvt_f32_f64_e32 v0, v[2:3]
                                        ; implicit-def: $vgpr2_vgpr3
.LBB25_2624:                            ;   in Loop: Header=BB25_17 Depth=1
	s_wait_xcnt 0x0
	s_and_not1_saveexec_b32 s44, s44
	s_cbranch_execz .LBB25_2626
; %bb.2625:                             ;   in Loop: Header=BB25_17 Depth=1
	s_wait_loadcnt_dscnt 0x0
	flat_load_b32 v0, v[2:3]
.LBB25_2626:                            ;   in Loop: Header=BB25_17 Depth=1
	s_wait_xcnt 0x0
	s_or_b32 exec_lo, exec_lo, s44
                                        ; implicit-def: $vgpr2_vgpr3
.LBB25_2627:                            ;   in Loop: Header=BB25_17 Depth=1
	s_and_not1_saveexec_b32 s43, s43
	s_cbranch_execz .LBB25_2629
; %bb.2628:                             ;   in Loop: Header=BB25_17 Depth=1
	s_wait_loadcnt_dscnt 0x0
	flat_load_u16 v0, v[2:3]
	s_wait_loadcnt_dscnt 0x0
	v_cvt_f32_f16_e32 v0, v0
.LBB25_2629:                            ;   in Loop: Header=BB25_17 Depth=1
	s_wait_xcnt 0x0
	s_or_b32 exec_lo, exec_lo, s43
.LBB25_2630:                            ;   in Loop: Header=BB25_17 Depth=1
	s_delay_alu instid0(SALU_CYCLE_1)
	s_or_b32 exec_lo, exec_lo, s42
                                        ; implicit-def: $vgpr13
                                        ; implicit-def: $vgpr2_vgpr3
.LBB25_2631:                            ;   in Loop: Header=BB25_17 Depth=1
	s_and_not1_saveexec_b32 s41, s41
	s_cbranch_execz .LBB25_2649
; %bb.2632:                             ;   in Loop: Header=BB25_17 Depth=1
	s_mov_b32 s42, exec_lo
                                        ; implicit-def: $vgpr0
	v_cmpx_lt_i16_e32 1, v13
	s_xor_b32 s42, exec_lo, s42
	s_cbranch_execz .LBB25_2642
; %bb.2633:                             ;   in Loop: Header=BB25_17 Depth=1
	s_mov_b32 s43, exec_lo
                                        ; implicit-def: $vgpr0
	v_cmpx_lt_i16_e32 2, v13
	s_xor_b32 s43, exec_lo, s43
	;; [unrolled: 6-line block ×3, first 2 shown]
	s_cbranch_execz .LBB25_2636
; %bb.2635:                             ;   in Loop: Header=BB25_17 Depth=1
	flat_load_b64 v[2:3], v[2:3]
	s_wait_loadcnt_dscnt 0x0
	v_xor_b32_e32 v0, v2, v3
	v_cls_i32_e32 v13, v3
	s_delay_alu instid0(VALU_DEP_2) | instskip(NEXT) | instid1(VALU_DEP_1)
	v_ashrrev_i32_e32 v0, 31, v0
	v_add_nc_u32_e32 v0, 32, v0
	s_delay_alu instid0(VALU_DEP_1) | instskip(SKIP_1) | instid1(VALU_DEP_1)
	v_add_min_u32_e64 v0, v13, -1, v0
	s_wait_xcnt 0x0
	v_lshlrev_b64_e32 v[2:3], v0, v[2:3]
	v_sub_nc_u32_e32 v0, 32, v0
	s_delay_alu instid0(VALU_DEP_2) | instskip(NEXT) | instid1(VALU_DEP_1)
	v_min_u32_e32 v2, 1, v2
	v_or_b32_e32 v2, v3, v2
	s_delay_alu instid0(VALU_DEP_1) | instskip(NEXT) | instid1(VALU_DEP_1)
	v_cvt_f32_i32_e32 v2, v2
	v_ldexp_f32 v0, v2, v0
                                        ; implicit-def: $vgpr2_vgpr3
.LBB25_2636:                            ;   in Loop: Header=BB25_17 Depth=1
	s_and_not1_saveexec_b32 s44, s44
	s_cbranch_execz .LBB25_2638
; %bb.2637:                             ;   in Loop: Header=BB25_17 Depth=1
	s_wait_loadcnt_dscnt 0x0
	flat_load_b32 v0, v[2:3]
	s_wait_loadcnt_dscnt 0x0
	v_cvt_f32_i32_e32 v0, v0
.LBB25_2638:                            ;   in Loop: Header=BB25_17 Depth=1
	s_wait_xcnt 0x0
	s_or_b32 exec_lo, exec_lo, s44
                                        ; implicit-def: $vgpr2_vgpr3
.LBB25_2639:                            ;   in Loop: Header=BB25_17 Depth=1
	s_and_not1_saveexec_b32 s43, s43
	s_cbranch_execz .LBB25_2641
; %bb.2640:                             ;   in Loop: Header=BB25_17 Depth=1
	s_wait_loadcnt_dscnt 0x0
	flat_load_i16 v0, v[2:3]
	s_wait_loadcnt_dscnt 0x0
	v_cvt_f32_i32_e32 v0, v0
.LBB25_2641:                            ;   in Loop: Header=BB25_17 Depth=1
	s_wait_xcnt 0x0
	s_or_b32 exec_lo, exec_lo, s43
                                        ; implicit-def: $vgpr2_vgpr3
                                        ; implicit-def: $vgpr13
.LBB25_2642:                            ;   in Loop: Header=BB25_17 Depth=1
	s_and_not1_saveexec_b32 s42, s42
	s_cbranch_execz .LBB25_2648
; %bb.2643:                             ;   in Loop: Header=BB25_17 Depth=1
	s_mov_b32 s43, exec_lo
                                        ; implicit-def: $vgpr0
	v_cmpx_lt_i16_e32 0, v13
	s_xor_b32 s43, exec_lo, s43
	s_cbranch_execz .LBB25_2645
; %bb.2644:                             ;   in Loop: Header=BB25_17 Depth=1
	s_wait_loadcnt_dscnt 0x0
	flat_load_i8 v0, v[2:3]
                                        ; implicit-def: $vgpr2_vgpr3
	s_wait_loadcnt_dscnt 0x0
	v_cvt_f32_i32_e32 v0, v0
.LBB25_2645:                            ;   in Loop: Header=BB25_17 Depth=1
	s_wait_xcnt 0x0
	s_and_not1_saveexec_b32 s43, s43
	s_cbranch_execz .LBB25_2647
; %bb.2646:                             ;   in Loop: Header=BB25_17 Depth=1
	s_wait_loadcnt_dscnt 0x0
	flat_load_u8 v0, v[2:3]
	s_wait_loadcnt_dscnt 0x0
	v_cvt_f32_ubyte0_e32 v0, v0
.LBB25_2647:                            ;   in Loop: Header=BB25_17 Depth=1
	s_wait_xcnt 0x0
	s_or_b32 exec_lo, exec_lo, s43
.LBB25_2648:                            ;   in Loop: Header=BB25_17 Depth=1
	s_delay_alu instid0(SALU_CYCLE_1)
	s_or_b32 exec_lo, exec_lo, s42
.LBB25_2649:                            ;   in Loop: Header=BB25_17 Depth=1
	s_delay_alu instid0(SALU_CYCLE_1) | instskip(NEXT) | instid1(SALU_CYCLE_1)
	s_or_b32 exec_lo, exec_lo, s41
	s_or_b32 s40, s40, exec_lo
	s_or_b32 exec_lo, exec_lo, s26
	s_mov_b32 s41, 0
	s_and_saveexec_b32 s26, s40
	s_cbranch_execnz .LBB25_901
	s_branch .LBB25_902
.LBB25_2650:                            ;   in Loop: Header=BB25_17 Depth=1
	s_mov_b32 s20, -1
	s_mov_b32 s22, exec_lo
	v_cmpx_eq_u16_e32 0x80, v2
; %bb.2651:                             ;   in Loop: Header=BB25_17 Depth=1
	s_xor_b32 s20, exec_lo, -1
; %bb.2652:                             ;   in Loop: Header=BB25_17 Depth=1
	s_or_b32 exec_lo, exec_lo, s22
	s_delay_alu instid0(SALU_CYCLE_1)
	s_and_b32 s20, s20, exec_lo
	s_or_saveexec_b32 s21, s21
	v_mov_b32_e32 v0, 0x7f800001
	s_xor_b32 exec_lo, exec_lo, s21
	s_cbranch_execz .LBB25_2032
.LBB25_2653:                            ;   in Loop: Header=BB25_17 Depth=1
	v_cmp_ne_u16_e32 vcc_lo, 0, v2
	v_mov_b32_e32 v0, 0
	s_and_not1_b32 s20, s20, exec_lo
	s_and_b32 s22, vcc_lo, exec_lo
	s_delay_alu instid0(SALU_CYCLE_1)
	s_or_b32 s20, s20, s22
	s_or_b32 exec_lo, exec_lo, s21
	s_and_saveexec_b32 s21, s20
	s_cbranch_execnz .LBB25_2033
	s_branch .LBB25_2034
.LBB25_2654:                            ;   in Loop: Header=BB25_17 Depth=1
	s_mov_b32 s22, -1
	s_mov_b32 s24, exec_lo
	v_cmpx_eq_u16_e32 0x80, v2
; %bb.2655:                             ;   in Loop: Header=BB25_17 Depth=1
	s_xor_b32 s22, exec_lo, -1
; %bb.2656:                             ;   in Loop: Header=BB25_17 Depth=1
	s_or_b32 exec_lo, exec_lo, s24
	s_delay_alu instid0(SALU_CYCLE_1)
	s_and_b32 s22, s22, exec_lo
	s_or_saveexec_b32 s23, s23
	v_mov_b32_e32 v0, 0x7f800001
	s_xor_b32 exec_lo, exec_lo, s23
	s_cbranch_execz .LBB25_2125
.LBB25_2657:                            ;   in Loop: Header=BB25_17 Depth=1
	v_cmp_ne_u16_e32 vcc_lo, 0, v2
	v_mov_b32_e32 v0, 0
	s_and_not1_b32 s22, s22, exec_lo
	s_and_b32 s24, vcc_lo, exec_lo
	s_delay_alu instid0(SALU_CYCLE_1)
	s_or_b32 s22, s22, s24
	s_or_b32 exec_lo, exec_lo, s23
	s_and_saveexec_b32 s23, s22
	s_cbranch_execnz .LBB25_2126
	s_branch .LBB25_2127
.LBB25_2658:                            ;   in Loop: Header=BB25_17 Depth=1
	s_mov_b32 s24, -1
	s_mov_b32 s26, exec_lo
	v_cmpx_eq_u16_e32 0x80, v2
; %bb.2659:                             ;   in Loop: Header=BB25_17 Depth=1
	s_xor_b32 s24, exec_lo, -1
; %bb.2660:                             ;   in Loop: Header=BB25_17 Depth=1
	s_or_b32 exec_lo, exec_lo, s26
	s_delay_alu instid0(SALU_CYCLE_1)
	s_and_b32 s24, s24, exec_lo
	s_or_saveexec_b32 s25, s25
	v_mov_b32_e32 v0, 0x7f800001
	s_xor_b32 exec_lo, exec_lo, s25
	s_cbranch_execz .LBB25_501
.LBB25_2661:                            ;   in Loop: Header=BB25_17 Depth=1
	v_cmp_ne_u16_e32 vcc_lo, 0, v2
	v_mov_b32_e32 v0, 0
	s_and_not1_b32 s24, s24, exec_lo
	s_and_b32 s26, vcc_lo, exec_lo
	s_delay_alu instid0(SALU_CYCLE_1)
	s_or_b32 s24, s24, s26
	s_or_b32 exec_lo, exec_lo, s25
	s_and_saveexec_b32 s25, s24
	s_cbranch_execnz .LBB25_502
	s_branch .LBB25_503
.LBB25_2662:                            ;   in Loop: Header=BB25_17 Depth=1
	s_mov_b32 s26, -1
	s_mov_b32 s28, exec_lo
	v_cmpx_eq_u16_e32 0x80, v2
; %bb.2663:                             ;   in Loop: Header=BB25_17 Depth=1
	s_xor_b32 s26, exec_lo, -1
; %bb.2664:                             ;   in Loop: Header=BB25_17 Depth=1
	s_or_b32 exec_lo, exec_lo, s28
	s_delay_alu instid0(SALU_CYCLE_1)
	s_and_b32 s26, s26, exec_lo
	s_or_saveexec_b32 s27, s27
	v_mov_b32_e32 v0, 0x7f800001
	s_xor_b32 exec_lo, exec_lo, s27
	s_cbranch_execz .LBB25_601
.LBB25_2665:                            ;   in Loop: Header=BB25_17 Depth=1
	v_cmp_ne_u16_e32 vcc_lo, 0, v2
	v_mov_b32_e32 v0, 0
	s_and_not1_b32 s26, s26, exec_lo
	s_and_b32 s28, vcc_lo, exec_lo
	s_delay_alu instid0(SALU_CYCLE_1)
	s_or_b32 s26, s26, s28
	s_or_b32 exec_lo, exec_lo, s27
	s_and_saveexec_b32 s27, s26
	s_cbranch_execnz .LBB25_602
	s_branch .LBB25_603
.LBB25_2666:                            ;   in Loop: Header=BB25_17 Depth=1
	s_mov_b32 s43, exec_lo
                                        ; implicit-def: $vgpr0
	v_cmpx_lt_i16_e32 25, v13
	s_xor_b32 s43, exec_lo, s43
	s_cbranch_execz .LBB25_2698
; %bb.2667:                             ;   in Loop: Header=BB25_17 Depth=1
	s_mov_b32 s45, exec_lo
                                        ; implicit-def: $vgpr0
	v_cmpx_lt_i16_e32 28, v13
	s_xor_b32 s45, exec_lo, s45
	s_cbranch_execz .LBB25_2683
; %bb.2668:                             ;   in Loop: Header=BB25_17 Depth=1
	s_mov_b32 s46, 0
	s_mov_b32 s44, exec_lo
                                        ; implicit-def: $vgpr0
	v_cmpx_lt_i16_e32 43, v13
	s_xor_b32 s44, exec_lo, s44
	s_cbranch_execz .LBB25_2678
; %bb.2669:                             ;   in Loop: Header=BB25_17 Depth=1
	s_mov_b32 s47, exec_lo
                                        ; implicit-def: $vgpr0
	v_cmpx_lt_i16_e32 45, v13
	s_xor_b32 s47, exec_lo, s47
	s_cbranch_execz .LBB25_2673
; %bb.2670:                             ;   in Loop: Header=BB25_17 Depth=1
	s_mov_b32 s56, exec_lo
                                        ; implicit-def: $vgpr0
	v_cmpx_eq_u16_e32 46, v13
	s_cbranch_execz .LBB25_2672
; %bb.2671:                             ;   in Loop: Header=BB25_17 Depth=1
	flat_load_b32 v0, v[2:3]
	s_mov_b32 s46, exec_lo
	s_wait_loadcnt_dscnt 0x0
	v_lshlrev_b32_e32 v0, 16, v0
.LBB25_2672:                            ;   in Loop: Header=BB25_17 Depth=1
	s_wait_xcnt 0x0
	s_or_b32 exec_lo, exec_lo, s56
	s_delay_alu instid0(SALU_CYCLE_1)
	s_and_b32 s46, s46, exec_lo
                                        ; implicit-def: $vgpr13
                                        ; implicit-def: $vgpr2_vgpr3
.LBB25_2673:                            ;   in Loop: Header=BB25_17 Depth=1
	s_and_not1_saveexec_b32 s47, s47
	s_cbranch_execz .LBB25_2677
; %bb.2674:                             ;   in Loop: Header=BB25_17 Depth=1
	s_mov_b32 s57, s46
	s_mov_b32 s56, exec_lo
                                        ; implicit-def: $vgpr0
	v_cmpx_eq_u16_e32 44, v13
	s_cbranch_execz .LBB25_2676
; %bb.2675:                             ;   in Loop: Header=BB25_17 Depth=1
	flat_load_u8 v0, v[2:3]
	s_or_b32 s57, s46, exec_lo
	s_wait_loadcnt_dscnt 0x0
	v_lshlrev_b32_e32 v2, 23, v0
	v_cmp_ne_u32_e32 vcc_lo, 0xff, v0
	s_delay_alu instid0(VALU_DEP_2) | instskip(SKIP_1) | instid1(VALU_DEP_2)
	v_cndmask_b32_e32 v2, 0x7f800001, v2, vcc_lo
	v_cmp_ne_u32_e32 vcc_lo, 0, v0
	v_cndmask_b32_e32 v0, 0x400000, v2, vcc_lo
.LBB25_2676:                            ;   in Loop: Header=BB25_17 Depth=1
	s_or_b32 exec_lo, exec_lo, s56
	s_delay_alu instid0(SALU_CYCLE_1) | instskip(SKIP_1) | instid1(SALU_CYCLE_1)
	s_and_not1_b32 s46, s46, exec_lo
	s_and_b32 s56, s57, exec_lo
	s_or_b32 s46, s46, s56
.LBB25_2677:                            ;   in Loop: Header=BB25_17 Depth=1
	s_or_b32 exec_lo, exec_lo, s47
	s_delay_alu instid0(SALU_CYCLE_1)
	s_and_b32 s46, s46, exec_lo
                                        ; implicit-def: $vgpr13
                                        ; implicit-def: $vgpr2_vgpr3
.LBB25_2678:                            ;   in Loop: Header=BB25_17 Depth=1
	s_and_not1_saveexec_b32 s44, s44
	s_cbranch_execz .LBB25_2682
; %bb.2679:                             ;   in Loop: Header=BB25_17 Depth=1
	s_mov_b32 s56, s46
	s_mov_b32 s47, exec_lo
                                        ; implicit-def: $vgpr0
	v_cmpx_eq_u16_e32 29, v13
	s_cbranch_execz .LBB25_2681
; %bb.2680:                             ;   in Loop: Header=BB25_17 Depth=1
	flat_load_b64 v[2:3], v[2:3]
	s_or_b32 s56, s46, exec_lo
	s_wait_loadcnt_dscnt 0x0
	v_clz_i32_u32_e32 v0, v3
	s_delay_alu instid0(VALU_DEP_1) | instskip(SKIP_1) | instid1(VALU_DEP_1)
	v_min_u32_e32 v0, 32, v0
	s_wait_xcnt 0x0
	v_lshlrev_b64_e32 v[2:3], v0, v[2:3]
	v_sub_nc_u32_e32 v0, 32, v0
	s_delay_alu instid0(VALU_DEP_2) | instskip(NEXT) | instid1(VALU_DEP_1)
	v_min_u32_e32 v2, 1, v2
	v_or_b32_e32 v2, v3, v2
	s_delay_alu instid0(VALU_DEP_1) | instskip(NEXT) | instid1(VALU_DEP_1)
	v_cvt_f32_u32_e32 v2, v2
	v_ldexp_f32 v0, v2, v0
.LBB25_2681:                            ;   in Loop: Header=BB25_17 Depth=1
	s_or_b32 exec_lo, exec_lo, s47
	s_delay_alu instid0(SALU_CYCLE_1) | instskip(SKIP_1) | instid1(SALU_CYCLE_1)
	s_and_not1_b32 s46, s46, exec_lo
	s_and_b32 s47, s56, exec_lo
	s_or_b32 s46, s46, s47
.LBB25_2682:                            ;   in Loop: Header=BB25_17 Depth=1
	s_or_b32 exec_lo, exec_lo, s44
	s_delay_alu instid0(SALU_CYCLE_1)
	s_and_b32 s44, s46, exec_lo
                                        ; implicit-def: $vgpr13
                                        ; implicit-def: $vgpr2_vgpr3
.LBB25_2683:                            ;   in Loop: Header=BB25_17 Depth=1
	s_and_not1_saveexec_b32 s45, s45
	s_cbranch_execz .LBB25_2697
; %bb.2684:                             ;   in Loop: Header=BB25_17 Depth=1
	s_mov_b32 s46, exec_lo
                                        ; implicit-def: $vgpr0
	v_cmpx_lt_i16_e32 26, v13
	s_xor_b32 s46, exec_lo, s46
	s_cbranch_execz .LBB25_2690
; %bb.2685:                             ;   in Loop: Header=BB25_17 Depth=1
	s_mov_b32 s47, exec_lo
                                        ; implicit-def: $vgpr0
	v_cmpx_lt_i16_e32 27, v13
	s_xor_b32 s47, exec_lo, s47
	s_cbranch_execz .LBB25_2687
; %bb.2686:                             ;   in Loop: Header=BB25_17 Depth=1
	flat_load_b32 v0, v[2:3]
                                        ; implicit-def: $vgpr2_vgpr3
	s_wait_loadcnt_dscnt 0x0
	v_cvt_f32_u32_e32 v0, v0
.LBB25_2687:                            ;   in Loop: Header=BB25_17 Depth=1
	s_wait_xcnt 0x0
	s_and_not1_saveexec_b32 s47, s47
	s_cbranch_execz .LBB25_2689
; %bb.2688:                             ;   in Loop: Header=BB25_17 Depth=1
	flat_load_u16 v0, v[2:3]
	s_wait_loadcnt_dscnt 0x0
	v_cvt_f32_u32_e32 v0, v0
.LBB25_2689:                            ;   in Loop: Header=BB25_17 Depth=1
	s_wait_xcnt 0x0
	s_or_b32 exec_lo, exec_lo, s47
                                        ; implicit-def: $vgpr2_vgpr3
.LBB25_2690:                            ;   in Loop: Header=BB25_17 Depth=1
	s_and_not1_saveexec_b32 s46, s46
	s_cbranch_execz .LBB25_2696
; %bb.2691:                             ;   in Loop: Header=BB25_17 Depth=1
	flat_load_u8 v2, v[2:3]
	s_mov_b32 s47, 0
	s_mov_b32 s56, exec_lo
	s_wait_loadcnt_dscnt 0x0
	v_cmpx_lt_i16_e32 0x7f, v2
	s_xor_b32 s56, exec_lo, s56
	s_cbranch_execnz .LBB25_3234
; %bb.2692:                             ;   in Loop: Header=BB25_17 Depth=1
	s_or_saveexec_b32 s56, s56
	v_mov_b32_e32 v0, 0x7f800001
	s_xor_b32 exec_lo, exec_lo, s56
	s_cbranch_execnz .LBB25_3237
.LBB25_2693:                            ;   in Loop: Header=BB25_17 Depth=1
	s_or_b32 exec_lo, exec_lo, s56
	s_and_saveexec_b32 s56, s47
	s_cbranch_execz .LBB25_2695
.LBB25_2694:                            ;   in Loop: Header=BB25_17 Depth=1
	v_and_b32_e32 v0, 0xffff, v2
	s_delay_alu instid0(VALU_DEP_1) | instskip(SKIP_1) | instid1(VALU_DEP_2)
	v_and_b32_e32 v3, 7, v0
	v_bfe_u32 v15, v0, 3, 4
	v_clz_i32_u32_e32 v13, v3
	s_delay_alu instid0(VALU_DEP_2) | instskip(NEXT) | instid1(VALU_DEP_2)
	v_cmp_eq_u32_e32 vcc_lo, 0, v15
	v_min_u32_e32 v13, 32, v13
	s_delay_alu instid0(VALU_DEP_1) | instskip(NEXT) | instid1(VALU_DEP_1)
	v_subrev_nc_u32_e32 v14, 28, v13
	v_dual_lshlrev_b32 v0, v14, v0 :: v_dual_sub_nc_u32 v13, 29, v13
	s_delay_alu instid0(VALU_DEP_1) | instskip(NEXT) | instid1(VALU_DEP_2)
	v_dual_lshlrev_b32 v2, 24, v2 :: v_dual_bitop2_b32 v0, 7, v0 bitop3:0x40
	v_cndmask_b32_e32 v13, v15, v13, vcc_lo
	s_delay_alu instid0(VALU_DEP_2) | instskip(NEXT) | instid1(VALU_DEP_3)
	v_cndmask_b32_e32 v0, v3, v0, vcc_lo
	v_and_b32_e32 v2, 0x80000000, v2
	s_delay_alu instid0(VALU_DEP_3) | instskip(NEXT) | instid1(VALU_DEP_3)
	v_lshl_add_u32 v3, v13, 23, 0x3b800000
	v_lshlrev_b32_e32 v0, 20, v0
	s_delay_alu instid0(VALU_DEP_1)
	v_or3_b32 v0, v2, v3, v0
.LBB25_2695:                            ;   in Loop: Header=BB25_17 Depth=1
	s_or_b32 exec_lo, exec_lo, s56
.LBB25_2696:                            ;   in Loop: Header=BB25_17 Depth=1
	s_delay_alu instid0(SALU_CYCLE_1) | instskip(NEXT) | instid1(SALU_CYCLE_1)
	s_or_b32 exec_lo, exec_lo, s46
	s_or_b32 s44, s44, exec_lo
.LBB25_2697:                            ;   in Loop: Header=BB25_17 Depth=1
	s_or_b32 exec_lo, exec_lo, s45
	s_delay_alu instid0(SALU_CYCLE_1)
	s_and_b32 s44, s44, exec_lo
                                        ; implicit-def: $vgpr13
                                        ; implicit-def: $vgpr2_vgpr3
.LBB25_2698:                            ;   in Loop: Header=BB25_17 Depth=1
	s_and_not1_saveexec_b32 s43, s43
	s_cbranch_execz .LBB25_2724
; %bb.2699:                             ;   in Loop: Header=BB25_17 Depth=1
	s_mov_b32 s46, s44
	s_mov_b32 s45, exec_lo
                                        ; implicit-def: $vgpr0
	v_cmpx_lt_i16_e32 22, v13
	s_xor_b32 s45, exec_lo, s45
	s_cbranch_execz .LBB25_2713
; %bb.2700:                             ;   in Loop: Header=BB25_17 Depth=1
	s_mov_b32 s46, exec_lo
                                        ; implicit-def: $vgpr0
	v_cmpx_lt_i16_e32 23, v13
	s_xor_b32 s46, exec_lo, s46
	s_cbranch_execz .LBB25_2710
; %bb.2701:                             ;   in Loop: Header=BB25_17 Depth=1
	;; [unrolled: 6-line block ×3, first 2 shown]
	flat_load_u8 v2, v[2:3]
	s_mov_b32 s56, 0
	s_mov_b32 s57, exec_lo
	s_wait_loadcnt_dscnt 0x0
	v_cmpx_lt_i16_e32 0x7f, v2
	s_xor_b32 s57, exec_lo, s57
	s_cbranch_execnz .LBB25_3346
; %bb.2703:                             ;   in Loop: Header=BB25_17 Depth=1
	s_or_saveexec_b32 s57, s57
	v_mov_b32_e32 v0, 0x7f800001
	s_xor_b32 exec_lo, exec_lo, s57
	s_cbranch_execnz .LBB25_3349
.LBB25_2704:                            ;   in Loop: Header=BB25_17 Depth=1
	s_or_b32 exec_lo, exec_lo, s57
	s_and_saveexec_b32 s57, s56
	s_cbranch_execz .LBB25_2706
.LBB25_2705:                            ;   in Loop: Header=BB25_17 Depth=1
	v_and_b32_e32 v0, 0xffff, v2
	s_delay_alu instid0(VALU_DEP_1) | instskip(SKIP_1) | instid1(VALU_DEP_2)
	v_and_b32_e32 v3, 3, v0
	v_bfe_u32 v15, v0, 2, 5
	v_clz_i32_u32_e32 v13, v3
	s_delay_alu instid0(VALU_DEP_2) | instskip(NEXT) | instid1(VALU_DEP_2)
	v_cmp_eq_u32_e32 vcc_lo, 0, v15
	v_min_u32_e32 v13, 32, v13
	s_delay_alu instid0(VALU_DEP_1) | instskip(NEXT) | instid1(VALU_DEP_1)
	v_subrev_nc_u32_e32 v14, 29, v13
	v_dual_lshlrev_b32 v0, v14, v0 :: v_dual_sub_nc_u32 v13, 30, v13
	s_delay_alu instid0(VALU_DEP_1) | instskip(NEXT) | instid1(VALU_DEP_2)
	v_dual_lshlrev_b32 v2, 24, v2 :: v_dual_bitop2_b32 v0, 3, v0 bitop3:0x40
	v_cndmask_b32_e32 v13, v15, v13, vcc_lo
	s_delay_alu instid0(VALU_DEP_2) | instskip(NEXT) | instid1(VALU_DEP_3)
	v_cndmask_b32_e32 v0, v3, v0, vcc_lo
	v_and_b32_e32 v2, 0x80000000, v2
	s_delay_alu instid0(VALU_DEP_3) | instskip(NEXT) | instid1(VALU_DEP_3)
	v_lshl_add_u32 v3, v13, 23, 0x37800000
	v_lshlrev_b32_e32 v0, 21, v0
	s_delay_alu instid0(VALU_DEP_1)
	v_or3_b32 v0, v2, v3, v0
.LBB25_2706:                            ;   in Loop: Header=BB25_17 Depth=1
	s_or_b32 exec_lo, exec_lo, s57
                                        ; implicit-def: $vgpr2_vgpr3
.LBB25_2707:                            ;   in Loop: Header=BB25_17 Depth=1
	s_and_not1_saveexec_b32 s47, s47
	s_cbranch_execz .LBB25_2709
; %bb.2708:                             ;   in Loop: Header=BB25_17 Depth=1
	flat_load_u8 v0, v[2:3]
	s_wait_loadcnt_dscnt 0x0
	v_lshlrev_b32_e32 v0, 24, v0
	s_wait_xcnt 0x0
	s_delay_alu instid0(VALU_DEP_1) | instskip(NEXT) | instid1(VALU_DEP_1)
	v_and_b32_e32 v2, 0x7f000000, v0
	v_clz_i32_u32_e32 v3, v2
	v_add_nc_u32_e32 v14, 0x1000000, v2
	v_cmp_ne_u32_e32 vcc_lo, 0, v2
	s_delay_alu instid0(VALU_DEP_3) | instskip(NEXT) | instid1(VALU_DEP_1)
	v_min_u32_e32 v3, 32, v3
	v_sub_nc_u32_e64 v3, v3, 4 clamp
	s_delay_alu instid0(VALU_DEP_1) | instskip(NEXT) | instid1(VALU_DEP_1)
	v_dual_lshlrev_b32 v13, v3, v2 :: v_dual_lshlrev_b32 v3, 23, v3
	v_lshrrev_b32_e32 v13, 4, v13
	s_delay_alu instid0(VALU_DEP_1) | instskip(NEXT) | instid1(VALU_DEP_1)
	v_dual_sub_nc_u32 v3, v13, v3 :: v_dual_ashrrev_i32 v13, 8, v14
	v_add_nc_u32_e32 v3, 0x3c000000, v3
	s_delay_alu instid0(VALU_DEP_1) | instskip(NEXT) | instid1(VALU_DEP_1)
	v_and_or_b32 v3, 0x7f800000, v13, v3
	v_cndmask_b32_e32 v2, 0, v3, vcc_lo
	s_delay_alu instid0(VALU_DEP_1)
	v_and_or_b32 v0, 0x80000000, v0, v2
.LBB25_2709:                            ;   in Loop: Header=BB25_17 Depth=1
	s_or_b32 exec_lo, exec_lo, s47
                                        ; implicit-def: $vgpr2_vgpr3
.LBB25_2710:                            ;   in Loop: Header=BB25_17 Depth=1
	s_and_not1_saveexec_b32 s46, s46
	s_cbranch_execz .LBB25_2712
; %bb.2711:                             ;   in Loop: Header=BB25_17 Depth=1
	flat_load_u8 v0, v[2:3]
	s_wait_loadcnt_dscnt 0x0
	v_lshlrev_b32_e32 v2, 25, v0
	v_lshlrev_b16 v0, 8, v0
	s_delay_alu instid0(VALU_DEP_1) | instskip(SKIP_1) | instid1(VALU_DEP_2)
	v_and_or_b32 v13, 0x7f00, v0, 0.5
	v_bfe_i32 v0, v0, 0, 16
	v_dual_add_f32 v13, -0.5, v13 :: v_dual_lshrrev_b32 v3, 4, v2
	v_cmp_gt_u32_e32 vcc_lo, 0x8000000, v2
	s_delay_alu instid0(VALU_DEP_2) | instskip(NEXT) | instid1(VALU_DEP_1)
	v_or_b32_e32 v3, 0x70000000, v3
	v_mul_f32_e32 v3, 0x7800000, v3
	s_delay_alu instid0(VALU_DEP_1) | instskip(NEXT) | instid1(VALU_DEP_1)
	v_cndmask_b32_e32 v2, v3, v13, vcc_lo
	v_and_or_b32 v0, 0x80000000, v0, v2
.LBB25_2712:                            ;   in Loop: Header=BB25_17 Depth=1
	s_or_b32 exec_lo, exec_lo, s46
	s_delay_alu instid0(SALU_CYCLE_1)
	s_or_b32 s46, s44, exec_lo
                                        ; implicit-def: $vgpr13
                                        ; implicit-def: $vgpr2_vgpr3
.LBB25_2713:                            ;   in Loop: Header=BB25_17 Depth=1
	s_and_not1_saveexec_b32 s45, s45
	s_cbranch_execz .LBB25_2723
; %bb.2714:                             ;   in Loop: Header=BB25_17 Depth=1
	s_mov_b32 s47, s46
	s_mov_b32 s56, exec_lo
                                        ; implicit-def: $vgpr0
	v_cmpx_lt_i16_e32 14, v13
	s_xor_b32 s56, exec_lo, s56
	s_cbranch_execz .LBB25_2718
; %bb.2715:                             ;   in Loop: Header=BB25_17 Depth=1
	s_mov_b32 s47, s46
	s_mov_b32 s57, exec_lo
                                        ; implicit-def: $vgpr0
	v_cmpx_eq_u16_e32 15, v13
	s_cbranch_execz .LBB25_2717
; %bb.2716:                             ;   in Loop: Header=BB25_17 Depth=1
	flat_load_u16 v0, v[2:3]
	s_or_b32 s47, s46, exec_lo
	s_wait_loadcnt_dscnt 0x0
	v_lshlrev_b32_e32 v0, 16, v0
.LBB25_2717:                            ;   in Loop: Header=BB25_17 Depth=1
	s_wait_xcnt 0x0
	s_or_b32 exec_lo, exec_lo, s57
	s_delay_alu instid0(SALU_CYCLE_1) | instskip(SKIP_1) | instid1(SALU_CYCLE_1)
	s_and_not1_b32 s57, s46, exec_lo
	s_and_b32 s47, s47, exec_lo
                                        ; implicit-def: $vgpr13
                                        ; implicit-def: $vgpr2_vgpr3
	s_or_b32 s47, s57, s47
.LBB25_2718:                            ;   in Loop: Header=BB25_17 Depth=1
	s_and_not1_saveexec_b32 s56, s56
	s_cbranch_execz .LBB25_2722
; %bb.2719:                             ;   in Loop: Header=BB25_17 Depth=1
	s_mov_b32 s57, s47
	s_mov_b32 s58, exec_lo
                                        ; implicit-def: $vgpr0
	v_cmpx_eq_u16_e32 11, v13
	s_cbranch_execz .LBB25_2721
; %bb.2720:                             ;   in Loop: Header=BB25_17 Depth=1
	flat_load_u8 v0, v[2:3]
	s_or_b32 s57, s47, exec_lo
	s_wait_loadcnt_dscnt 0x0
	v_cmp_ne_u16_e32 vcc_lo, 0, v0
	v_cndmask_b32_e64 v0, 0, 1.0, vcc_lo
.LBB25_2721:                            ;   in Loop: Header=BB25_17 Depth=1
	s_wait_xcnt 0x0
	s_or_b32 exec_lo, exec_lo, s58
	s_delay_alu instid0(SALU_CYCLE_1) | instskip(SKIP_1) | instid1(SALU_CYCLE_1)
	s_and_not1_b32 s47, s47, exec_lo
	s_and_b32 s57, s57, exec_lo
	s_or_b32 s47, s47, s57
.LBB25_2722:                            ;   in Loop: Header=BB25_17 Depth=1
	s_or_b32 exec_lo, exec_lo, s56
	s_delay_alu instid0(SALU_CYCLE_1) | instskip(SKIP_1) | instid1(SALU_CYCLE_1)
	s_and_not1_b32 s46, s46, exec_lo
	s_and_b32 s47, s47, exec_lo
	s_or_b32 s46, s46, s47
.LBB25_2723:                            ;   in Loop: Header=BB25_17 Depth=1
	s_or_b32 exec_lo, exec_lo, s45
	s_delay_alu instid0(SALU_CYCLE_1) | instskip(SKIP_1) | instid1(SALU_CYCLE_1)
	s_and_not1_b32 s44, s44, exec_lo
	s_and_b32 s45, s46, exec_lo
	s_or_b32 s44, s44, s45
.LBB25_2724:                            ;   in Loop: Header=BB25_17 Depth=1
	s_or_b32 exec_lo, exec_lo, s43
	s_delay_alu instid0(SALU_CYCLE_1)
	s_and_b32 s43, s44, exec_lo
                                        ; implicit-def: $vgpr13
                                        ; implicit-def: $vgpr2_vgpr3
	s_and_not1_saveexec_b32 s29, s29
	s_cbranch_execz .LBB25_1011
.LBB25_2725:                            ;   in Loop: Header=BB25_17 Depth=1
	s_mov_b32 s44, exec_lo
                                        ; implicit-def: $vgpr0
	v_cmpx_lt_i16_e32 4, v13
	s_xor_b32 s44, exec_lo, s44
	s_cbranch_execz .LBB25_2747
; %bb.2726:                             ;   in Loop: Header=BB25_17 Depth=1
	s_mov_b32 s45, exec_lo
                                        ; implicit-def: $vgpr0
	v_cmpx_lt_i16_e32 7, v13
	s_xor_b32 s45, exec_lo, s45
	s_cbranch_execz .LBB25_2736
; %bb.2727:                             ;   in Loop: Header=BB25_17 Depth=1
	;; [unrolled: 6-line block ×4, first 2 shown]
	flat_load_b64 v[2:3], v[2:3]
	s_wait_loadcnt_dscnt 0x0
	v_cvt_f32_f64_e32 v0, v[2:3]
                                        ; implicit-def: $vgpr2_vgpr3
.LBB25_2730:                            ;   in Loop: Header=BB25_17 Depth=1
	s_wait_xcnt 0x0
	s_and_not1_saveexec_b32 s47, s47
	s_cbranch_execz .LBB25_2732
; %bb.2731:                             ;   in Loop: Header=BB25_17 Depth=1
	flat_load_b32 v0, v[2:3]
.LBB25_2732:                            ;   in Loop: Header=BB25_17 Depth=1
	s_wait_xcnt 0x0
	s_or_b32 exec_lo, exec_lo, s47
                                        ; implicit-def: $vgpr2_vgpr3
.LBB25_2733:                            ;   in Loop: Header=BB25_17 Depth=1
	s_and_not1_saveexec_b32 s46, s46
	s_cbranch_execz .LBB25_2735
; %bb.2734:                             ;   in Loop: Header=BB25_17 Depth=1
	s_wait_loadcnt_dscnt 0x0
	flat_load_b32 v0, v[2:3]
	s_wait_loadcnt_dscnt 0x0
	v_cvt_f32_f16_e32 v0, v0
.LBB25_2735:                            ;   in Loop: Header=BB25_17 Depth=1
	s_wait_xcnt 0x0
	s_or_b32 exec_lo, exec_lo, s46
                                        ; implicit-def: $vgpr2_vgpr3
                                        ; implicit-def: $vgpr13
.LBB25_2736:                            ;   in Loop: Header=BB25_17 Depth=1
	s_and_not1_saveexec_b32 s45, s45
	s_cbranch_execz .LBB25_2746
; %bb.2737:                             ;   in Loop: Header=BB25_17 Depth=1
	s_mov_b32 s46, exec_lo
                                        ; implicit-def: $vgpr0
	v_cmpx_lt_i16_e32 5, v13
	s_xor_b32 s46, exec_lo, s46
	s_cbranch_execz .LBB25_2743
; %bb.2738:                             ;   in Loop: Header=BB25_17 Depth=1
	s_mov_b32 s47, exec_lo
                                        ; implicit-def: $vgpr0
	v_cmpx_lt_i16_e32 6, v13
	s_xor_b32 s47, exec_lo, s47
	s_cbranch_execz .LBB25_2740
; %bb.2739:                             ;   in Loop: Header=BB25_17 Depth=1
	flat_load_b64 v[2:3], v[2:3]
	s_wait_loadcnt_dscnt 0x0
	v_cvt_f32_f64_e32 v0, v[2:3]
                                        ; implicit-def: $vgpr2_vgpr3
.LBB25_2740:                            ;   in Loop: Header=BB25_17 Depth=1
	s_wait_xcnt 0x0
	s_and_not1_saveexec_b32 s47, s47
	s_cbranch_execz .LBB25_2742
; %bb.2741:                             ;   in Loop: Header=BB25_17 Depth=1
	s_wait_loadcnt_dscnt 0x0
	flat_load_b32 v0, v[2:3]
.LBB25_2742:                            ;   in Loop: Header=BB25_17 Depth=1
	s_wait_xcnt 0x0
	s_or_b32 exec_lo, exec_lo, s47
                                        ; implicit-def: $vgpr2_vgpr3
.LBB25_2743:                            ;   in Loop: Header=BB25_17 Depth=1
	s_and_not1_saveexec_b32 s46, s46
	s_cbranch_execz .LBB25_2745
; %bb.2744:                             ;   in Loop: Header=BB25_17 Depth=1
	s_wait_loadcnt_dscnt 0x0
	flat_load_u16 v0, v[2:3]
	s_wait_loadcnt_dscnt 0x0
	v_cvt_f32_f16_e32 v0, v0
.LBB25_2745:                            ;   in Loop: Header=BB25_17 Depth=1
	s_wait_xcnt 0x0
	s_or_b32 exec_lo, exec_lo, s46
.LBB25_2746:                            ;   in Loop: Header=BB25_17 Depth=1
	s_delay_alu instid0(SALU_CYCLE_1)
	s_or_b32 exec_lo, exec_lo, s45
                                        ; implicit-def: $vgpr13
                                        ; implicit-def: $vgpr2_vgpr3
.LBB25_2747:                            ;   in Loop: Header=BB25_17 Depth=1
	s_and_not1_saveexec_b32 s44, s44
	s_cbranch_execz .LBB25_2765
; %bb.2748:                             ;   in Loop: Header=BB25_17 Depth=1
	s_mov_b32 s45, exec_lo
                                        ; implicit-def: $vgpr0
	v_cmpx_lt_i16_e32 1, v13
	s_xor_b32 s45, exec_lo, s45
	s_cbranch_execz .LBB25_2758
; %bb.2749:                             ;   in Loop: Header=BB25_17 Depth=1
	s_mov_b32 s46, exec_lo
                                        ; implicit-def: $vgpr0
	v_cmpx_lt_i16_e32 2, v13
	s_xor_b32 s46, exec_lo, s46
	;; [unrolled: 6-line block ×3, first 2 shown]
	s_cbranch_execz .LBB25_2752
; %bb.2751:                             ;   in Loop: Header=BB25_17 Depth=1
	flat_load_b64 v[2:3], v[2:3]
	s_wait_loadcnt_dscnt 0x0
	v_xor_b32_e32 v0, v2, v3
	v_cls_i32_e32 v13, v3
	s_delay_alu instid0(VALU_DEP_2) | instskip(NEXT) | instid1(VALU_DEP_1)
	v_ashrrev_i32_e32 v0, 31, v0
	v_add_nc_u32_e32 v0, 32, v0
	s_delay_alu instid0(VALU_DEP_1) | instskip(SKIP_1) | instid1(VALU_DEP_1)
	v_add_min_u32_e64 v0, v13, -1, v0
	s_wait_xcnt 0x0
	v_lshlrev_b64_e32 v[2:3], v0, v[2:3]
	v_sub_nc_u32_e32 v0, 32, v0
	s_delay_alu instid0(VALU_DEP_2) | instskip(NEXT) | instid1(VALU_DEP_1)
	v_min_u32_e32 v2, 1, v2
	v_or_b32_e32 v2, v3, v2
	s_delay_alu instid0(VALU_DEP_1) | instskip(NEXT) | instid1(VALU_DEP_1)
	v_cvt_f32_i32_e32 v2, v2
	v_ldexp_f32 v0, v2, v0
                                        ; implicit-def: $vgpr2_vgpr3
.LBB25_2752:                            ;   in Loop: Header=BB25_17 Depth=1
	s_and_not1_saveexec_b32 s47, s47
	s_cbranch_execz .LBB25_2754
; %bb.2753:                             ;   in Loop: Header=BB25_17 Depth=1
	s_wait_loadcnt_dscnt 0x0
	flat_load_b32 v0, v[2:3]
	s_wait_loadcnt_dscnt 0x0
	v_cvt_f32_i32_e32 v0, v0
.LBB25_2754:                            ;   in Loop: Header=BB25_17 Depth=1
	s_wait_xcnt 0x0
	s_or_b32 exec_lo, exec_lo, s47
                                        ; implicit-def: $vgpr2_vgpr3
.LBB25_2755:                            ;   in Loop: Header=BB25_17 Depth=1
	s_and_not1_saveexec_b32 s46, s46
	s_cbranch_execz .LBB25_2757
; %bb.2756:                             ;   in Loop: Header=BB25_17 Depth=1
	s_wait_loadcnt_dscnt 0x0
	flat_load_i16 v0, v[2:3]
	s_wait_loadcnt_dscnt 0x0
	v_cvt_f32_i32_e32 v0, v0
.LBB25_2757:                            ;   in Loop: Header=BB25_17 Depth=1
	s_wait_xcnt 0x0
	s_or_b32 exec_lo, exec_lo, s46
                                        ; implicit-def: $vgpr2_vgpr3
                                        ; implicit-def: $vgpr13
.LBB25_2758:                            ;   in Loop: Header=BB25_17 Depth=1
	s_and_not1_saveexec_b32 s45, s45
	s_cbranch_execz .LBB25_2764
; %bb.2759:                             ;   in Loop: Header=BB25_17 Depth=1
	s_mov_b32 s46, exec_lo
                                        ; implicit-def: $vgpr0
	v_cmpx_lt_i16_e32 0, v13
	s_xor_b32 s46, exec_lo, s46
	s_cbranch_execz .LBB25_2761
; %bb.2760:                             ;   in Loop: Header=BB25_17 Depth=1
	s_wait_loadcnt_dscnt 0x0
	flat_load_i8 v0, v[2:3]
                                        ; implicit-def: $vgpr2_vgpr3
	s_wait_loadcnt_dscnt 0x0
	v_cvt_f32_i32_e32 v0, v0
.LBB25_2761:                            ;   in Loop: Header=BB25_17 Depth=1
	s_wait_xcnt 0x0
	s_and_not1_saveexec_b32 s46, s46
	s_cbranch_execz .LBB25_2763
; %bb.2762:                             ;   in Loop: Header=BB25_17 Depth=1
	s_wait_loadcnt_dscnt 0x0
	flat_load_u8 v0, v[2:3]
	s_wait_loadcnt_dscnt 0x0
	v_cvt_f32_ubyte0_e32 v0, v0
.LBB25_2763:                            ;   in Loop: Header=BB25_17 Depth=1
	s_wait_xcnt 0x0
	s_or_b32 exec_lo, exec_lo, s46
.LBB25_2764:                            ;   in Loop: Header=BB25_17 Depth=1
	s_delay_alu instid0(SALU_CYCLE_1)
	s_or_b32 exec_lo, exec_lo, s45
.LBB25_2765:                            ;   in Loop: Header=BB25_17 Depth=1
	s_delay_alu instid0(SALU_CYCLE_1) | instskip(NEXT) | instid1(SALU_CYCLE_1)
	s_or_b32 exec_lo, exec_lo, s44
	s_or_b32 s43, s43, exec_lo
	s_or_b32 exec_lo, exec_lo, s29
	s_mov_b32 s44, 0
	s_and_saveexec_b32 s29, s43
	s_cbranch_execnz .LBB25_1012
	s_branch .LBB25_1013
.LBB25_2766:                            ;   in Loop: Header=BB25_17 Depth=1
	s_mov_b32 s23, -1
	s_mov_b32 s25, exec_lo
	v_cmpx_eq_u16_e32 0x80, v2
; %bb.2767:                             ;   in Loop: Header=BB25_17 Depth=1
	s_xor_b32 s23, exec_lo, -1
; %bb.2768:                             ;   in Loop: Header=BB25_17 Depth=1
	s_or_b32 exec_lo, exec_lo, s25
	s_delay_alu instid0(SALU_CYCLE_1)
	s_and_b32 s23, s23, exec_lo
	s_or_saveexec_b32 s24, s24
	v_mov_b32_e32 v0, 0x7f800001
	s_xor_b32 exec_lo, exec_lo, s24
	s_cbranch_execz .LBB25_2136
.LBB25_2769:                            ;   in Loop: Header=BB25_17 Depth=1
	v_cmp_ne_u16_e32 vcc_lo, 0, v2
	v_mov_b32_e32 v0, 0
	s_and_not1_b32 s23, s23, exec_lo
	s_and_b32 s25, vcc_lo, exec_lo
	s_delay_alu instid0(SALU_CYCLE_1)
	s_or_b32 s23, s23, s25
	s_or_b32 exec_lo, exec_lo, s24
	s_and_saveexec_b32 s24, s23
	s_cbranch_execnz .LBB25_2137
	s_branch .LBB25_2138
.LBB25_2770:                            ;   in Loop: Header=BB25_17 Depth=1
	s_mov_b32 s25, -1
	s_mov_b32 s27, exec_lo
	v_cmpx_eq_u16_e32 0x80, v2
; %bb.2771:                             ;   in Loop: Header=BB25_17 Depth=1
	s_xor_b32 s25, exec_lo, -1
; %bb.2772:                             ;   in Loop: Header=BB25_17 Depth=1
	s_or_b32 exec_lo, exec_lo, s27
	s_delay_alu instid0(SALU_CYCLE_1)
	s_and_b32 s25, s25, exec_lo
	s_or_saveexec_b32 s26, s26
	v_mov_b32_e32 v0, 0x7f800001
	s_xor_b32 exec_lo, exec_lo, s26
	s_cbranch_execz .LBB25_2233
.LBB25_2773:                            ;   in Loop: Header=BB25_17 Depth=1
	v_cmp_ne_u16_e32 vcc_lo, 0, v2
	v_mov_b32_e32 v0, 0
	s_and_not1_b32 s25, s25, exec_lo
	s_and_b32 s27, vcc_lo, exec_lo
	s_delay_alu instid0(SALU_CYCLE_1)
	s_or_b32 s25, s25, s27
	s_or_b32 exec_lo, exec_lo, s26
	s_and_saveexec_b32 s26, s25
	s_cbranch_execnz .LBB25_2234
	s_branch .LBB25_2235
.LBB25_2774:                            ;   in Loop: Header=BB25_17 Depth=1
	s_mov_b32 s27, -1
	s_mov_b32 s29, exec_lo
	v_cmpx_eq_u16_e32 0x80, v2
; %bb.2775:                             ;   in Loop: Header=BB25_17 Depth=1
	s_xor_b32 s27, exec_lo, -1
; %bb.2776:                             ;   in Loop: Header=BB25_17 Depth=1
	s_or_b32 exec_lo, exec_lo, s29
	s_delay_alu instid0(SALU_CYCLE_1)
	s_and_b32 s27, s27, exec_lo
	s_or_saveexec_b32 s28, s28
	v_mov_b32_e32 v0, 0x7f800001
	s_xor_b32 exec_lo, exec_lo, s28
	s_cbranch_execz .LBB25_612
.LBB25_2777:                            ;   in Loop: Header=BB25_17 Depth=1
	v_cmp_ne_u16_e32 vcc_lo, 0, v2
	v_mov_b32_e32 v0, 0
	s_and_not1_b32 s27, s27, exec_lo
	s_and_b32 s29, vcc_lo, exec_lo
	s_delay_alu instid0(SALU_CYCLE_1)
	s_or_b32 s27, s27, s29
	s_or_b32 exec_lo, exec_lo, s28
	s_and_saveexec_b32 s28, s27
	s_cbranch_execnz .LBB25_613
	s_branch .LBB25_614
.LBB25_2778:                            ;   in Loop: Header=BB25_17 Depth=1
	s_mov_b32 s29, -1
	s_mov_b32 s41, exec_lo
	v_cmpx_eq_u16_e32 0x80, v2
; %bb.2779:                             ;   in Loop: Header=BB25_17 Depth=1
	s_xor_b32 s29, exec_lo, -1
; %bb.2780:                             ;   in Loop: Header=BB25_17 Depth=1
	s_or_b32 exec_lo, exec_lo, s41
	s_delay_alu instid0(SALU_CYCLE_1)
	s_and_b32 s29, s29, exec_lo
	s_or_saveexec_b32 s40, s40
	v_mov_b32_e32 v0, 0x7f800001
	s_xor_b32 exec_lo, exec_lo, s40
	s_cbranch_execz .LBB25_712
.LBB25_2781:                            ;   in Loop: Header=BB25_17 Depth=1
	v_cmp_ne_u16_e32 vcc_lo, 0, v2
	v_mov_b32_e32 v0, 0
	s_and_not1_b32 s29, s29, exec_lo
	s_and_b32 s41, vcc_lo, exec_lo
	s_delay_alu instid0(SALU_CYCLE_1)
	s_or_b32 s29, s29, s41
	s_or_b32 exec_lo, exec_lo, s40
	s_and_saveexec_b32 s40, s29
	s_cbranch_execnz .LBB25_713
	s_branch .LBB25_714
.LBB25_2782:                            ;   in Loop: Header=BB25_17 Depth=1
	s_mov_b32 s46, exec_lo
                                        ; implicit-def: $vgpr0
	v_cmpx_lt_i16_e32 25, v13
	s_xor_b32 s46, exec_lo, s46
	s_cbranch_execz .LBB25_2814
; %bb.2783:                             ;   in Loop: Header=BB25_17 Depth=1
	s_mov_b32 s56, exec_lo
                                        ; implicit-def: $vgpr0
	v_cmpx_lt_i16_e32 28, v13
	s_xor_b32 s56, exec_lo, s56
	s_cbranch_execz .LBB25_2799
; %bb.2784:                             ;   in Loop: Header=BB25_17 Depth=1
	s_mov_b32 s57, 0
	s_mov_b32 s47, exec_lo
                                        ; implicit-def: $vgpr0
	v_cmpx_lt_i16_e32 43, v13
	s_xor_b32 s47, exec_lo, s47
	s_cbranch_execz .LBB25_2794
; %bb.2785:                             ;   in Loop: Header=BB25_17 Depth=1
	s_mov_b32 s58, exec_lo
                                        ; implicit-def: $vgpr0
	v_cmpx_lt_i16_e32 45, v13
	s_xor_b32 s58, exec_lo, s58
	s_cbranch_execz .LBB25_2789
; %bb.2786:                             ;   in Loop: Header=BB25_17 Depth=1
	s_mov_b32 s59, exec_lo
                                        ; implicit-def: $vgpr0
	v_cmpx_eq_u16_e32 46, v13
	s_cbranch_execz .LBB25_2788
; %bb.2787:                             ;   in Loop: Header=BB25_17 Depth=1
	flat_load_b32 v0, v[2:3]
	s_mov_b32 s57, exec_lo
	s_wait_loadcnt_dscnt 0x0
	v_lshlrev_b32_e32 v0, 16, v0
.LBB25_2788:                            ;   in Loop: Header=BB25_17 Depth=1
	s_wait_xcnt 0x0
	s_or_b32 exec_lo, exec_lo, s59
	s_delay_alu instid0(SALU_CYCLE_1)
	s_and_b32 s57, s57, exec_lo
                                        ; implicit-def: $vgpr13
                                        ; implicit-def: $vgpr2_vgpr3
.LBB25_2789:                            ;   in Loop: Header=BB25_17 Depth=1
	s_and_not1_saveexec_b32 s58, s58
	s_cbranch_execz .LBB25_2793
; %bb.2790:                             ;   in Loop: Header=BB25_17 Depth=1
	s_mov_b32 s61, s57
	s_mov_b32 s59, exec_lo
                                        ; implicit-def: $vgpr0
	v_cmpx_eq_u16_e32 44, v13
	s_cbranch_execz .LBB25_2792
; %bb.2791:                             ;   in Loop: Header=BB25_17 Depth=1
	flat_load_u8 v0, v[2:3]
	s_or_b32 s61, s57, exec_lo
	s_wait_loadcnt_dscnt 0x0
	v_lshlrev_b32_e32 v2, 23, v0
	v_cmp_ne_u32_e32 vcc_lo, 0xff, v0
	s_delay_alu instid0(VALU_DEP_2) | instskip(SKIP_1) | instid1(VALU_DEP_2)
	v_cndmask_b32_e32 v2, 0x7f800001, v2, vcc_lo
	v_cmp_ne_u32_e32 vcc_lo, 0, v0
	v_cndmask_b32_e32 v0, 0x400000, v2, vcc_lo
.LBB25_2792:                            ;   in Loop: Header=BB25_17 Depth=1
	s_or_b32 exec_lo, exec_lo, s59
	s_delay_alu instid0(SALU_CYCLE_1) | instskip(SKIP_1) | instid1(SALU_CYCLE_1)
	s_and_not1_b32 s57, s57, exec_lo
	s_and_b32 s59, s61, exec_lo
	s_or_b32 s57, s57, s59
.LBB25_2793:                            ;   in Loop: Header=BB25_17 Depth=1
	s_or_b32 exec_lo, exec_lo, s58
	s_delay_alu instid0(SALU_CYCLE_1)
	s_and_b32 s57, s57, exec_lo
                                        ; implicit-def: $vgpr13
                                        ; implicit-def: $vgpr2_vgpr3
.LBB25_2794:                            ;   in Loop: Header=BB25_17 Depth=1
	s_and_not1_saveexec_b32 s47, s47
	s_cbranch_execz .LBB25_2798
; %bb.2795:                             ;   in Loop: Header=BB25_17 Depth=1
	s_mov_b32 s59, s57
	s_mov_b32 s58, exec_lo
                                        ; implicit-def: $vgpr0
	v_cmpx_eq_u16_e32 29, v13
	s_cbranch_execz .LBB25_2797
; %bb.2796:                             ;   in Loop: Header=BB25_17 Depth=1
	flat_load_b64 v[2:3], v[2:3]
	s_or_b32 s59, s57, exec_lo
	s_wait_loadcnt_dscnt 0x0
	v_clz_i32_u32_e32 v0, v3
	s_delay_alu instid0(VALU_DEP_1) | instskip(SKIP_1) | instid1(VALU_DEP_1)
	v_min_u32_e32 v0, 32, v0
	s_wait_xcnt 0x0
	v_lshlrev_b64_e32 v[2:3], v0, v[2:3]
	v_sub_nc_u32_e32 v0, 32, v0
	s_delay_alu instid0(VALU_DEP_2) | instskip(NEXT) | instid1(VALU_DEP_1)
	v_min_u32_e32 v2, 1, v2
	v_or_b32_e32 v2, v3, v2
	s_delay_alu instid0(VALU_DEP_1) | instskip(NEXT) | instid1(VALU_DEP_1)
	v_cvt_f32_u32_e32 v2, v2
	v_ldexp_f32 v0, v2, v0
.LBB25_2797:                            ;   in Loop: Header=BB25_17 Depth=1
	s_or_b32 exec_lo, exec_lo, s58
	s_delay_alu instid0(SALU_CYCLE_1) | instskip(SKIP_1) | instid1(SALU_CYCLE_1)
	s_and_not1_b32 s57, s57, exec_lo
	s_and_b32 s58, s59, exec_lo
	s_or_b32 s57, s57, s58
.LBB25_2798:                            ;   in Loop: Header=BB25_17 Depth=1
	s_or_b32 exec_lo, exec_lo, s47
	s_delay_alu instid0(SALU_CYCLE_1)
	s_and_b32 s47, s57, exec_lo
                                        ; implicit-def: $vgpr13
                                        ; implicit-def: $vgpr2_vgpr3
.LBB25_2799:                            ;   in Loop: Header=BB25_17 Depth=1
	s_and_not1_saveexec_b32 s56, s56
	s_cbranch_execz .LBB25_2813
; %bb.2800:                             ;   in Loop: Header=BB25_17 Depth=1
	s_mov_b32 s57, exec_lo
                                        ; implicit-def: $vgpr0
	v_cmpx_lt_i16_e32 26, v13
	s_xor_b32 s57, exec_lo, s57
	s_cbranch_execz .LBB25_2806
; %bb.2801:                             ;   in Loop: Header=BB25_17 Depth=1
	s_mov_b32 s58, exec_lo
                                        ; implicit-def: $vgpr0
	v_cmpx_lt_i16_e32 27, v13
	s_xor_b32 s58, exec_lo, s58
	s_cbranch_execz .LBB25_2803
; %bb.2802:                             ;   in Loop: Header=BB25_17 Depth=1
	flat_load_b32 v0, v[2:3]
                                        ; implicit-def: $vgpr2_vgpr3
	s_wait_loadcnt_dscnt 0x0
	v_cvt_f32_u32_e32 v0, v0
.LBB25_2803:                            ;   in Loop: Header=BB25_17 Depth=1
	s_wait_xcnt 0x0
	s_and_not1_saveexec_b32 s58, s58
	s_cbranch_execz .LBB25_2805
; %bb.2804:                             ;   in Loop: Header=BB25_17 Depth=1
	flat_load_u16 v0, v[2:3]
	s_wait_loadcnt_dscnt 0x0
	v_cvt_f32_u32_e32 v0, v0
.LBB25_2805:                            ;   in Loop: Header=BB25_17 Depth=1
	s_wait_xcnt 0x0
	s_or_b32 exec_lo, exec_lo, s58
                                        ; implicit-def: $vgpr2_vgpr3
.LBB25_2806:                            ;   in Loop: Header=BB25_17 Depth=1
	s_and_not1_saveexec_b32 s57, s57
	s_cbranch_execz .LBB25_2812
; %bb.2807:                             ;   in Loop: Header=BB25_17 Depth=1
	flat_load_u8 v2, v[2:3]
	s_mov_b32 s58, 0
	s_mov_b32 s59, exec_lo
	s_wait_loadcnt_dscnt 0x0
	v_cmpx_lt_i16_e32 0x7f, v2
	s_xor_b32 s59, exec_lo, s59
	s_cbranch_execnz .LBB25_3350
; %bb.2808:                             ;   in Loop: Header=BB25_17 Depth=1
	s_or_saveexec_b32 s59, s59
	v_mov_b32_e32 v0, 0x7f800001
	s_xor_b32 exec_lo, exec_lo, s59
	s_cbranch_execnz .LBB25_3353
.LBB25_2809:                            ;   in Loop: Header=BB25_17 Depth=1
	s_or_b32 exec_lo, exec_lo, s59
	s_and_saveexec_b32 s59, s58
	s_cbranch_execz .LBB25_2811
.LBB25_2810:                            ;   in Loop: Header=BB25_17 Depth=1
	v_and_b32_e32 v0, 0xffff, v2
	s_delay_alu instid0(VALU_DEP_1) | instskip(SKIP_1) | instid1(VALU_DEP_2)
	v_and_b32_e32 v3, 7, v0
	v_bfe_u32 v15, v0, 3, 4
	v_clz_i32_u32_e32 v13, v3
	s_delay_alu instid0(VALU_DEP_2) | instskip(NEXT) | instid1(VALU_DEP_2)
	v_cmp_eq_u32_e32 vcc_lo, 0, v15
	v_min_u32_e32 v13, 32, v13
	s_delay_alu instid0(VALU_DEP_1) | instskip(NEXT) | instid1(VALU_DEP_1)
	v_subrev_nc_u32_e32 v14, 28, v13
	v_dual_lshlrev_b32 v0, v14, v0 :: v_dual_sub_nc_u32 v13, 29, v13
	s_delay_alu instid0(VALU_DEP_1) | instskip(NEXT) | instid1(VALU_DEP_2)
	v_dual_lshlrev_b32 v2, 24, v2 :: v_dual_bitop2_b32 v0, 7, v0 bitop3:0x40
	v_cndmask_b32_e32 v13, v15, v13, vcc_lo
	s_delay_alu instid0(VALU_DEP_2) | instskip(NEXT) | instid1(VALU_DEP_3)
	v_cndmask_b32_e32 v0, v3, v0, vcc_lo
	v_and_b32_e32 v2, 0x80000000, v2
	s_delay_alu instid0(VALU_DEP_3) | instskip(NEXT) | instid1(VALU_DEP_3)
	v_lshl_add_u32 v3, v13, 23, 0x3b800000
	v_lshlrev_b32_e32 v0, 20, v0
	s_delay_alu instid0(VALU_DEP_1)
	v_or3_b32 v0, v2, v3, v0
.LBB25_2811:                            ;   in Loop: Header=BB25_17 Depth=1
	s_or_b32 exec_lo, exec_lo, s59
.LBB25_2812:                            ;   in Loop: Header=BB25_17 Depth=1
	s_delay_alu instid0(SALU_CYCLE_1) | instskip(NEXT) | instid1(SALU_CYCLE_1)
	s_or_b32 exec_lo, exec_lo, s57
	s_or_b32 s47, s47, exec_lo
.LBB25_2813:                            ;   in Loop: Header=BB25_17 Depth=1
	s_or_b32 exec_lo, exec_lo, s56
	s_delay_alu instid0(SALU_CYCLE_1)
	s_and_b32 s47, s47, exec_lo
                                        ; implicit-def: $vgpr13
                                        ; implicit-def: $vgpr2_vgpr3
.LBB25_2814:                            ;   in Loop: Header=BB25_17 Depth=1
	s_and_not1_saveexec_b32 s46, s46
	s_cbranch_execz .LBB25_2840
; %bb.2815:                             ;   in Loop: Header=BB25_17 Depth=1
	s_mov_b32 s57, s47
	s_mov_b32 s56, exec_lo
                                        ; implicit-def: $vgpr0
	v_cmpx_lt_i16_e32 22, v13
	s_xor_b32 s56, exec_lo, s56
	s_cbranch_execz .LBB25_2829
; %bb.2816:                             ;   in Loop: Header=BB25_17 Depth=1
	s_mov_b32 s57, exec_lo
                                        ; implicit-def: $vgpr0
	v_cmpx_lt_i16_e32 23, v13
	s_xor_b32 s57, exec_lo, s57
	s_cbranch_execz .LBB25_2826
; %bb.2817:                             ;   in Loop: Header=BB25_17 Depth=1
	;; [unrolled: 6-line block ×3, first 2 shown]
	flat_load_u8 v2, v[2:3]
	s_mov_b32 s59, 0
	s_mov_b32 s61, exec_lo
	s_wait_loadcnt_dscnt 0x0
	v_cmpx_lt_i16_e32 0x7f, v2
	s_xor_b32 s61, exec_lo, s61
	s_cbranch_execnz .LBB25_3462
; %bb.2819:                             ;   in Loop: Header=BB25_17 Depth=1
	s_or_saveexec_b32 s61, s61
	v_mov_b32_e32 v0, 0x7f800001
	s_xor_b32 exec_lo, exec_lo, s61
	s_cbranch_execnz .LBB25_3465
.LBB25_2820:                            ;   in Loop: Header=BB25_17 Depth=1
	s_or_b32 exec_lo, exec_lo, s61
	s_and_saveexec_b32 s61, s59
	s_cbranch_execz .LBB25_2822
.LBB25_2821:                            ;   in Loop: Header=BB25_17 Depth=1
	v_and_b32_e32 v0, 0xffff, v2
	s_delay_alu instid0(VALU_DEP_1) | instskip(SKIP_1) | instid1(VALU_DEP_2)
	v_and_b32_e32 v3, 3, v0
	v_bfe_u32 v15, v0, 2, 5
	v_clz_i32_u32_e32 v13, v3
	s_delay_alu instid0(VALU_DEP_2) | instskip(NEXT) | instid1(VALU_DEP_2)
	v_cmp_eq_u32_e32 vcc_lo, 0, v15
	v_min_u32_e32 v13, 32, v13
	s_delay_alu instid0(VALU_DEP_1) | instskip(NEXT) | instid1(VALU_DEP_1)
	v_subrev_nc_u32_e32 v14, 29, v13
	v_dual_lshlrev_b32 v0, v14, v0 :: v_dual_sub_nc_u32 v13, 30, v13
	s_delay_alu instid0(VALU_DEP_1) | instskip(NEXT) | instid1(VALU_DEP_2)
	v_dual_lshlrev_b32 v2, 24, v2 :: v_dual_bitop2_b32 v0, 3, v0 bitop3:0x40
	v_cndmask_b32_e32 v13, v15, v13, vcc_lo
	s_delay_alu instid0(VALU_DEP_2) | instskip(NEXT) | instid1(VALU_DEP_3)
	v_cndmask_b32_e32 v0, v3, v0, vcc_lo
	v_and_b32_e32 v2, 0x80000000, v2
	s_delay_alu instid0(VALU_DEP_3) | instskip(NEXT) | instid1(VALU_DEP_3)
	v_lshl_add_u32 v3, v13, 23, 0x37800000
	v_lshlrev_b32_e32 v0, 21, v0
	s_delay_alu instid0(VALU_DEP_1)
	v_or3_b32 v0, v2, v3, v0
.LBB25_2822:                            ;   in Loop: Header=BB25_17 Depth=1
	s_or_b32 exec_lo, exec_lo, s61
                                        ; implicit-def: $vgpr2_vgpr3
.LBB25_2823:                            ;   in Loop: Header=BB25_17 Depth=1
	s_and_not1_saveexec_b32 s58, s58
	s_cbranch_execz .LBB25_2825
; %bb.2824:                             ;   in Loop: Header=BB25_17 Depth=1
	flat_load_u8 v0, v[2:3]
	s_wait_loadcnt_dscnt 0x0
	v_lshlrev_b32_e32 v0, 24, v0
	s_wait_xcnt 0x0
	s_delay_alu instid0(VALU_DEP_1) | instskip(NEXT) | instid1(VALU_DEP_1)
	v_and_b32_e32 v2, 0x7f000000, v0
	v_clz_i32_u32_e32 v3, v2
	v_add_nc_u32_e32 v14, 0x1000000, v2
	v_cmp_ne_u32_e32 vcc_lo, 0, v2
	s_delay_alu instid0(VALU_DEP_3) | instskip(NEXT) | instid1(VALU_DEP_1)
	v_min_u32_e32 v3, 32, v3
	v_sub_nc_u32_e64 v3, v3, 4 clamp
	s_delay_alu instid0(VALU_DEP_1) | instskip(NEXT) | instid1(VALU_DEP_1)
	v_dual_lshlrev_b32 v13, v3, v2 :: v_dual_lshlrev_b32 v3, 23, v3
	v_lshrrev_b32_e32 v13, 4, v13
	s_delay_alu instid0(VALU_DEP_1) | instskip(NEXT) | instid1(VALU_DEP_1)
	v_dual_sub_nc_u32 v3, v13, v3 :: v_dual_ashrrev_i32 v13, 8, v14
	v_add_nc_u32_e32 v3, 0x3c000000, v3
	s_delay_alu instid0(VALU_DEP_1) | instskip(NEXT) | instid1(VALU_DEP_1)
	v_and_or_b32 v3, 0x7f800000, v13, v3
	v_cndmask_b32_e32 v2, 0, v3, vcc_lo
	s_delay_alu instid0(VALU_DEP_1)
	v_and_or_b32 v0, 0x80000000, v0, v2
.LBB25_2825:                            ;   in Loop: Header=BB25_17 Depth=1
	s_or_b32 exec_lo, exec_lo, s58
                                        ; implicit-def: $vgpr2_vgpr3
.LBB25_2826:                            ;   in Loop: Header=BB25_17 Depth=1
	s_and_not1_saveexec_b32 s57, s57
	s_cbranch_execz .LBB25_2828
; %bb.2827:                             ;   in Loop: Header=BB25_17 Depth=1
	flat_load_u8 v0, v[2:3]
	s_wait_loadcnt_dscnt 0x0
	v_lshlrev_b32_e32 v2, 25, v0
	v_lshlrev_b16 v0, 8, v0
	s_delay_alu instid0(VALU_DEP_1) | instskip(SKIP_1) | instid1(VALU_DEP_2)
	v_and_or_b32 v13, 0x7f00, v0, 0.5
	v_bfe_i32 v0, v0, 0, 16
	v_dual_add_f32 v13, -0.5, v13 :: v_dual_lshrrev_b32 v3, 4, v2
	v_cmp_gt_u32_e32 vcc_lo, 0x8000000, v2
	s_delay_alu instid0(VALU_DEP_2) | instskip(NEXT) | instid1(VALU_DEP_1)
	v_or_b32_e32 v3, 0x70000000, v3
	v_mul_f32_e32 v3, 0x7800000, v3
	s_delay_alu instid0(VALU_DEP_1) | instskip(NEXT) | instid1(VALU_DEP_1)
	v_cndmask_b32_e32 v2, v3, v13, vcc_lo
	v_and_or_b32 v0, 0x80000000, v0, v2
.LBB25_2828:                            ;   in Loop: Header=BB25_17 Depth=1
	s_or_b32 exec_lo, exec_lo, s57
	s_delay_alu instid0(SALU_CYCLE_1)
	s_or_b32 s57, s47, exec_lo
                                        ; implicit-def: $vgpr13
                                        ; implicit-def: $vgpr2_vgpr3
.LBB25_2829:                            ;   in Loop: Header=BB25_17 Depth=1
	s_and_not1_saveexec_b32 s56, s56
	s_cbranch_execz .LBB25_2839
; %bb.2830:                             ;   in Loop: Header=BB25_17 Depth=1
	s_mov_b32 s58, s57
	s_mov_b32 s59, exec_lo
                                        ; implicit-def: $vgpr0
	v_cmpx_lt_i16_e32 14, v13
	s_xor_b32 s59, exec_lo, s59
	s_cbranch_execz .LBB25_2834
; %bb.2831:                             ;   in Loop: Header=BB25_17 Depth=1
	s_mov_b32 s58, s57
	s_mov_b32 s61, exec_lo
                                        ; implicit-def: $vgpr0
	v_cmpx_eq_u16_e32 15, v13
	s_cbranch_execz .LBB25_2833
; %bb.2832:                             ;   in Loop: Header=BB25_17 Depth=1
	flat_load_u16 v0, v[2:3]
	s_or_b32 s58, s57, exec_lo
	s_wait_loadcnt_dscnt 0x0
	v_lshlrev_b32_e32 v0, 16, v0
.LBB25_2833:                            ;   in Loop: Header=BB25_17 Depth=1
	s_wait_xcnt 0x0
	s_or_b32 exec_lo, exec_lo, s61
	s_delay_alu instid0(SALU_CYCLE_1) | instskip(SKIP_1) | instid1(SALU_CYCLE_1)
	s_and_not1_b32 s61, s57, exec_lo
	s_and_b32 s58, s58, exec_lo
                                        ; implicit-def: $vgpr13
                                        ; implicit-def: $vgpr2_vgpr3
	s_or_b32 s58, s61, s58
.LBB25_2834:                            ;   in Loop: Header=BB25_17 Depth=1
	s_and_not1_saveexec_b32 s59, s59
	s_cbranch_execz .LBB25_2838
; %bb.2835:                             ;   in Loop: Header=BB25_17 Depth=1
	s_mov_b32 s61, s58
	s_mov_b32 s62, exec_lo
                                        ; implicit-def: $vgpr0
	v_cmpx_eq_u16_e32 11, v13
	s_cbranch_execz .LBB25_2837
; %bb.2836:                             ;   in Loop: Header=BB25_17 Depth=1
	flat_load_u8 v0, v[2:3]
	s_or_b32 s61, s58, exec_lo
	s_wait_loadcnt_dscnt 0x0
	v_cmp_ne_u16_e32 vcc_lo, 0, v0
	v_cndmask_b32_e64 v0, 0, 1.0, vcc_lo
.LBB25_2837:                            ;   in Loop: Header=BB25_17 Depth=1
	s_wait_xcnt 0x0
	s_or_b32 exec_lo, exec_lo, s62
	s_delay_alu instid0(SALU_CYCLE_1) | instskip(SKIP_1) | instid1(SALU_CYCLE_1)
	s_and_not1_b32 s58, s58, exec_lo
	s_and_b32 s61, s61, exec_lo
	s_or_b32 s58, s58, s61
.LBB25_2838:                            ;   in Loop: Header=BB25_17 Depth=1
	s_or_b32 exec_lo, exec_lo, s59
	s_delay_alu instid0(SALU_CYCLE_1) | instskip(SKIP_1) | instid1(SALU_CYCLE_1)
	s_and_not1_b32 s57, s57, exec_lo
	s_and_b32 s58, s58, exec_lo
	s_or_b32 s57, s57, s58
.LBB25_2839:                            ;   in Loop: Header=BB25_17 Depth=1
	s_or_b32 exec_lo, exec_lo, s56
	s_delay_alu instid0(SALU_CYCLE_1) | instskip(SKIP_1) | instid1(SALU_CYCLE_1)
	s_and_not1_b32 s47, s47, exec_lo
	s_and_b32 s56, s57, exec_lo
	s_or_b32 s47, s47, s56
.LBB25_2840:                            ;   in Loop: Header=BB25_17 Depth=1
	s_or_b32 exec_lo, exec_lo, s46
	s_delay_alu instid0(SALU_CYCLE_1)
	s_and_b32 s46, s47, exec_lo
                                        ; implicit-def: $vgpr13
                                        ; implicit-def: $vgpr2_vgpr3
	s_and_not1_saveexec_b32 s42, s42
	s_cbranch_execz .LBB25_1122
.LBB25_2841:                            ;   in Loop: Header=BB25_17 Depth=1
	s_mov_b32 s47, exec_lo
                                        ; implicit-def: $vgpr0
	v_cmpx_lt_i16_e32 4, v13
	s_xor_b32 s47, exec_lo, s47
	s_cbranch_execz .LBB25_2863
; %bb.2842:                             ;   in Loop: Header=BB25_17 Depth=1
	s_mov_b32 s56, exec_lo
                                        ; implicit-def: $vgpr0
	v_cmpx_lt_i16_e32 7, v13
	s_xor_b32 s56, exec_lo, s56
	s_cbranch_execz .LBB25_2852
; %bb.2843:                             ;   in Loop: Header=BB25_17 Depth=1
	s_mov_b32 s57, exec_lo
                                        ; implicit-def: $vgpr0
	v_cmpx_lt_i16_e32 8, v13
	s_xor_b32 s57, exec_lo, s57
	s_cbranch_execz .LBB25_2849
; %bb.2844:                             ;   in Loop: Header=BB25_17 Depth=1
	s_mov_b32 s58, exec_lo
                                        ; implicit-def: $vgpr0
	v_cmpx_lt_i16_e32 9, v13
	s_xor_b32 s58, exec_lo, s58
	s_cbranch_execz .LBB25_2846
; %bb.2845:                             ;   in Loop: Header=BB25_17 Depth=1
	flat_load_b64 v[2:3], v[2:3]
	s_wait_loadcnt_dscnt 0x0
	v_cvt_f32_f64_e32 v0, v[2:3]
                                        ; implicit-def: $vgpr2_vgpr3
.LBB25_2846:                            ;   in Loop: Header=BB25_17 Depth=1
	s_wait_xcnt 0x0
	s_and_not1_saveexec_b32 s58, s58
	s_cbranch_execz .LBB25_2848
; %bb.2847:                             ;   in Loop: Header=BB25_17 Depth=1
	flat_load_b32 v0, v[2:3]
.LBB25_2848:                            ;   in Loop: Header=BB25_17 Depth=1
	s_wait_xcnt 0x0
	s_or_b32 exec_lo, exec_lo, s58
                                        ; implicit-def: $vgpr2_vgpr3
.LBB25_2849:                            ;   in Loop: Header=BB25_17 Depth=1
	s_and_not1_saveexec_b32 s57, s57
	s_cbranch_execz .LBB25_2851
; %bb.2850:                             ;   in Loop: Header=BB25_17 Depth=1
	s_wait_loadcnt_dscnt 0x0
	flat_load_b32 v0, v[2:3]
	s_wait_loadcnt_dscnt 0x0
	v_cvt_f32_f16_e32 v0, v0
.LBB25_2851:                            ;   in Loop: Header=BB25_17 Depth=1
	s_wait_xcnt 0x0
	s_or_b32 exec_lo, exec_lo, s57
                                        ; implicit-def: $vgpr2_vgpr3
                                        ; implicit-def: $vgpr13
.LBB25_2852:                            ;   in Loop: Header=BB25_17 Depth=1
	s_and_not1_saveexec_b32 s56, s56
	s_cbranch_execz .LBB25_2862
; %bb.2853:                             ;   in Loop: Header=BB25_17 Depth=1
	s_mov_b32 s57, exec_lo
                                        ; implicit-def: $vgpr0
	v_cmpx_lt_i16_e32 5, v13
	s_xor_b32 s57, exec_lo, s57
	s_cbranch_execz .LBB25_2859
; %bb.2854:                             ;   in Loop: Header=BB25_17 Depth=1
	s_mov_b32 s58, exec_lo
                                        ; implicit-def: $vgpr0
	v_cmpx_lt_i16_e32 6, v13
	s_xor_b32 s58, exec_lo, s58
	s_cbranch_execz .LBB25_2856
; %bb.2855:                             ;   in Loop: Header=BB25_17 Depth=1
	flat_load_b64 v[2:3], v[2:3]
	s_wait_loadcnt_dscnt 0x0
	v_cvt_f32_f64_e32 v0, v[2:3]
                                        ; implicit-def: $vgpr2_vgpr3
.LBB25_2856:                            ;   in Loop: Header=BB25_17 Depth=1
	s_wait_xcnt 0x0
	s_and_not1_saveexec_b32 s58, s58
	s_cbranch_execz .LBB25_2858
; %bb.2857:                             ;   in Loop: Header=BB25_17 Depth=1
	s_wait_loadcnt_dscnt 0x0
	flat_load_b32 v0, v[2:3]
.LBB25_2858:                            ;   in Loop: Header=BB25_17 Depth=1
	s_wait_xcnt 0x0
	s_or_b32 exec_lo, exec_lo, s58
                                        ; implicit-def: $vgpr2_vgpr3
.LBB25_2859:                            ;   in Loop: Header=BB25_17 Depth=1
	s_and_not1_saveexec_b32 s57, s57
	s_cbranch_execz .LBB25_2861
; %bb.2860:                             ;   in Loop: Header=BB25_17 Depth=1
	s_wait_loadcnt_dscnt 0x0
	flat_load_u16 v0, v[2:3]
	s_wait_loadcnt_dscnt 0x0
	v_cvt_f32_f16_e32 v0, v0
.LBB25_2861:                            ;   in Loop: Header=BB25_17 Depth=1
	s_wait_xcnt 0x0
	s_or_b32 exec_lo, exec_lo, s57
.LBB25_2862:                            ;   in Loop: Header=BB25_17 Depth=1
	s_delay_alu instid0(SALU_CYCLE_1)
	s_or_b32 exec_lo, exec_lo, s56
                                        ; implicit-def: $vgpr13
                                        ; implicit-def: $vgpr2_vgpr3
.LBB25_2863:                            ;   in Loop: Header=BB25_17 Depth=1
	s_and_not1_saveexec_b32 s47, s47
	s_cbranch_execz .LBB25_2881
; %bb.2864:                             ;   in Loop: Header=BB25_17 Depth=1
	s_mov_b32 s56, exec_lo
                                        ; implicit-def: $vgpr0
	v_cmpx_lt_i16_e32 1, v13
	s_xor_b32 s56, exec_lo, s56
	s_cbranch_execz .LBB25_2874
; %bb.2865:                             ;   in Loop: Header=BB25_17 Depth=1
	s_mov_b32 s57, exec_lo
                                        ; implicit-def: $vgpr0
	v_cmpx_lt_i16_e32 2, v13
	s_xor_b32 s57, exec_lo, s57
	s_cbranch_execz .LBB25_2871
; %bb.2866:                             ;   in Loop: Header=BB25_17 Depth=1
	s_mov_b32 s58, exec_lo
                                        ; implicit-def: $vgpr0
	v_cmpx_lt_i16_e32 3, v13
	s_xor_b32 s58, exec_lo, s58
	s_cbranch_execz .LBB25_2868
; %bb.2867:                             ;   in Loop: Header=BB25_17 Depth=1
	flat_load_b64 v[2:3], v[2:3]
	s_wait_loadcnt_dscnt 0x0
	v_xor_b32_e32 v0, v2, v3
	v_cls_i32_e32 v13, v3
	s_delay_alu instid0(VALU_DEP_2) | instskip(NEXT) | instid1(VALU_DEP_1)
	v_ashrrev_i32_e32 v0, 31, v0
	v_add_nc_u32_e32 v0, 32, v0
	s_delay_alu instid0(VALU_DEP_1) | instskip(SKIP_1) | instid1(VALU_DEP_1)
	v_add_min_u32_e64 v0, v13, -1, v0
	s_wait_xcnt 0x0
	v_lshlrev_b64_e32 v[2:3], v0, v[2:3]
	v_sub_nc_u32_e32 v0, 32, v0
	s_delay_alu instid0(VALU_DEP_2) | instskip(NEXT) | instid1(VALU_DEP_1)
	v_min_u32_e32 v2, 1, v2
	v_or_b32_e32 v2, v3, v2
	s_delay_alu instid0(VALU_DEP_1) | instskip(NEXT) | instid1(VALU_DEP_1)
	v_cvt_f32_i32_e32 v2, v2
	v_ldexp_f32 v0, v2, v0
                                        ; implicit-def: $vgpr2_vgpr3
.LBB25_2868:                            ;   in Loop: Header=BB25_17 Depth=1
	s_and_not1_saveexec_b32 s58, s58
	s_cbranch_execz .LBB25_2870
; %bb.2869:                             ;   in Loop: Header=BB25_17 Depth=1
	s_wait_loadcnt_dscnt 0x0
	flat_load_b32 v0, v[2:3]
	s_wait_loadcnt_dscnt 0x0
	v_cvt_f32_i32_e32 v0, v0
.LBB25_2870:                            ;   in Loop: Header=BB25_17 Depth=1
	s_wait_xcnt 0x0
	s_or_b32 exec_lo, exec_lo, s58
                                        ; implicit-def: $vgpr2_vgpr3
.LBB25_2871:                            ;   in Loop: Header=BB25_17 Depth=1
	s_and_not1_saveexec_b32 s57, s57
	s_cbranch_execz .LBB25_2873
; %bb.2872:                             ;   in Loop: Header=BB25_17 Depth=1
	s_wait_loadcnt_dscnt 0x0
	flat_load_i16 v0, v[2:3]
	s_wait_loadcnt_dscnt 0x0
	v_cvt_f32_i32_e32 v0, v0
.LBB25_2873:                            ;   in Loop: Header=BB25_17 Depth=1
	s_wait_xcnt 0x0
	s_or_b32 exec_lo, exec_lo, s57
                                        ; implicit-def: $vgpr2_vgpr3
                                        ; implicit-def: $vgpr13
.LBB25_2874:                            ;   in Loop: Header=BB25_17 Depth=1
	s_and_not1_saveexec_b32 s56, s56
	s_cbranch_execz .LBB25_2880
; %bb.2875:                             ;   in Loop: Header=BB25_17 Depth=1
	s_mov_b32 s57, exec_lo
                                        ; implicit-def: $vgpr0
	v_cmpx_lt_i16_e32 0, v13
	s_xor_b32 s57, exec_lo, s57
	s_cbranch_execz .LBB25_2877
; %bb.2876:                             ;   in Loop: Header=BB25_17 Depth=1
	s_wait_loadcnt_dscnt 0x0
	flat_load_i8 v0, v[2:3]
                                        ; implicit-def: $vgpr2_vgpr3
	s_wait_loadcnt_dscnt 0x0
	v_cvt_f32_i32_e32 v0, v0
.LBB25_2877:                            ;   in Loop: Header=BB25_17 Depth=1
	s_wait_xcnt 0x0
	s_and_not1_saveexec_b32 s57, s57
	s_cbranch_execz .LBB25_2879
; %bb.2878:                             ;   in Loop: Header=BB25_17 Depth=1
	s_wait_loadcnt_dscnt 0x0
	flat_load_u8 v0, v[2:3]
	s_wait_loadcnt_dscnt 0x0
	v_cvt_f32_ubyte0_e32 v0, v0
.LBB25_2879:                            ;   in Loop: Header=BB25_17 Depth=1
	s_wait_xcnt 0x0
	s_or_b32 exec_lo, exec_lo, s57
.LBB25_2880:                            ;   in Loop: Header=BB25_17 Depth=1
	s_delay_alu instid0(SALU_CYCLE_1)
	s_or_b32 exec_lo, exec_lo, s56
.LBB25_2881:                            ;   in Loop: Header=BB25_17 Depth=1
	s_delay_alu instid0(SALU_CYCLE_1) | instskip(NEXT) | instid1(SALU_CYCLE_1)
	s_or_b32 exec_lo, exec_lo, s47
	s_or_b32 s46, s46, exec_lo
	s_or_b32 exec_lo, exec_lo, s42
	s_mov_b32 s47, 0
	s_and_saveexec_b32 s42, s46
	s_cbranch_execnz .LBB25_1123
	s_branch .LBB25_1124
.LBB25_2882:                            ;   in Loop: Header=BB25_17 Depth=1
	s_mov_b32 s26, -1
	s_mov_b32 s28, exec_lo
	v_cmpx_eq_u16_e32 0x80, v2
; %bb.2883:                             ;   in Loop: Header=BB25_17 Depth=1
	s_xor_b32 s26, exec_lo, -1
; %bb.2884:                             ;   in Loop: Header=BB25_17 Depth=1
	s_or_b32 exec_lo, exec_lo, s28
	s_delay_alu instid0(SALU_CYCLE_1)
	s_and_b32 s26, s26, exec_lo
	s_or_saveexec_b32 s27, s27
	v_mov_b32_e32 v0, 0x7f800001
	s_xor_b32 exec_lo, exec_lo, s27
	s_cbranch_execz .LBB25_2244
.LBB25_2885:                            ;   in Loop: Header=BB25_17 Depth=1
	v_cmp_ne_u16_e32 vcc_lo, 0, v2
	v_mov_b32_e32 v0, 0
	s_and_not1_b32 s26, s26, exec_lo
	s_and_b32 s28, vcc_lo, exec_lo
	s_delay_alu instid0(SALU_CYCLE_1)
	s_or_b32 s26, s26, s28
	s_or_b32 exec_lo, exec_lo, s27
	s_and_saveexec_b32 s27, s26
	s_cbranch_execnz .LBB25_2245
	s_branch .LBB25_2246
.LBB25_2886:                            ;   in Loop: Header=BB25_17 Depth=1
	s_mov_b32 s28, -1
	s_mov_b32 s40, exec_lo
	v_cmpx_eq_u16_e32 0x80, v2
; %bb.2887:                             ;   in Loop: Header=BB25_17 Depth=1
	s_xor_b32 s28, exec_lo, -1
; %bb.2888:                             ;   in Loop: Header=BB25_17 Depth=1
	s_or_b32 exec_lo, exec_lo, s40
	s_delay_alu instid0(SALU_CYCLE_1)
	s_and_b32 s28, s28, exec_lo
	s_or_saveexec_b32 s29, s29
	v_mov_b32_e32 v0, 0x7f800001
	s_xor_b32 exec_lo, exec_lo, s29
	s_cbranch_execz .LBB25_2345
.LBB25_2889:                            ;   in Loop: Header=BB25_17 Depth=1
	v_cmp_ne_u16_e32 vcc_lo, 0, v2
	v_mov_b32_e32 v0, 0
	s_and_not1_b32 s28, s28, exec_lo
	s_and_b32 s40, vcc_lo, exec_lo
	s_delay_alu instid0(SALU_CYCLE_1)
	s_or_b32 s28, s28, s40
	s_or_b32 exec_lo, exec_lo, s29
	s_and_saveexec_b32 s29, s28
	s_cbranch_execnz .LBB25_2346
	s_branch .LBB25_2347
.LBB25_2890:                            ;   in Loop: Header=BB25_17 Depth=1
	s_mov_b32 s40, -1
	s_mov_b32 s42, exec_lo
	v_cmpx_eq_u16_e32 0x80, v2
; %bb.2891:                             ;   in Loop: Header=BB25_17 Depth=1
	s_xor_b32 s40, exec_lo, -1
; %bb.2892:                             ;   in Loop: Header=BB25_17 Depth=1
	s_or_b32 exec_lo, exec_lo, s42
	s_delay_alu instid0(SALU_CYCLE_1)
	s_and_b32 s40, s40, exec_lo
	s_or_saveexec_b32 s41, s41
	v_mov_b32_e32 v0, 0x7f800001
	s_xor_b32 exec_lo, exec_lo, s41
	s_cbranch_execz .LBB25_723
.LBB25_2893:                            ;   in Loop: Header=BB25_17 Depth=1
	v_cmp_ne_u16_e32 vcc_lo, 0, v2
	v_mov_b32_e32 v0, 0
	s_and_not1_b32 s40, s40, exec_lo
	s_and_b32 s42, vcc_lo, exec_lo
	s_delay_alu instid0(SALU_CYCLE_1)
	s_or_b32 s40, s40, s42
	s_or_b32 exec_lo, exec_lo, s41
	s_and_saveexec_b32 s41, s40
	s_cbranch_execnz .LBB25_724
	s_branch .LBB25_725
.LBB25_2894:                            ;   in Loop: Header=BB25_17 Depth=1
	s_mov_b32 s42, -1
	s_mov_b32 s44, exec_lo
	v_cmpx_eq_u16_e32 0x80, v2
; %bb.2895:                             ;   in Loop: Header=BB25_17 Depth=1
	s_xor_b32 s42, exec_lo, -1
; %bb.2896:                             ;   in Loop: Header=BB25_17 Depth=1
	s_or_b32 exec_lo, exec_lo, s44
	s_delay_alu instid0(SALU_CYCLE_1)
	s_and_b32 s42, s42, exec_lo
	s_or_saveexec_b32 s43, s43
	v_mov_b32_e32 v0, 0x7f800001
	s_xor_b32 exec_lo, exec_lo, s43
	s_cbranch_execz .LBB25_823
.LBB25_2897:                            ;   in Loop: Header=BB25_17 Depth=1
	v_cmp_ne_u16_e32 vcc_lo, 0, v2
	v_mov_b32_e32 v0, 0
	s_and_not1_b32 s42, s42, exec_lo
	s_and_b32 s44, vcc_lo, exec_lo
	s_delay_alu instid0(SALU_CYCLE_1)
	s_or_b32 s42, s42, s44
	s_or_b32 exec_lo, exec_lo, s43
	s_and_saveexec_b32 s43, s42
	s_cbranch_execnz .LBB25_824
	s_branch .LBB25_825
.LBB25_2898:                            ;   in Loop: Header=BB25_17 Depth=1
	s_mov_b32 s57, exec_lo
                                        ; implicit-def: $vgpr0
	v_cmpx_lt_i16_e32 25, v13
	s_xor_b32 s57, exec_lo, s57
	s_cbranch_execz .LBB25_2930
; %bb.2899:                             ;   in Loop: Header=BB25_17 Depth=1
	s_mov_b32 s59, exec_lo
                                        ; implicit-def: $vgpr0
	v_cmpx_lt_i16_e32 28, v13
	s_xor_b32 s59, exec_lo, s59
	s_cbranch_execz .LBB25_2915
; %bb.2900:                             ;   in Loop: Header=BB25_17 Depth=1
	s_mov_b32 s61, 0
	s_mov_b32 s58, exec_lo
                                        ; implicit-def: $vgpr0
	v_cmpx_lt_i16_e32 43, v13
	s_xor_b32 s58, exec_lo, s58
	s_cbranch_execz .LBB25_2910
; %bb.2901:                             ;   in Loop: Header=BB25_17 Depth=1
	s_mov_b32 s62, exec_lo
                                        ; implicit-def: $vgpr0
	v_cmpx_lt_i16_e32 45, v13
	s_xor_b32 s62, exec_lo, s62
	s_cbranch_execz .LBB25_2905
; %bb.2902:                             ;   in Loop: Header=BB25_17 Depth=1
	s_mov_b32 s63, exec_lo
                                        ; implicit-def: $vgpr0
	v_cmpx_eq_u16_e32 46, v13
	s_cbranch_execz .LBB25_2904
; %bb.2903:                             ;   in Loop: Header=BB25_17 Depth=1
	flat_load_b32 v0, v[2:3]
	s_mov_b32 s61, exec_lo
	s_wait_loadcnt_dscnt 0x0
	v_lshlrev_b32_e32 v0, 16, v0
.LBB25_2904:                            ;   in Loop: Header=BB25_17 Depth=1
	s_wait_xcnt 0x0
	s_or_b32 exec_lo, exec_lo, s63
	s_delay_alu instid0(SALU_CYCLE_1)
	s_and_b32 s61, s61, exec_lo
                                        ; implicit-def: $vgpr13
                                        ; implicit-def: $vgpr2_vgpr3
.LBB25_2905:                            ;   in Loop: Header=BB25_17 Depth=1
	s_and_not1_saveexec_b32 s62, s62
	s_cbranch_execz .LBB25_2909
; %bb.2906:                             ;   in Loop: Header=BB25_17 Depth=1
	s_mov_b32 s72, s61
	s_mov_b32 s63, exec_lo
                                        ; implicit-def: $vgpr0
	v_cmpx_eq_u16_e32 44, v13
	s_cbranch_execz .LBB25_2908
; %bb.2907:                             ;   in Loop: Header=BB25_17 Depth=1
	flat_load_u8 v0, v[2:3]
	s_or_b32 s72, s61, exec_lo
	s_wait_loadcnt_dscnt 0x0
	v_lshlrev_b32_e32 v2, 23, v0
	v_cmp_ne_u32_e32 vcc_lo, 0xff, v0
	s_delay_alu instid0(VALU_DEP_2) | instskip(SKIP_1) | instid1(VALU_DEP_2)
	v_cndmask_b32_e32 v2, 0x7f800001, v2, vcc_lo
	v_cmp_ne_u32_e32 vcc_lo, 0, v0
	v_cndmask_b32_e32 v0, 0x400000, v2, vcc_lo
.LBB25_2908:                            ;   in Loop: Header=BB25_17 Depth=1
	s_or_b32 exec_lo, exec_lo, s63
	s_delay_alu instid0(SALU_CYCLE_1) | instskip(SKIP_1) | instid1(SALU_CYCLE_1)
	s_and_not1_b32 s61, s61, exec_lo
	s_and_b32 s63, s72, exec_lo
	s_or_b32 s61, s61, s63
.LBB25_2909:                            ;   in Loop: Header=BB25_17 Depth=1
	s_or_b32 exec_lo, exec_lo, s62
	s_delay_alu instid0(SALU_CYCLE_1)
	s_and_b32 s61, s61, exec_lo
                                        ; implicit-def: $vgpr13
                                        ; implicit-def: $vgpr2_vgpr3
.LBB25_2910:                            ;   in Loop: Header=BB25_17 Depth=1
	s_and_not1_saveexec_b32 s58, s58
	s_cbranch_execz .LBB25_2914
; %bb.2911:                             ;   in Loop: Header=BB25_17 Depth=1
	s_mov_b32 s63, s61
	s_mov_b32 s62, exec_lo
                                        ; implicit-def: $vgpr0
	v_cmpx_eq_u16_e32 29, v13
	s_cbranch_execz .LBB25_2913
; %bb.2912:                             ;   in Loop: Header=BB25_17 Depth=1
	flat_load_b64 v[2:3], v[2:3]
	s_or_b32 s63, s61, exec_lo
	s_wait_loadcnt_dscnt 0x0
	v_clz_i32_u32_e32 v0, v3
	s_delay_alu instid0(VALU_DEP_1) | instskip(SKIP_1) | instid1(VALU_DEP_1)
	v_min_u32_e32 v0, 32, v0
	s_wait_xcnt 0x0
	v_lshlrev_b64_e32 v[2:3], v0, v[2:3]
	v_sub_nc_u32_e32 v0, 32, v0
	s_delay_alu instid0(VALU_DEP_2) | instskip(NEXT) | instid1(VALU_DEP_1)
	v_min_u32_e32 v2, 1, v2
	v_or_b32_e32 v2, v3, v2
	s_delay_alu instid0(VALU_DEP_1) | instskip(NEXT) | instid1(VALU_DEP_1)
	v_cvt_f32_u32_e32 v2, v2
	v_ldexp_f32 v0, v2, v0
.LBB25_2913:                            ;   in Loop: Header=BB25_17 Depth=1
	s_or_b32 exec_lo, exec_lo, s62
	s_delay_alu instid0(SALU_CYCLE_1) | instskip(SKIP_1) | instid1(SALU_CYCLE_1)
	s_and_not1_b32 s61, s61, exec_lo
	s_and_b32 s62, s63, exec_lo
	s_or_b32 s61, s61, s62
.LBB25_2914:                            ;   in Loop: Header=BB25_17 Depth=1
	s_or_b32 exec_lo, exec_lo, s58
	s_delay_alu instid0(SALU_CYCLE_1)
	s_and_b32 s58, s61, exec_lo
                                        ; implicit-def: $vgpr13
                                        ; implicit-def: $vgpr2_vgpr3
.LBB25_2915:                            ;   in Loop: Header=BB25_17 Depth=1
	s_and_not1_saveexec_b32 s59, s59
	s_cbranch_execz .LBB25_2929
; %bb.2916:                             ;   in Loop: Header=BB25_17 Depth=1
	s_mov_b32 s61, exec_lo
                                        ; implicit-def: $vgpr0
	v_cmpx_lt_i16_e32 26, v13
	s_xor_b32 s61, exec_lo, s61
	s_cbranch_execz .LBB25_2922
; %bb.2917:                             ;   in Loop: Header=BB25_17 Depth=1
	s_mov_b32 s62, exec_lo
                                        ; implicit-def: $vgpr0
	v_cmpx_lt_i16_e32 27, v13
	s_xor_b32 s62, exec_lo, s62
	s_cbranch_execz .LBB25_2919
; %bb.2918:                             ;   in Loop: Header=BB25_17 Depth=1
	flat_load_b32 v0, v[2:3]
                                        ; implicit-def: $vgpr2_vgpr3
	s_wait_loadcnt_dscnt 0x0
	v_cvt_f32_u32_e32 v0, v0
.LBB25_2919:                            ;   in Loop: Header=BB25_17 Depth=1
	s_wait_xcnt 0x0
	s_and_not1_saveexec_b32 s62, s62
	s_cbranch_execz .LBB25_2921
; %bb.2920:                             ;   in Loop: Header=BB25_17 Depth=1
	flat_load_u16 v0, v[2:3]
	s_wait_loadcnt_dscnt 0x0
	v_cvt_f32_u32_e32 v0, v0
.LBB25_2921:                            ;   in Loop: Header=BB25_17 Depth=1
	s_wait_xcnt 0x0
	s_or_b32 exec_lo, exec_lo, s62
                                        ; implicit-def: $vgpr2_vgpr3
.LBB25_2922:                            ;   in Loop: Header=BB25_17 Depth=1
	s_and_not1_saveexec_b32 s61, s61
	s_cbranch_execz .LBB25_2928
; %bb.2923:                             ;   in Loop: Header=BB25_17 Depth=1
	flat_load_u8 v2, v[2:3]
	s_mov_b32 s62, 0
	s_mov_b32 s63, exec_lo
	s_wait_loadcnt_dscnt 0x0
	v_cmpx_lt_i16_e32 0x7f, v2
	s_xor_b32 s63, exec_lo, s63
	s_cbranch_execnz .LBB25_3466
; %bb.2924:                             ;   in Loop: Header=BB25_17 Depth=1
	s_or_saveexec_b32 s63, s63
	v_mov_b32_e32 v0, 0x7f800001
	s_xor_b32 exec_lo, exec_lo, s63
	s_cbranch_execnz .LBB25_3469
.LBB25_2925:                            ;   in Loop: Header=BB25_17 Depth=1
	s_or_b32 exec_lo, exec_lo, s63
	s_and_saveexec_b32 s63, s62
	s_cbranch_execz .LBB25_2927
.LBB25_2926:                            ;   in Loop: Header=BB25_17 Depth=1
	v_and_b32_e32 v0, 0xffff, v2
	s_delay_alu instid0(VALU_DEP_1) | instskip(SKIP_1) | instid1(VALU_DEP_2)
	v_and_b32_e32 v3, 7, v0
	v_bfe_u32 v15, v0, 3, 4
	v_clz_i32_u32_e32 v13, v3
	s_delay_alu instid0(VALU_DEP_2) | instskip(NEXT) | instid1(VALU_DEP_2)
	v_cmp_eq_u32_e32 vcc_lo, 0, v15
	v_min_u32_e32 v13, 32, v13
	s_delay_alu instid0(VALU_DEP_1) | instskip(NEXT) | instid1(VALU_DEP_1)
	v_subrev_nc_u32_e32 v14, 28, v13
	v_dual_lshlrev_b32 v0, v14, v0 :: v_dual_sub_nc_u32 v13, 29, v13
	s_delay_alu instid0(VALU_DEP_1) | instskip(NEXT) | instid1(VALU_DEP_2)
	v_dual_lshlrev_b32 v2, 24, v2 :: v_dual_bitop2_b32 v0, 7, v0 bitop3:0x40
	v_cndmask_b32_e32 v13, v15, v13, vcc_lo
	s_delay_alu instid0(VALU_DEP_2) | instskip(NEXT) | instid1(VALU_DEP_3)
	v_cndmask_b32_e32 v0, v3, v0, vcc_lo
	v_and_b32_e32 v2, 0x80000000, v2
	s_delay_alu instid0(VALU_DEP_3) | instskip(NEXT) | instid1(VALU_DEP_3)
	v_lshl_add_u32 v3, v13, 23, 0x3b800000
	v_lshlrev_b32_e32 v0, 20, v0
	s_delay_alu instid0(VALU_DEP_1)
	v_or3_b32 v0, v2, v3, v0
.LBB25_2927:                            ;   in Loop: Header=BB25_17 Depth=1
	s_or_b32 exec_lo, exec_lo, s63
.LBB25_2928:                            ;   in Loop: Header=BB25_17 Depth=1
	s_delay_alu instid0(SALU_CYCLE_1) | instskip(NEXT) | instid1(SALU_CYCLE_1)
	s_or_b32 exec_lo, exec_lo, s61
	s_or_b32 s58, s58, exec_lo
.LBB25_2929:                            ;   in Loop: Header=BB25_17 Depth=1
	s_or_b32 exec_lo, exec_lo, s59
	s_delay_alu instid0(SALU_CYCLE_1)
	s_and_b32 s58, s58, exec_lo
                                        ; implicit-def: $vgpr13
                                        ; implicit-def: $vgpr2_vgpr3
.LBB25_2930:                            ;   in Loop: Header=BB25_17 Depth=1
	s_and_not1_saveexec_b32 s57, s57
	s_cbranch_execz .LBB25_2956
; %bb.2931:                             ;   in Loop: Header=BB25_17 Depth=1
	s_mov_b32 s61, s58
	s_mov_b32 s59, exec_lo
                                        ; implicit-def: $vgpr0
	v_cmpx_lt_i16_e32 22, v13
	s_xor_b32 s59, exec_lo, s59
	s_cbranch_execz .LBB25_2945
; %bb.2932:                             ;   in Loop: Header=BB25_17 Depth=1
	s_mov_b32 s61, exec_lo
                                        ; implicit-def: $vgpr0
	v_cmpx_lt_i16_e32 23, v13
	s_xor_b32 s61, exec_lo, s61
	s_cbranch_execz .LBB25_2942
; %bb.2933:                             ;   in Loop: Header=BB25_17 Depth=1
	;; [unrolled: 6-line block ×3, first 2 shown]
	flat_load_u8 v2, v[2:3]
	s_mov_b32 s63, 0
	s_mov_b32 s72, exec_lo
	s_wait_loadcnt_dscnt 0x0
	v_cmpx_lt_i16_e32 0x7f, v2
	s_xor_b32 s72, exec_lo, s72
	s_cbranch_execnz .LBB25_3578
; %bb.2935:                             ;   in Loop: Header=BB25_17 Depth=1
	s_or_saveexec_b32 s72, s72
	v_mov_b32_e32 v0, 0x7f800001
	s_xor_b32 exec_lo, exec_lo, s72
	s_cbranch_execnz .LBB25_3581
.LBB25_2936:                            ;   in Loop: Header=BB25_17 Depth=1
	s_or_b32 exec_lo, exec_lo, s72
	s_and_saveexec_b32 s72, s63
	s_cbranch_execz .LBB25_2938
.LBB25_2937:                            ;   in Loop: Header=BB25_17 Depth=1
	v_and_b32_e32 v0, 0xffff, v2
	s_delay_alu instid0(VALU_DEP_1) | instskip(SKIP_1) | instid1(VALU_DEP_2)
	v_and_b32_e32 v3, 3, v0
	v_bfe_u32 v15, v0, 2, 5
	v_clz_i32_u32_e32 v13, v3
	s_delay_alu instid0(VALU_DEP_2) | instskip(NEXT) | instid1(VALU_DEP_2)
	v_cmp_eq_u32_e32 vcc_lo, 0, v15
	v_min_u32_e32 v13, 32, v13
	s_delay_alu instid0(VALU_DEP_1) | instskip(NEXT) | instid1(VALU_DEP_1)
	v_subrev_nc_u32_e32 v14, 29, v13
	v_dual_lshlrev_b32 v0, v14, v0 :: v_dual_sub_nc_u32 v13, 30, v13
	s_delay_alu instid0(VALU_DEP_1) | instskip(NEXT) | instid1(VALU_DEP_2)
	v_dual_lshlrev_b32 v2, 24, v2 :: v_dual_bitop2_b32 v0, 3, v0 bitop3:0x40
	v_cndmask_b32_e32 v13, v15, v13, vcc_lo
	s_delay_alu instid0(VALU_DEP_2) | instskip(NEXT) | instid1(VALU_DEP_3)
	v_cndmask_b32_e32 v0, v3, v0, vcc_lo
	v_and_b32_e32 v2, 0x80000000, v2
	s_delay_alu instid0(VALU_DEP_3) | instskip(NEXT) | instid1(VALU_DEP_3)
	v_lshl_add_u32 v3, v13, 23, 0x37800000
	v_lshlrev_b32_e32 v0, 21, v0
	s_delay_alu instid0(VALU_DEP_1)
	v_or3_b32 v0, v2, v3, v0
.LBB25_2938:                            ;   in Loop: Header=BB25_17 Depth=1
	s_or_b32 exec_lo, exec_lo, s72
                                        ; implicit-def: $vgpr2_vgpr3
.LBB25_2939:                            ;   in Loop: Header=BB25_17 Depth=1
	s_and_not1_saveexec_b32 s62, s62
	s_cbranch_execz .LBB25_2941
; %bb.2940:                             ;   in Loop: Header=BB25_17 Depth=1
	flat_load_u8 v0, v[2:3]
	s_wait_loadcnt_dscnt 0x0
	v_lshlrev_b32_e32 v0, 24, v0
	s_wait_xcnt 0x0
	s_delay_alu instid0(VALU_DEP_1) | instskip(NEXT) | instid1(VALU_DEP_1)
	v_and_b32_e32 v2, 0x7f000000, v0
	v_clz_i32_u32_e32 v3, v2
	v_add_nc_u32_e32 v14, 0x1000000, v2
	v_cmp_ne_u32_e32 vcc_lo, 0, v2
	s_delay_alu instid0(VALU_DEP_3) | instskip(NEXT) | instid1(VALU_DEP_1)
	v_min_u32_e32 v3, 32, v3
	v_sub_nc_u32_e64 v3, v3, 4 clamp
	s_delay_alu instid0(VALU_DEP_1) | instskip(NEXT) | instid1(VALU_DEP_1)
	v_dual_lshlrev_b32 v13, v3, v2 :: v_dual_lshlrev_b32 v3, 23, v3
	v_lshrrev_b32_e32 v13, 4, v13
	s_delay_alu instid0(VALU_DEP_1) | instskip(NEXT) | instid1(VALU_DEP_1)
	v_dual_sub_nc_u32 v3, v13, v3 :: v_dual_ashrrev_i32 v13, 8, v14
	v_add_nc_u32_e32 v3, 0x3c000000, v3
	s_delay_alu instid0(VALU_DEP_1) | instskip(NEXT) | instid1(VALU_DEP_1)
	v_and_or_b32 v3, 0x7f800000, v13, v3
	v_cndmask_b32_e32 v2, 0, v3, vcc_lo
	s_delay_alu instid0(VALU_DEP_1)
	v_and_or_b32 v0, 0x80000000, v0, v2
.LBB25_2941:                            ;   in Loop: Header=BB25_17 Depth=1
	s_or_b32 exec_lo, exec_lo, s62
                                        ; implicit-def: $vgpr2_vgpr3
.LBB25_2942:                            ;   in Loop: Header=BB25_17 Depth=1
	s_and_not1_saveexec_b32 s61, s61
	s_cbranch_execz .LBB25_2944
; %bb.2943:                             ;   in Loop: Header=BB25_17 Depth=1
	flat_load_u8 v0, v[2:3]
	s_wait_loadcnt_dscnt 0x0
	v_lshlrev_b32_e32 v2, 25, v0
	v_lshlrev_b16 v0, 8, v0
	s_delay_alu instid0(VALU_DEP_1) | instskip(SKIP_1) | instid1(VALU_DEP_2)
	v_and_or_b32 v13, 0x7f00, v0, 0.5
	v_bfe_i32 v0, v0, 0, 16
	v_dual_add_f32 v13, -0.5, v13 :: v_dual_lshrrev_b32 v3, 4, v2
	v_cmp_gt_u32_e32 vcc_lo, 0x8000000, v2
	s_delay_alu instid0(VALU_DEP_2) | instskip(NEXT) | instid1(VALU_DEP_1)
	v_or_b32_e32 v3, 0x70000000, v3
	v_mul_f32_e32 v3, 0x7800000, v3
	s_delay_alu instid0(VALU_DEP_1) | instskip(NEXT) | instid1(VALU_DEP_1)
	v_cndmask_b32_e32 v2, v3, v13, vcc_lo
	v_and_or_b32 v0, 0x80000000, v0, v2
.LBB25_2944:                            ;   in Loop: Header=BB25_17 Depth=1
	s_or_b32 exec_lo, exec_lo, s61
	s_delay_alu instid0(SALU_CYCLE_1)
	s_or_b32 s61, s58, exec_lo
                                        ; implicit-def: $vgpr13
                                        ; implicit-def: $vgpr2_vgpr3
.LBB25_2945:                            ;   in Loop: Header=BB25_17 Depth=1
	s_and_not1_saveexec_b32 s59, s59
	s_cbranch_execz .LBB25_2955
; %bb.2946:                             ;   in Loop: Header=BB25_17 Depth=1
	s_mov_b32 s62, s61
	s_mov_b32 s63, exec_lo
                                        ; implicit-def: $vgpr0
	v_cmpx_lt_i16_e32 14, v13
	s_xor_b32 s63, exec_lo, s63
	s_cbranch_execz .LBB25_2950
; %bb.2947:                             ;   in Loop: Header=BB25_17 Depth=1
	s_mov_b32 s62, s61
	s_mov_b32 s72, exec_lo
                                        ; implicit-def: $vgpr0
	v_cmpx_eq_u16_e32 15, v13
	s_cbranch_execz .LBB25_2949
; %bb.2948:                             ;   in Loop: Header=BB25_17 Depth=1
	flat_load_u16 v0, v[2:3]
	s_or_b32 s62, s61, exec_lo
	s_wait_loadcnt_dscnt 0x0
	v_lshlrev_b32_e32 v0, 16, v0
.LBB25_2949:                            ;   in Loop: Header=BB25_17 Depth=1
	s_wait_xcnt 0x0
	s_or_b32 exec_lo, exec_lo, s72
	s_delay_alu instid0(SALU_CYCLE_1) | instskip(SKIP_1) | instid1(SALU_CYCLE_1)
	s_and_not1_b32 s72, s61, exec_lo
	s_and_b32 s62, s62, exec_lo
                                        ; implicit-def: $vgpr13
                                        ; implicit-def: $vgpr2_vgpr3
	s_or_b32 s62, s72, s62
.LBB25_2950:                            ;   in Loop: Header=BB25_17 Depth=1
	s_and_not1_saveexec_b32 s63, s63
	s_cbranch_execz .LBB25_2954
; %bb.2951:                             ;   in Loop: Header=BB25_17 Depth=1
	s_mov_b32 s72, s62
	s_mov_b32 s73, exec_lo
                                        ; implicit-def: $vgpr0
	v_cmpx_eq_u16_e32 11, v13
	s_cbranch_execz .LBB25_2953
; %bb.2952:                             ;   in Loop: Header=BB25_17 Depth=1
	flat_load_u8 v0, v[2:3]
	s_or_b32 s72, s62, exec_lo
	s_wait_loadcnt_dscnt 0x0
	v_cmp_ne_u16_e32 vcc_lo, 0, v0
	v_cndmask_b32_e64 v0, 0, 1.0, vcc_lo
.LBB25_2953:                            ;   in Loop: Header=BB25_17 Depth=1
	s_wait_xcnt 0x0
	s_or_b32 exec_lo, exec_lo, s73
	s_delay_alu instid0(SALU_CYCLE_1) | instskip(SKIP_1) | instid1(SALU_CYCLE_1)
	s_and_not1_b32 s62, s62, exec_lo
	s_and_b32 s72, s72, exec_lo
	s_or_b32 s62, s62, s72
.LBB25_2954:                            ;   in Loop: Header=BB25_17 Depth=1
	s_or_b32 exec_lo, exec_lo, s63
	s_delay_alu instid0(SALU_CYCLE_1) | instskip(SKIP_1) | instid1(SALU_CYCLE_1)
	s_and_not1_b32 s61, s61, exec_lo
	s_and_b32 s62, s62, exec_lo
	s_or_b32 s61, s61, s62
.LBB25_2955:                            ;   in Loop: Header=BB25_17 Depth=1
	s_or_b32 exec_lo, exec_lo, s59
	s_delay_alu instid0(SALU_CYCLE_1) | instskip(SKIP_1) | instid1(SALU_CYCLE_1)
	s_and_not1_b32 s58, s58, exec_lo
	s_and_b32 s59, s61, exec_lo
	s_or_b32 s58, s58, s59
.LBB25_2956:                            ;   in Loop: Header=BB25_17 Depth=1
	s_or_b32 exec_lo, exec_lo, s57
	s_delay_alu instid0(SALU_CYCLE_1)
	s_and_b32 s57, s58, exec_lo
                                        ; implicit-def: $vgpr13
                                        ; implicit-def: $vgpr2_vgpr3
	s_and_not1_saveexec_b32 s45, s45
	s_cbranch_execz .LBB25_1233
.LBB25_2957:                            ;   in Loop: Header=BB25_17 Depth=1
	s_mov_b32 s58, exec_lo
                                        ; implicit-def: $vgpr0
	v_cmpx_lt_i16_e32 4, v13
	s_xor_b32 s58, exec_lo, s58
	s_cbranch_execz .LBB25_2979
; %bb.2958:                             ;   in Loop: Header=BB25_17 Depth=1
	s_mov_b32 s59, exec_lo
                                        ; implicit-def: $vgpr0
	v_cmpx_lt_i16_e32 7, v13
	s_xor_b32 s59, exec_lo, s59
	s_cbranch_execz .LBB25_2968
; %bb.2959:                             ;   in Loop: Header=BB25_17 Depth=1
	;; [unrolled: 6-line block ×4, first 2 shown]
	flat_load_b64 v[2:3], v[2:3]
	s_wait_loadcnt_dscnt 0x0
	v_cvt_f32_f64_e32 v0, v[2:3]
                                        ; implicit-def: $vgpr2_vgpr3
.LBB25_2962:                            ;   in Loop: Header=BB25_17 Depth=1
	s_wait_xcnt 0x0
	s_and_not1_saveexec_b32 s62, s62
	s_cbranch_execz .LBB25_2964
; %bb.2963:                             ;   in Loop: Header=BB25_17 Depth=1
	flat_load_b32 v0, v[2:3]
.LBB25_2964:                            ;   in Loop: Header=BB25_17 Depth=1
	s_wait_xcnt 0x0
	s_or_b32 exec_lo, exec_lo, s62
                                        ; implicit-def: $vgpr2_vgpr3
.LBB25_2965:                            ;   in Loop: Header=BB25_17 Depth=1
	s_and_not1_saveexec_b32 s61, s61
	s_cbranch_execz .LBB25_2967
; %bb.2966:                             ;   in Loop: Header=BB25_17 Depth=1
	s_wait_loadcnt_dscnt 0x0
	flat_load_b32 v0, v[2:3]
	s_wait_loadcnt_dscnt 0x0
	v_cvt_f32_f16_e32 v0, v0
.LBB25_2967:                            ;   in Loop: Header=BB25_17 Depth=1
	s_wait_xcnt 0x0
	s_or_b32 exec_lo, exec_lo, s61
                                        ; implicit-def: $vgpr2_vgpr3
                                        ; implicit-def: $vgpr13
.LBB25_2968:                            ;   in Loop: Header=BB25_17 Depth=1
	s_and_not1_saveexec_b32 s59, s59
	s_cbranch_execz .LBB25_2978
; %bb.2969:                             ;   in Loop: Header=BB25_17 Depth=1
	s_mov_b32 s61, exec_lo
                                        ; implicit-def: $vgpr0
	v_cmpx_lt_i16_e32 5, v13
	s_xor_b32 s61, exec_lo, s61
	s_cbranch_execz .LBB25_2975
; %bb.2970:                             ;   in Loop: Header=BB25_17 Depth=1
	s_mov_b32 s62, exec_lo
                                        ; implicit-def: $vgpr0
	v_cmpx_lt_i16_e32 6, v13
	s_xor_b32 s62, exec_lo, s62
	s_cbranch_execz .LBB25_2972
; %bb.2971:                             ;   in Loop: Header=BB25_17 Depth=1
	flat_load_b64 v[2:3], v[2:3]
	s_wait_loadcnt_dscnt 0x0
	v_cvt_f32_f64_e32 v0, v[2:3]
                                        ; implicit-def: $vgpr2_vgpr3
.LBB25_2972:                            ;   in Loop: Header=BB25_17 Depth=1
	s_wait_xcnt 0x0
	s_and_not1_saveexec_b32 s62, s62
	s_cbranch_execz .LBB25_2974
; %bb.2973:                             ;   in Loop: Header=BB25_17 Depth=1
	s_wait_loadcnt_dscnt 0x0
	flat_load_b32 v0, v[2:3]
.LBB25_2974:                            ;   in Loop: Header=BB25_17 Depth=1
	s_wait_xcnt 0x0
	s_or_b32 exec_lo, exec_lo, s62
                                        ; implicit-def: $vgpr2_vgpr3
.LBB25_2975:                            ;   in Loop: Header=BB25_17 Depth=1
	s_and_not1_saveexec_b32 s61, s61
	s_cbranch_execz .LBB25_2977
; %bb.2976:                             ;   in Loop: Header=BB25_17 Depth=1
	s_wait_loadcnt_dscnt 0x0
	flat_load_u16 v0, v[2:3]
	s_wait_loadcnt_dscnt 0x0
	v_cvt_f32_f16_e32 v0, v0
.LBB25_2977:                            ;   in Loop: Header=BB25_17 Depth=1
	s_wait_xcnt 0x0
	s_or_b32 exec_lo, exec_lo, s61
.LBB25_2978:                            ;   in Loop: Header=BB25_17 Depth=1
	s_delay_alu instid0(SALU_CYCLE_1)
	s_or_b32 exec_lo, exec_lo, s59
                                        ; implicit-def: $vgpr13
                                        ; implicit-def: $vgpr2_vgpr3
.LBB25_2979:                            ;   in Loop: Header=BB25_17 Depth=1
	s_and_not1_saveexec_b32 s58, s58
	s_cbranch_execz .LBB25_2997
; %bb.2980:                             ;   in Loop: Header=BB25_17 Depth=1
	s_mov_b32 s59, exec_lo
                                        ; implicit-def: $vgpr0
	v_cmpx_lt_i16_e32 1, v13
	s_xor_b32 s59, exec_lo, s59
	s_cbranch_execz .LBB25_2990
; %bb.2981:                             ;   in Loop: Header=BB25_17 Depth=1
	s_mov_b32 s61, exec_lo
                                        ; implicit-def: $vgpr0
	v_cmpx_lt_i16_e32 2, v13
	s_xor_b32 s61, exec_lo, s61
	;; [unrolled: 6-line block ×3, first 2 shown]
	s_cbranch_execz .LBB25_2984
; %bb.2983:                             ;   in Loop: Header=BB25_17 Depth=1
	flat_load_b64 v[2:3], v[2:3]
	s_wait_loadcnt_dscnt 0x0
	v_xor_b32_e32 v0, v2, v3
	v_cls_i32_e32 v13, v3
	s_delay_alu instid0(VALU_DEP_2) | instskip(NEXT) | instid1(VALU_DEP_1)
	v_ashrrev_i32_e32 v0, 31, v0
	v_add_nc_u32_e32 v0, 32, v0
	s_delay_alu instid0(VALU_DEP_1) | instskip(SKIP_1) | instid1(VALU_DEP_1)
	v_add_min_u32_e64 v0, v13, -1, v0
	s_wait_xcnt 0x0
	v_lshlrev_b64_e32 v[2:3], v0, v[2:3]
	v_sub_nc_u32_e32 v0, 32, v0
	s_delay_alu instid0(VALU_DEP_2) | instskip(NEXT) | instid1(VALU_DEP_1)
	v_min_u32_e32 v2, 1, v2
	v_or_b32_e32 v2, v3, v2
	s_delay_alu instid0(VALU_DEP_1) | instskip(NEXT) | instid1(VALU_DEP_1)
	v_cvt_f32_i32_e32 v2, v2
	v_ldexp_f32 v0, v2, v0
                                        ; implicit-def: $vgpr2_vgpr3
.LBB25_2984:                            ;   in Loop: Header=BB25_17 Depth=1
	s_and_not1_saveexec_b32 s62, s62
	s_cbranch_execz .LBB25_2986
; %bb.2985:                             ;   in Loop: Header=BB25_17 Depth=1
	s_wait_loadcnt_dscnt 0x0
	flat_load_b32 v0, v[2:3]
	s_wait_loadcnt_dscnt 0x0
	v_cvt_f32_i32_e32 v0, v0
.LBB25_2986:                            ;   in Loop: Header=BB25_17 Depth=1
	s_wait_xcnt 0x0
	s_or_b32 exec_lo, exec_lo, s62
                                        ; implicit-def: $vgpr2_vgpr3
.LBB25_2987:                            ;   in Loop: Header=BB25_17 Depth=1
	s_and_not1_saveexec_b32 s61, s61
	s_cbranch_execz .LBB25_2989
; %bb.2988:                             ;   in Loop: Header=BB25_17 Depth=1
	s_wait_loadcnt_dscnt 0x0
	flat_load_i16 v0, v[2:3]
	s_wait_loadcnt_dscnt 0x0
	v_cvt_f32_i32_e32 v0, v0
.LBB25_2989:                            ;   in Loop: Header=BB25_17 Depth=1
	s_wait_xcnt 0x0
	s_or_b32 exec_lo, exec_lo, s61
                                        ; implicit-def: $vgpr2_vgpr3
                                        ; implicit-def: $vgpr13
.LBB25_2990:                            ;   in Loop: Header=BB25_17 Depth=1
	s_and_not1_saveexec_b32 s59, s59
	s_cbranch_execz .LBB25_2996
; %bb.2991:                             ;   in Loop: Header=BB25_17 Depth=1
	s_mov_b32 s61, exec_lo
                                        ; implicit-def: $vgpr0
	v_cmpx_lt_i16_e32 0, v13
	s_xor_b32 s61, exec_lo, s61
	s_cbranch_execz .LBB25_2993
; %bb.2992:                             ;   in Loop: Header=BB25_17 Depth=1
	s_wait_loadcnt_dscnt 0x0
	flat_load_i8 v0, v[2:3]
                                        ; implicit-def: $vgpr2_vgpr3
	s_wait_loadcnt_dscnt 0x0
	v_cvt_f32_i32_e32 v0, v0
.LBB25_2993:                            ;   in Loop: Header=BB25_17 Depth=1
	s_wait_xcnt 0x0
	s_and_not1_saveexec_b32 s61, s61
	s_cbranch_execz .LBB25_2995
; %bb.2994:                             ;   in Loop: Header=BB25_17 Depth=1
	s_wait_loadcnt_dscnt 0x0
	flat_load_u8 v0, v[2:3]
	s_wait_loadcnt_dscnt 0x0
	v_cvt_f32_ubyte0_e32 v0, v0
.LBB25_2995:                            ;   in Loop: Header=BB25_17 Depth=1
	s_wait_xcnt 0x0
	s_or_b32 exec_lo, exec_lo, s61
.LBB25_2996:                            ;   in Loop: Header=BB25_17 Depth=1
	s_delay_alu instid0(SALU_CYCLE_1)
	s_or_b32 exec_lo, exec_lo, s59
.LBB25_2997:                            ;   in Loop: Header=BB25_17 Depth=1
	s_delay_alu instid0(SALU_CYCLE_1) | instskip(NEXT) | instid1(SALU_CYCLE_1)
	s_or_b32 exec_lo, exec_lo, s58
	s_or_b32 s57, s57, exec_lo
	s_or_b32 exec_lo, exec_lo, s45
	s_mov_b32 s58, 0
	s_and_saveexec_b32 s45, s57
	s_cbranch_execnz .LBB25_1234
	s_branch .LBB25_1235
.LBB25_2998:                            ;   in Loop: Header=BB25_17 Depth=1
	s_mov_b32 s29, -1
	s_mov_b32 s41, exec_lo
	v_cmpx_eq_u16_e32 0x80, v2
; %bb.2999:                             ;   in Loop: Header=BB25_17 Depth=1
	s_xor_b32 s29, exec_lo, -1
; %bb.3000:                             ;   in Loop: Header=BB25_17 Depth=1
	s_or_b32 exec_lo, exec_lo, s41
	s_delay_alu instid0(SALU_CYCLE_1)
	s_and_b32 s29, s29, exec_lo
	s_or_saveexec_b32 s40, s40
	v_mov_b32_e32 v0, 0x7f800001
	s_xor_b32 exec_lo, exec_lo, s40
	s_cbranch_execz .LBB25_2356
.LBB25_3001:                            ;   in Loop: Header=BB25_17 Depth=1
	v_cmp_ne_u16_e32 vcc_lo, 0, v2
	v_mov_b32_e32 v0, 0
	s_and_not1_b32 s29, s29, exec_lo
	s_and_b32 s41, vcc_lo, exec_lo
	s_delay_alu instid0(SALU_CYCLE_1)
	s_or_b32 s29, s29, s41
	s_or_b32 exec_lo, exec_lo, s40
	s_and_saveexec_b32 s40, s29
	s_cbranch_execnz .LBB25_2357
	s_branch .LBB25_2358
.LBB25_3002:                            ;   in Loop: Header=BB25_17 Depth=1
	s_mov_b32 s41, -1
	s_mov_b32 s43, exec_lo
	v_cmpx_eq_u16_e32 0x80, v2
; %bb.3003:                             ;   in Loop: Header=BB25_17 Depth=1
	s_xor_b32 s41, exec_lo, -1
; %bb.3004:                             ;   in Loop: Header=BB25_17 Depth=1
	s_or_b32 exec_lo, exec_lo, s43
	s_delay_alu instid0(SALU_CYCLE_1)
	s_and_b32 s41, s41, exec_lo
	s_or_saveexec_b32 s42, s42
	v_mov_b32_e32 v0, 0x7f800001
	s_xor_b32 exec_lo, exec_lo, s42
	s_cbranch_execz .LBB25_2461
.LBB25_3005:                            ;   in Loop: Header=BB25_17 Depth=1
	v_cmp_ne_u16_e32 vcc_lo, 0, v2
	v_mov_b32_e32 v0, 0
	s_and_not1_b32 s41, s41, exec_lo
	s_and_b32 s43, vcc_lo, exec_lo
	s_delay_alu instid0(SALU_CYCLE_1)
	s_or_b32 s41, s41, s43
	s_or_b32 exec_lo, exec_lo, s42
	s_and_saveexec_b32 s42, s41
	s_cbranch_execnz .LBB25_2462
	s_branch .LBB25_2463
.LBB25_3006:                            ;   in Loop: Header=BB25_17 Depth=1
	s_mov_b32 s43, -1
	s_mov_b32 s45, exec_lo
	v_cmpx_eq_u16_e32 0x80, v2
; %bb.3007:                             ;   in Loop: Header=BB25_17 Depth=1
	s_xor_b32 s43, exec_lo, -1
; %bb.3008:                             ;   in Loop: Header=BB25_17 Depth=1
	s_or_b32 exec_lo, exec_lo, s45
	s_delay_alu instid0(SALU_CYCLE_1)
	s_and_b32 s43, s43, exec_lo
	s_or_saveexec_b32 s44, s44
	v_mov_b32_e32 v0, 0x7f800001
	s_xor_b32 exec_lo, exec_lo, s44
	s_cbranch_execz .LBB25_834
.LBB25_3009:                            ;   in Loop: Header=BB25_17 Depth=1
	v_cmp_ne_u16_e32 vcc_lo, 0, v2
	v_mov_b32_e32 v0, 0
	s_and_not1_b32 s43, s43, exec_lo
	s_and_b32 s45, vcc_lo, exec_lo
	s_delay_alu instid0(SALU_CYCLE_1)
	s_or_b32 s43, s43, s45
	s_or_b32 exec_lo, exec_lo, s44
	s_and_saveexec_b32 s44, s43
	s_cbranch_execnz .LBB25_835
	s_branch .LBB25_836
.LBB25_3010:                            ;   in Loop: Header=BB25_17 Depth=1
	s_mov_b32 s45, -1
	s_mov_b32 s47, exec_lo
	v_cmpx_eq_u16_e32 0x80, v2
; %bb.3011:                             ;   in Loop: Header=BB25_17 Depth=1
	s_xor_b32 s45, exec_lo, -1
; %bb.3012:                             ;   in Loop: Header=BB25_17 Depth=1
	s_or_b32 exec_lo, exec_lo, s47
	s_delay_alu instid0(SALU_CYCLE_1)
	s_and_b32 s45, s45, exec_lo
	s_or_saveexec_b32 s46, s46
	v_mov_b32_e32 v0, 0x7f800001
	s_xor_b32 exec_lo, exec_lo, s46
	s_cbranch_execz .LBB25_934
.LBB25_3013:                            ;   in Loop: Header=BB25_17 Depth=1
	v_cmp_ne_u16_e32 vcc_lo, 0, v2
	v_mov_b32_e32 v0, 0
	s_and_not1_b32 s45, s45, exec_lo
	s_and_b32 s47, vcc_lo, exec_lo
	s_delay_alu instid0(SALU_CYCLE_1)
	s_or_b32 s45, s45, s47
	s_or_b32 exec_lo, exec_lo, s46
	s_and_saveexec_b32 s46, s45
	s_cbranch_execnz .LBB25_935
	s_branch .LBB25_936
.LBB25_3014:                            ;   in Loop: Header=BB25_17 Depth=1
	s_mov_b32 s61, exec_lo
                                        ; implicit-def: $vgpr0
	v_cmpx_lt_i16_e32 25, v13
	s_xor_b32 s61, exec_lo, s61
	s_cbranch_execz .LBB25_3046
; %bb.3015:                             ;   in Loop: Header=BB25_17 Depth=1
	s_mov_b32 s63, exec_lo
                                        ; implicit-def: $vgpr0
	v_cmpx_lt_i16_e32 28, v13
	s_xor_b32 s63, exec_lo, s63
	s_cbranch_execz .LBB25_3031
; %bb.3016:                             ;   in Loop: Header=BB25_17 Depth=1
	s_mov_b32 s72, 0
	s_mov_b32 s62, exec_lo
                                        ; implicit-def: $vgpr0
	v_cmpx_lt_i16_e32 43, v13
	s_xor_b32 s62, exec_lo, s62
	s_cbranch_execz .LBB25_3026
; %bb.3017:                             ;   in Loop: Header=BB25_17 Depth=1
	s_mov_b32 s73, exec_lo
                                        ; implicit-def: $vgpr0
	v_cmpx_lt_i16_e32 45, v13
	s_xor_b32 s73, exec_lo, s73
	s_cbranch_execz .LBB25_3021
; %bb.3018:                             ;   in Loop: Header=BB25_17 Depth=1
	s_mov_b32 s74, exec_lo
                                        ; implicit-def: $vgpr0
	v_cmpx_eq_u16_e32 46, v13
	s_cbranch_execz .LBB25_3020
; %bb.3019:                             ;   in Loop: Header=BB25_17 Depth=1
	flat_load_b32 v0, v[2:3]
	s_mov_b32 s72, exec_lo
	s_wait_loadcnt_dscnt 0x0
	v_lshlrev_b32_e32 v0, 16, v0
.LBB25_3020:                            ;   in Loop: Header=BB25_17 Depth=1
	s_wait_xcnt 0x0
	s_or_b32 exec_lo, exec_lo, s74
	s_delay_alu instid0(SALU_CYCLE_1)
	s_and_b32 s72, s72, exec_lo
                                        ; implicit-def: $vgpr13
                                        ; implicit-def: $vgpr2_vgpr3
.LBB25_3021:                            ;   in Loop: Header=BB25_17 Depth=1
	s_and_not1_saveexec_b32 s73, s73
	s_cbranch_execz .LBB25_3025
; %bb.3022:                             ;   in Loop: Header=BB25_17 Depth=1
	s_mov_b32 s75, s72
	s_mov_b32 s74, exec_lo
                                        ; implicit-def: $vgpr0
	v_cmpx_eq_u16_e32 44, v13
	s_cbranch_execz .LBB25_3024
; %bb.3023:                             ;   in Loop: Header=BB25_17 Depth=1
	flat_load_u8 v0, v[2:3]
	s_or_b32 s75, s72, exec_lo
	s_wait_loadcnt_dscnt 0x0
	v_lshlrev_b32_e32 v2, 23, v0
	v_cmp_ne_u32_e32 vcc_lo, 0xff, v0
	s_delay_alu instid0(VALU_DEP_2) | instskip(SKIP_1) | instid1(VALU_DEP_2)
	v_cndmask_b32_e32 v2, 0x7f800001, v2, vcc_lo
	v_cmp_ne_u32_e32 vcc_lo, 0, v0
	v_cndmask_b32_e32 v0, 0x400000, v2, vcc_lo
.LBB25_3024:                            ;   in Loop: Header=BB25_17 Depth=1
	s_or_b32 exec_lo, exec_lo, s74
	s_delay_alu instid0(SALU_CYCLE_1) | instskip(SKIP_1) | instid1(SALU_CYCLE_1)
	s_and_not1_b32 s72, s72, exec_lo
	s_and_b32 s74, s75, exec_lo
	s_or_b32 s72, s72, s74
.LBB25_3025:                            ;   in Loop: Header=BB25_17 Depth=1
	s_or_b32 exec_lo, exec_lo, s73
	s_delay_alu instid0(SALU_CYCLE_1)
	s_and_b32 s72, s72, exec_lo
                                        ; implicit-def: $vgpr13
                                        ; implicit-def: $vgpr2_vgpr3
.LBB25_3026:                            ;   in Loop: Header=BB25_17 Depth=1
	s_and_not1_saveexec_b32 s62, s62
	s_cbranch_execz .LBB25_3030
; %bb.3027:                             ;   in Loop: Header=BB25_17 Depth=1
	s_mov_b32 s74, s72
	s_mov_b32 s73, exec_lo
                                        ; implicit-def: $vgpr0
	v_cmpx_eq_u16_e32 29, v13
	s_cbranch_execz .LBB25_3029
; %bb.3028:                             ;   in Loop: Header=BB25_17 Depth=1
	flat_load_b64 v[2:3], v[2:3]
	s_or_b32 s74, s72, exec_lo
	s_wait_loadcnt_dscnt 0x0
	v_clz_i32_u32_e32 v0, v3
	s_delay_alu instid0(VALU_DEP_1) | instskip(SKIP_1) | instid1(VALU_DEP_1)
	v_min_u32_e32 v0, 32, v0
	s_wait_xcnt 0x0
	v_lshlrev_b64_e32 v[2:3], v0, v[2:3]
	v_sub_nc_u32_e32 v0, 32, v0
	s_delay_alu instid0(VALU_DEP_2) | instskip(NEXT) | instid1(VALU_DEP_1)
	v_min_u32_e32 v2, 1, v2
	v_or_b32_e32 v2, v3, v2
	s_delay_alu instid0(VALU_DEP_1) | instskip(NEXT) | instid1(VALU_DEP_1)
	v_cvt_f32_u32_e32 v2, v2
	v_ldexp_f32 v0, v2, v0
.LBB25_3029:                            ;   in Loop: Header=BB25_17 Depth=1
	s_or_b32 exec_lo, exec_lo, s73
	s_delay_alu instid0(SALU_CYCLE_1) | instskip(SKIP_1) | instid1(SALU_CYCLE_1)
	s_and_not1_b32 s72, s72, exec_lo
	s_and_b32 s73, s74, exec_lo
	s_or_b32 s72, s72, s73
.LBB25_3030:                            ;   in Loop: Header=BB25_17 Depth=1
	s_or_b32 exec_lo, exec_lo, s62
	s_delay_alu instid0(SALU_CYCLE_1)
	s_and_b32 s62, s72, exec_lo
                                        ; implicit-def: $vgpr13
                                        ; implicit-def: $vgpr2_vgpr3
.LBB25_3031:                            ;   in Loop: Header=BB25_17 Depth=1
	s_and_not1_saveexec_b32 s63, s63
	s_cbranch_execz .LBB25_3045
; %bb.3032:                             ;   in Loop: Header=BB25_17 Depth=1
	s_mov_b32 s72, exec_lo
                                        ; implicit-def: $vgpr0
	v_cmpx_lt_i16_e32 26, v13
	s_xor_b32 s72, exec_lo, s72
	s_cbranch_execz .LBB25_3038
; %bb.3033:                             ;   in Loop: Header=BB25_17 Depth=1
	s_mov_b32 s73, exec_lo
                                        ; implicit-def: $vgpr0
	v_cmpx_lt_i16_e32 27, v13
	s_xor_b32 s73, exec_lo, s73
	s_cbranch_execz .LBB25_3035
; %bb.3034:                             ;   in Loop: Header=BB25_17 Depth=1
	flat_load_b32 v0, v[2:3]
                                        ; implicit-def: $vgpr2_vgpr3
	s_wait_loadcnt_dscnt 0x0
	v_cvt_f32_u32_e32 v0, v0
.LBB25_3035:                            ;   in Loop: Header=BB25_17 Depth=1
	s_wait_xcnt 0x0
	s_and_not1_saveexec_b32 s73, s73
	s_cbranch_execz .LBB25_3037
; %bb.3036:                             ;   in Loop: Header=BB25_17 Depth=1
	flat_load_u16 v0, v[2:3]
	s_wait_loadcnt_dscnt 0x0
	v_cvt_f32_u32_e32 v0, v0
.LBB25_3037:                            ;   in Loop: Header=BB25_17 Depth=1
	s_wait_xcnt 0x0
	s_or_b32 exec_lo, exec_lo, s73
                                        ; implicit-def: $vgpr2_vgpr3
.LBB25_3038:                            ;   in Loop: Header=BB25_17 Depth=1
	s_and_not1_saveexec_b32 s72, s72
	s_cbranch_execz .LBB25_3044
; %bb.3039:                             ;   in Loop: Header=BB25_17 Depth=1
	flat_load_u8 v2, v[2:3]
	s_mov_b32 s73, 0
	s_mov_b32 s74, exec_lo
	s_wait_loadcnt_dscnt 0x0
	v_cmpx_lt_i16_e32 0x7f, v2
	s_xor_b32 s74, exec_lo, s74
	s_cbranch_execnz .LBB25_3582
; %bb.3040:                             ;   in Loop: Header=BB25_17 Depth=1
	s_or_saveexec_b32 s74, s74
	v_mov_b32_e32 v0, 0x7f800001
	s_xor_b32 exec_lo, exec_lo, s74
	s_cbranch_execnz .LBB25_3585
.LBB25_3041:                            ;   in Loop: Header=BB25_17 Depth=1
	s_or_b32 exec_lo, exec_lo, s74
	s_and_saveexec_b32 s74, s73
	s_cbranch_execz .LBB25_3043
.LBB25_3042:                            ;   in Loop: Header=BB25_17 Depth=1
	v_and_b32_e32 v0, 0xffff, v2
	s_delay_alu instid0(VALU_DEP_1) | instskip(SKIP_1) | instid1(VALU_DEP_2)
	v_and_b32_e32 v3, 7, v0
	v_bfe_u32 v15, v0, 3, 4
	v_clz_i32_u32_e32 v13, v3
	s_delay_alu instid0(VALU_DEP_2) | instskip(NEXT) | instid1(VALU_DEP_2)
	v_cmp_eq_u32_e32 vcc_lo, 0, v15
	v_min_u32_e32 v13, 32, v13
	s_delay_alu instid0(VALU_DEP_1) | instskip(NEXT) | instid1(VALU_DEP_1)
	v_subrev_nc_u32_e32 v14, 28, v13
	v_dual_lshlrev_b32 v0, v14, v0 :: v_dual_sub_nc_u32 v13, 29, v13
	s_delay_alu instid0(VALU_DEP_1) | instskip(NEXT) | instid1(VALU_DEP_2)
	v_dual_lshlrev_b32 v2, 24, v2 :: v_dual_bitop2_b32 v0, 7, v0 bitop3:0x40
	v_cndmask_b32_e32 v13, v15, v13, vcc_lo
	s_delay_alu instid0(VALU_DEP_2) | instskip(NEXT) | instid1(VALU_DEP_3)
	v_cndmask_b32_e32 v0, v3, v0, vcc_lo
	v_and_b32_e32 v2, 0x80000000, v2
	s_delay_alu instid0(VALU_DEP_3) | instskip(NEXT) | instid1(VALU_DEP_3)
	v_lshl_add_u32 v3, v13, 23, 0x3b800000
	v_lshlrev_b32_e32 v0, 20, v0
	s_delay_alu instid0(VALU_DEP_1)
	v_or3_b32 v0, v2, v3, v0
.LBB25_3043:                            ;   in Loop: Header=BB25_17 Depth=1
	s_or_b32 exec_lo, exec_lo, s74
.LBB25_3044:                            ;   in Loop: Header=BB25_17 Depth=1
	s_delay_alu instid0(SALU_CYCLE_1) | instskip(NEXT) | instid1(SALU_CYCLE_1)
	s_or_b32 exec_lo, exec_lo, s72
	s_or_b32 s62, s62, exec_lo
.LBB25_3045:                            ;   in Loop: Header=BB25_17 Depth=1
	s_or_b32 exec_lo, exec_lo, s63
	s_delay_alu instid0(SALU_CYCLE_1)
	s_and_b32 s62, s62, exec_lo
                                        ; implicit-def: $vgpr13
                                        ; implicit-def: $vgpr2_vgpr3
.LBB25_3046:                            ;   in Loop: Header=BB25_17 Depth=1
	s_and_not1_saveexec_b32 s61, s61
	s_cbranch_execz .LBB25_3072
; %bb.3047:                             ;   in Loop: Header=BB25_17 Depth=1
	s_mov_b32 s72, s62
	s_mov_b32 s63, exec_lo
                                        ; implicit-def: $vgpr0
	v_cmpx_lt_i16_e32 22, v13
	s_xor_b32 s63, exec_lo, s63
	s_cbranch_execz .LBB25_3061
; %bb.3048:                             ;   in Loop: Header=BB25_17 Depth=1
	s_mov_b32 s72, exec_lo
                                        ; implicit-def: $vgpr0
	v_cmpx_lt_i16_e32 23, v13
	s_xor_b32 s72, exec_lo, s72
	s_cbranch_execz .LBB25_3058
; %bb.3049:                             ;   in Loop: Header=BB25_17 Depth=1
	;; [unrolled: 6-line block ×3, first 2 shown]
	flat_load_u8 v2, v[2:3]
	s_mov_b32 s74, 0
	s_mov_b32 s75, exec_lo
	s_wait_loadcnt_dscnt 0x0
	v_cmpx_lt_i16_e32 0x7f, v2
	s_xor_b32 s75, exec_lo, s75
	s_cbranch_execnz .LBB25_3594
; %bb.3051:                             ;   in Loop: Header=BB25_17 Depth=1
	s_or_saveexec_b32 s75, s75
	v_mov_b32_e32 v0, 0x7f800001
	s_xor_b32 exec_lo, exec_lo, s75
	s_cbranch_execnz .LBB25_3597
.LBB25_3052:                            ;   in Loop: Header=BB25_17 Depth=1
	s_or_b32 exec_lo, exec_lo, s75
	s_and_saveexec_b32 s75, s74
	s_cbranch_execz .LBB25_3054
.LBB25_3053:                            ;   in Loop: Header=BB25_17 Depth=1
	v_and_b32_e32 v0, 0xffff, v2
	s_delay_alu instid0(VALU_DEP_1) | instskip(SKIP_1) | instid1(VALU_DEP_2)
	v_and_b32_e32 v3, 3, v0
	v_bfe_u32 v15, v0, 2, 5
	v_clz_i32_u32_e32 v13, v3
	s_delay_alu instid0(VALU_DEP_2) | instskip(NEXT) | instid1(VALU_DEP_2)
	v_cmp_eq_u32_e32 vcc_lo, 0, v15
	v_min_u32_e32 v13, 32, v13
	s_delay_alu instid0(VALU_DEP_1) | instskip(NEXT) | instid1(VALU_DEP_1)
	v_subrev_nc_u32_e32 v14, 29, v13
	v_dual_lshlrev_b32 v0, v14, v0 :: v_dual_sub_nc_u32 v13, 30, v13
	s_delay_alu instid0(VALU_DEP_1) | instskip(NEXT) | instid1(VALU_DEP_2)
	v_dual_lshlrev_b32 v2, 24, v2 :: v_dual_bitop2_b32 v0, 3, v0 bitop3:0x40
	v_cndmask_b32_e32 v13, v15, v13, vcc_lo
	s_delay_alu instid0(VALU_DEP_2) | instskip(NEXT) | instid1(VALU_DEP_3)
	v_cndmask_b32_e32 v0, v3, v0, vcc_lo
	v_and_b32_e32 v2, 0x80000000, v2
	s_delay_alu instid0(VALU_DEP_3) | instskip(NEXT) | instid1(VALU_DEP_3)
	v_lshl_add_u32 v3, v13, 23, 0x37800000
	v_lshlrev_b32_e32 v0, 21, v0
	s_delay_alu instid0(VALU_DEP_1)
	v_or3_b32 v0, v2, v3, v0
.LBB25_3054:                            ;   in Loop: Header=BB25_17 Depth=1
	s_or_b32 exec_lo, exec_lo, s75
                                        ; implicit-def: $vgpr2_vgpr3
.LBB25_3055:                            ;   in Loop: Header=BB25_17 Depth=1
	s_and_not1_saveexec_b32 s73, s73
	s_cbranch_execz .LBB25_3057
; %bb.3056:                             ;   in Loop: Header=BB25_17 Depth=1
	flat_load_u8 v0, v[2:3]
	s_wait_loadcnt_dscnt 0x0
	v_lshlrev_b32_e32 v0, 24, v0
	s_wait_xcnt 0x0
	s_delay_alu instid0(VALU_DEP_1) | instskip(NEXT) | instid1(VALU_DEP_1)
	v_and_b32_e32 v2, 0x7f000000, v0
	v_clz_i32_u32_e32 v3, v2
	v_add_nc_u32_e32 v14, 0x1000000, v2
	v_cmp_ne_u32_e32 vcc_lo, 0, v2
	s_delay_alu instid0(VALU_DEP_3) | instskip(NEXT) | instid1(VALU_DEP_1)
	v_min_u32_e32 v3, 32, v3
	v_sub_nc_u32_e64 v3, v3, 4 clamp
	s_delay_alu instid0(VALU_DEP_1) | instskip(NEXT) | instid1(VALU_DEP_1)
	v_dual_lshlrev_b32 v13, v3, v2 :: v_dual_lshlrev_b32 v3, 23, v3
	v_lshrrev_b32_e32 v13, 4, v13
	s_delay_alu instid0(VALU_DEP_1) | instskip(NEXT) | instid1(VALU_DEP_1)
	v_dual_sub_nc_u32 v3, v13, v3 :: v_dual_ashrrev_i32 v13, 8, v14
	v_add_nc_u32_e32 v3, 0x3c000000, v3
	s_delay_alu instid0(VALU_DEP_1) | instskip(NEXT) | instid1(VALU_DEP_1)
	v_and_or_b32 v3, 0x7f800000, v13, v3
	v_cndmask_b32_e32 v2, 0, v3, vcc_lo
	s_delay_alu instid0(VALU_DEP_1)
	v_and_or_b32 v0, 0x80000000, v0, v2
.LBB25_3057:                            ;   in Loop: Header=BB25_17 Depth=1
	s_or_b32 exec_lo, exec_lo, s73
                                        ; implicit-def: $vgpr2_vgpr3
.LBB25_3058:                            ;   in Loop: Header=BB25_17 Depth=1
	s_and_not1_saveexec_b32 s72, s72
	s_cbranch_execz .LBB25_3060
; %bb.3059:                             ;   in Loop: Header=BB25_17 Depth=1
	flat_load_u8 v0, v[2:3]
	s_wait_loadcnt_dscnt 0x0
	v_lshlrev_b32_e32 v2, 25, v0
	v_lshlrev_b16 v0, 8, v0
	s_delay_alu instid0(VALU_DEP_1) | instskip(SKIP_1) | instid1(VALU_DEP_2)
	v_and_or_b32 v13, 0x7f00, v0, 0.5
	v_bfe_i32 v0, v0, 0, 16
	v_dual_add_f32 v13, -0.5, v13 :: v_dual_lshrrev_b32 v3, 4, v2
	v_cmp_gt_u32_e32 vcc_lo, 0x8000000, v2
	s_delay_alu instid0(VALU_DEP_2) | instskip(NEXT) | instid1(VALU_DEP_1)
	v_or_b32_e32 v3, 0x70000000, v3
	v_mul_f32_e32 v3, 0x7800000, v3
	s_delay_alu instid0(VALU_DEP_1) | instskip(NEXT) | instid1(VALU_DEP_1)
	v_cndmask_b32_e32 v2, v3, v13, vcc_lo
	v_and_or_b32 v0, 0x80000000, v0, v2
.LBB25_3060:                            ;   in Loop: Header=BB25_17 Depth=1
	s_or_b32 exec_lo, exec_lo, s72
	s_delay_alu instid0(SALU_CYCLE_1)
	s_or_b32 s72, s62, exec_lo
                                        ; implicit-def: $vgpr13
                                        ; implicit-def: $vgpr2_vgpr3
.LBB25_3061:                            ;   in Loop: Header=BB25_17 Depth=1
	s_and_not1_saveexec_b32 s63, s63
	s_cbranch_execz .LBB25_3071
; %bb.3062:                             ;   in Loop: Header=BB25_17 Depth=1
	s_mov_b32 s73, s72
	s_mov_b32 s74, exec_lo
                                        ; implicit-def: $vgpr0
	v_cmpx_lt_i16_e32 14, v13
	s_xor_b32 s74, exec_lo, s74
	s_cbranch_execz .LBB25_3066
; %bb.3063:                             ;   in Loop: Header=BB25_17 Depth=1
	s_mov_b32 s73, s72
	s_mov_b32 s75, exec_lo
                                        ; implicit-def: $vgpr0
	v_cmpx_eq_u16_e32 15, v13
	s_cbranch_execz .LBB25_3065
; %bb.3064:                             ;   in Loop: Header=BB25_17 Depth=1
	flat_load_u16 v0, v[2:3]
	s_or_b32 s73, s72, exec_lo
	s_wait_loadcnt_dscnt 0x0
	v_lshlrev_b32_e32 v0, 16, v0
.LBB25_3065:                            ;   in Loop: Header=BB25_17 Depth=1
	s_wait_xcnt 0x0
	s_or_b32 exec_lo, exec_lo, s75
	s_delay_alu instid0(SALU_CYCLE_1) | instskip(SKIP_1) | instid1(SALU_CYCLE_1)
	s_and_not1_b32 s75, s72, exec_lo
	s_and_b32 s73, s73, exec_lo
                                        ; implicit-def: $vgpr13
                                        ; implicit-def: $vgpr2_vgpr3
	s_or_b32 s73, s75, s73
.LBB25_3066:                            ;   in Loop: Header=BB25_17 Depth=1
	s_and_not1_saveexec_b32 s74, s74
	s_cbranch_execz .LBB25_3070
; %bb.3067:                             ;   in Loop: Header=BB25_17 Depth=1
	s_mov_b32 s75, s73
	s_mov_b32 s76, exec_lo
                                        ; implicit-def: $vgpr0
	v_cmpx_eq_u16_e32 11, v13
	s_cbranch_execz .LBB25_3069
; %bb.3068:                             ;   in Loop: Header=BB25_17 Depth=1
	flat_load_u8 v0, v[2:3]
	s_or_b32 s75, s73, exec_lo
	s_wait_loadcnt_dscnt 0x0
	v_cmp_ne_u16_e32 vcc_lo, 0, v0
	v_cndmask_b32_e64 v0, 0, 1.0, vcc_lo
.LBB25_3069:                            ;   in Loop: Header=BB25_17 Depth=1
	s_wait_xcnt 0x0
	s_or_b32 exec_lo, exec_lo, s76
	s_delay_alu instid0(SALU_CYCLE_1) | instskip(SKIP_1) | instid1(SALU_CYCLE_1)
	s_and_not1_b32 s73, s73, exec_lo
	s_and_b32 s75, s75, exec_lo
	s_or_b32 s73, s73, s75
.LBB25_3070:                            ;   in Loop: Header=BB25_17 Depth=1
	s_or_b32 exec_lo, exec_lo, s74
	s_delay_alu instid0(SALU_CYCLE_1) | instskip(SKIP_1) | instid1(SALU_CYCLE_1)
	s_and_not1_b32 s72, s72, exec_lo
	s_and_b32 s73, s73, exec_lo
	s_or_b32 s72, s72, s73
.LBB25_3071:                            ;   in Loop: Header=BB25_17 Depth=1
	s_or_b32 exec_lo, exec_lo, s63
	s_delay_alu instid0(SALU_CYCLE_1) | instskip(SKIP_1) | instid1(SALU_CYCLE_1)
	s_and_not1_b32 s62, s62, exec_lo
	s_and_b32 s63, s72, exec_lo
	s_or_b32 s62, s62, s63
.LBB25_3072:                            ;   in Loop: Header=BB25_17 Depth=1
	s_or_b32 exec_lo, exec_lo, s61
	s_delay_alu instid0(SALU_CYCLE_1)
	s_and_b32 s61, s62, exec_lo
                                        ; implicit-def: $vgpr13
                                        ; implicit-def: $vgpr2_vgpr3
	s_and_not1_saveexec_b32 s56, s56
	s_cbranch_execz .LBB25_1344
.LBB25_3073:                            ;   in Loop: Header=BB25_17 Depth=1
	s_mov_b32 s62, exec_lo
                                        ; implicit-def: $vgpr0
	v_cmpx_lt_i16_e32 4, v13
	s_xor_b32 s62, exec_lo, s62
	s_cbranch_execz .LBB25_3095
; %bb.3074:                             ;   in Loop: Header=BB25_17 Depth=1
	s_mov_b32 s63, exec_lo
                                        ; implicit-def: $vgpr0
	v_cmpx_lt_i16_e32 7, v13
	s_xor_b32 s63, exec_lo, s63
	s_cbranch_execz .LBB25_3084
; %bb.3075:                             ;   in Loop: Header=BB25_17 Depth=1
	;; [unrolled: 6-line block ×4, first 2 shown]
	flat_load_b64 v[2:3], v[2:3]
	s_wait_loadcnt_dscnt 0x0
	v_cvt_f32_f64_e32 v0, v[2:3]
                                        ; implicit-def: $vgpr2_vgpr3
.LBB25_3078:                            ;   in Loop: Header=BB25_17 Depth=1
	s_wait_xcnt 0x0
	s_and_not1_saveexec_b32 s73, s73
	s_cbranch_execz .LBB25_3080
; %bb.3079:                             ;   in Loop: Header=BB25_17 Depth=1
	flat_load_b32 v0, v[2:3]
.LBB25_3080:                            ;   in Loop: Header=BB25_17 Depth=1
	s_wait_xcnt 0x0
	s_or_b32 exec_lo, exec_lo, s73
                                        ; implicit-def: $vgpr2_vgpr3
.LBB25_3081:                            ;   in Loop: Header=BB25_17 Depth=1
	s_and_not1_saveexec_b32 s72, s72
	s_cbranch_execz .LBB25_3083
; %bb.3082:                             ;   in Loop: Header=BB25_17 Depth=1
	s_wait_loadcnt_dscnt 0x0
	flat_load_b32 v0, v[2:3]
	s_wait_loadcnt_dscnt 0x0
	v_cvt_f32_f16_e32 v0, v0
.LBB25_3083:                            ;   in Loop: Header=BB25_17 Depth=1
	s_wait_xcnt 0x0
	s_or_b32 exec_lo, exec_lo, s72
                                        ; implicit-def: $vgpr2_vgpr3
                                        ; implicit-def: $vgpr13
.LBB25_3084:                            ;   in Loop: Header=BB25_17 Depth=1
	s_and_not1_saveexec_b32 s63, s63
	s_cbranch_execz .LBB25_3094
; %bb.3085:                             ;   in Loop: Header=BB25_17 Depth=1
	s_mov_b32 s72, exec_lo
                                        ; implicit-def: $vgpr0
	v_cmpx_lt_i16_e32 5, v13
	s_xor_b32 s72, exec_lo, s72
	s_cbranch_execz .LBB25_3091
; %bb.3086:                             ;   in Loop: Header=BB25_17 Depth=1
	s_mov_b32 s73, exec_lo
                                        ; implicit-def: $vgpr0
	v_cmpx_lt_i16_e32 6, v13
	s_xor_b32 s73, exec_lo, s73
	s_cbranch_execz .LBB25_3088
; %bb.3087:                             ;   in Loop: Header=BB25_17 Depth=1
	flat_load_b64 v[2:3], v[2:3]
	s_wait_loadcnt_dscnt 0x0
	v_cvt_f32_f64_e32 v0, v[2:3]
                                        ; implicit-def: $vgpr2_vgpr3
.LBB25_3088:                            ;   in Loop: Header=BB25_17 Depth=1
	s_wait_xcnt 0x0
	s_and_not1_saveexec_b32 s73, s73
	s_cbranch_execz .LBB25_3090
; %bb.3089:                             ;   in Loop: Header=BB25_17 Depth=1
	s_wait_loadcnt_dscnt 0x0
	flat_load_b32 v0, v[2:3]
.LBB25_3090:                            ;   in Loop: Header=BB25_17 Depth=1
	s_wait_xcnt 0x0
	s_or_b32 exec_lo, exec_lo, s73
                                        ; implicit-def: $vgpr2_vgpr3
.LBB25_3091:                            ;   in Loop: Header=BB25_17 Depth=1
	s_and_not1_saveexec_b32 s72, s72
	s_cbranch_execz .LBB25_3093
; %bb.3092:                             ;   in Loop: Header=BB25_17 Depth=1
	s_wait_loadcnt_dscnt 0x0
	flat_load_u16 v0, v[2:3]
	s_wait_loadcnt_dscnt 0x0
	v_cvt_f32_f16_e32 v0, v0
.LBB25_3093:                            ;   in Loop: Header=BB25_17 Depth=1
	s_wait_xcnt 0x0
	s_or_b32 exec_lo, exec_lo, s72
.LBB25_3094:                            ;   in Loop: Header=BB25_17 Depth=1
	s_delay_alu instid0(SALU_CYCLE_1)
	s_or_b32 exec_lo, exec_lo, s63
                                        ; implicit-def: $vgpr13
                                        ; implicit-def: $vgpr2_vgpr3
.LBB25_3095:                            ;   in Loop: Header=BB25_17 Depth=1
	s_and_not1_saveexec_b32 s62, s62
	s_cbranch_execz .LBB25_3113
; %bb.3096:                             ;   in Loop: Header=BB25_17 Depth=1
	s_mov_b32 s63, exec_lo
                                        ; implicit-def: $vgpr0
	v_cmpx_lt_i16_e32 1, v13
	s_xor_b32 s63, exec_lo, s63
	s_cbranch_execz .LBB25_3106
; %bb.3097:                             ;   in Loop: Header=BB25_17 Depth=1
	s_mov_b32 s72, exec_lo
                                        ; implicit-def: $vgpr0
	v_cmpx_lt_i16_e32 2, v13
	s_xor_b32 s72, exec_lo, s72
	;; [unrolled: 6-line block ×3, first 2 shown]
	s_cbranch_execz .LBB25_3100
; %bb.3099:                             ;   in Loop: Header=BB25_17 Depth=1
	flat_load_b64 v[2:3], v[2:3]
	s_wait_loadcnt_dscnt 0x0
	v_xor_b32_e32 v0, v2, v3
	v_cls_i32_e32 v13, v3
	s_delay_alu instid0(VALU_DEP_2) | instskip(NEXT) | instid1(VALU_DEP_1)
	v_ashrrev_i32_e32 v0, 31, v0
	v_add_nc_u32_e32 v0, 32, v0
	s_delay_alu instid0(VALU_DEP_1) | instskip(SKIP_1) | instid1(VALU_DEP_1)
	v_add_min_u32_e64 v0, v13, -1, v0
	s_wait_xcnt 0x0
	v_lshlrev_b64_e32 v[2:3], v0, v[2:3]
	v_sub_nc_u32_e32 v0, 32, v0
	s_delay_alu instid0(VALU_DEP_2) | instskip(NEXT) | instid1(VALU_DEP_1)
	v_min_u32_e32 v2, 1, v2
	v_or_b32_e32 v2, v3, v2
	s_delay_alu instid0(VALU_DEP_1) | instskip(NEXT) | instid1(VALU_DEP_1)
	v_cvt_f32_i32_e32 v2, v2
	v_ldexp_f32 v0, v2, v0
                                        ; implicit-def: $vgpr2_vgpr3
.LBB25_3100:                            ;   in Loop: Header=BB25_17 Depth=1
	s_and_not1_saveexec_b32 s73, s73
	s_cbranch_execz .LBB25_3102
; %bb.3101:                             ;   in Loop: Header=BB25_17 Depth=1
	s_wait_loadcnt_dscnt 0x0
	flat_load_b32 v0, v[2:3]
	s_wait_loadcnt_dscnt 0x0
	v_cvt_f32_i32_e32 v0, v0
.LBB25_3102:                            ;   in Loop: Header=BB25_17 Depth=1
	s_wait_xcnt 0x0
	s_or_b32 exec_lo, exec_lo, s73
                                        ; implicit-def: $vgpr2_vgpr3
.LBB25_3103:                            ;   in Loop: Header=BB25_17 Depth=1
	s_and_not1_saveexec_b32 s72, s72
	s_cbranch_execz .LBB25_3105
; %bb.3104:                             ;   in Loop: Header=BB25_17 Depth=1
	s_wait_loadcnt_dscnt 0x0
	flat_load_i16 v0, v[2:3]
	s_wait_loadcnt_dscnt 0x0
	v_cvt_f32_i32_e32 v0, v0
.LBB25_3105:                            ;   in Loop: Header=BB25_17 Depth=1
	s_wait_xcnt 0x0
	s_or_b32 exec_lo, exec_lo, s72
                                        ; implicit-def: $vgpr2_vgpr3
                                        ; implicit-def: $vgpr13
.LBB25_3106:                            ;   in Loop: Header=BB25_17 Depth=1
	s_and_not1_saveexec_b32 s63, s63
	s_cbranch_execz .LBB25_3112
; %bb.3107:                             ;   in Loop: Header=BB25_17 Depth=1
	s_mov_b32 s72, exec_lo
                                        ; implicit-def: $vgpr0
	v_cmpx_lt_i16_e32 0, v13
	s_xor_b32 s72, exec_lo, s72
	s_cbranch_execz .LBB25_3109
; %bb.3108:                             ;   in Loop: Header=BB25_17 Depth=1
	s_wait_loadcnt_dscnt 0x0
	flat_load_i8 v0, v[2:3]
                                        ; implicit-def: $vgpr2_vgpr3
	s_wait_loadcnt_dscnt 0x0
	v_cvt_f32_i32_e32 v0, v0
.LBB25_3109:                            ;   in Loop: Header=BB25_17 Depth=1
	s_wait_xcnt 0x0
	s_and_not1_saveexec_b32 s72, s72
	s_cbranch_execz .LBB25_3111
; %bb.3110:                             ;   in Loop: Header=BB25_17 Depth=1
	s_wait_loadcnt_dscnt 0x0
	flat_load_u8 v0, v[2:3]
	s_wait_loadcnt_dscnt 0x0
	v_cvt_f32_ubyte0_e32 v0, v0
.LBB25_3111:                            ;   in Loop: Header=BB25_17 Depth=1
	s_wait_xcnt 0x0
	s_or_b32 exec_lo, exec_lo, s72
.LBB25_3112:                            ;   in Loop: Header=BB25_17 Depth=1
	s_delay_alu instid0(SALU_CYCLE_1)
	s_or_b32 exec_lo, exec_lo, s63
.LBB25_3113:                            ;   in Loop: Header=BB25_17 Depth=1
	s_delay_alu instid0(SALU_CYCLE_1) | instskip(NEXT) | instid1(SALU_CYCLE_1)
	s_or_b32 exec_lo, exec_lo, s62
	s_or_b32 s61, s61, exec_lo
	s_or_b32 exec_lo, exec_lo, s56
	s_mov_b32 s62, 0
	s_and_saveexec_b32 s56, s61
	s_cbranch_execnz .LBB25_1345
	s_branch .LBB25_1346
.LBB25_3114:                            ;   in Loop: Header=BB25_17 Depth=1
	s_mov_b32 s42, -1
	s_mov_b32 s44, exec_lo
	v_cmpx_eq_u16_e32 0x80, v2
; %bb.3115:                             ;   in Loop: Header=BB25_17 Depth=1
	s_xor_b32 s42, exec_lo, -1
; %bb.3116:                             ;   in Loop: Header=BB25_17 Depth=1
	s_or_b32 exec_lo, exec_lo, s44
	s_delay_alu instid0(SALU_CYCLE_1)
	s_and_b32 s42, s42, exec_lo
	s_or_saveexec_b32 s43, s43
	v_mov_b32_e32 v0, 0x7f800001
	s_xor_b32 exec_lo, exec_lo, s43
	s_cbranch_execz .LBB25_2472
.LBB25_3117:                            ;   in Loop: Header=BB25_17 Depth=1
	v_cmp_ne_u16_e32 vcc_lo, 0, v2
	v_mov_b32_e32 v0, 0
	s_and_not1_b32 s42, s42, exec_lo
	s_and_b32 s44, vcc_lo, exec_lo
	s_delay_alu instid0(SALU_CYCLE_1)
	s_or_b32 s42, s42, s44
	s_or_b32 exec_lo, exec_lo, s43
	s_and_saveexec_b32 s43, s42
	s_cbranch_execnz .LBB25_2473
	s_branch .LBB25_2474
.LBB25_3118:                            ;   in Loop: Header=BB25_17 Depth=1
	s_mov_b32 s44, -1
	s_mov_b32 s46, exec_lo
	v_cmpx_eq_u16_e32 0x80, v2
; %bb.3119:                             ;   in Loop: Header=BB25_17 Depth=1
	s_xor_b32 s44, exec_lo, -1
; %bb.3120:                             ;   in Loop: Header=BB25_17 Depth=1
	s_or_b32 exec_lo, exec_lo, s46
	s_delay_alu instid0(SALU_CYCLE_1)
	s_and_b32 s44, s44, exec_lo
	s_or_saveexec_b32 s45, s45
	v_mov_b32_e32 v0, 0x7f800001
	s_xor_b32 exec_lo, exec_lo, s45
	s_cbranch_execz .LBB25_2577
.LBB25_3121:                            ;   in Loop: Header=BB25_17 Depth=1
	v_cmp_ne_u16_e32 vcc_lo, 0, v2
	v_mov_b32_e32 v0, 0
	s_and_not1_b32 s44, s44, exec_lo
	s_and_b32 s46, vcc_lo, exec_lo
	s_delay_alu instid0(SALU_CYCLE_1)
	s_or_b32 s44, s44, s46
	s_or_b32 exec_lo, exec_lo, s45
	s_and_saveexec_b32 s45, s44
	s_cbranch_execnz .LBB25_2578
	s_branch .LBB25_2579
.LBB25_3122:                            ;   in Loop: Header=BB25_17 Depth=1
	s_mov_b32 s46, -1
	s_mov_b32 s56, exec_lo
	v_cmpx_eq_u16_e32 0x80, v2
; %bb.3123:                             ;   in Loop: Header=BB25_17 Depth=1
	s_xor_b32 s46, exec_lo, -1
; %bb.3124:                             ;   in Loop: Header=BB25_17 Depth=1
	s_or_b32 exec_lo, exec_lo, s56
	s_delay_alu instid0(SALU_CYCLE_1)
	s_and_b32 s46, s46, exec_lo
	s_or_saveexec_b32 s47, s47
	v_mov_b32_e32 v0, 0x7f800001
	s_xor_b32 exec_lo, exec_lo, s47
	s_cbranch_execz .LBB25_945
.LBB25_3125:                            ;   in Loop: Header=BB25_17 Depth=1
	v_cmp_ne_u16_e32 vcc_lo, 0, v2
	v_mov_b32_e32 v0, 0
	s_and_not1_b32 s46, s46, exec_lo
	s_and_b32 s56, vcc_lo, exec_lo
	s_delay_alu instid0(SALU_CYCLE_1)
	s_or_b32 s46, s46, s56
	s_or_b32 exec_lo, exec_lo, s47
	s_and_saveexec_b32 s47, s46
	s_cbranch_execnz .LBB25_946
	s_branch .LBB25_947
.LBB25_3126:                            ;   in Loop: Header=BB25_17 Depth=1
	s_mov_b32 s56, -1
	s_mov_b32 s58, exec_lo
	v_cmpx_eq_u16_e32 0x80, v2
; %bb.3127:                             ;   in Loop: Header=BB25_17 Depth=1
	s_xor_b32 s56, exec_lo, -1
; %bb.3128:                             ;   in Loop: Header=BB25_17 Depth=1
	s_or_b32 exec_lo, exec_lo, s58
	s_delay_alu instid0(SALU_CYCLE_1)
	s_and_b32 s56, s56, exec_lo
	s_or_saveexec_b32 s57, s57
	v_mov_b32_e32 v0, 0x7f800001
	s_xor_b32 exec_lo, exec_lo, s57
	s_cbranch_execz .LBB25_1045
.LBB25_3129:                            ;   in Loop: Header=BB25_17 Depth=1
	v_cmp_ne_u16_e32 vcc_lo, 0, v2
	v_mov_b32_e32 v0, 0
	s_and_not1_b32 s56, s56, exec_lo
	s_and_b32 s58, vcc_lo, exec_lo
	s_delay_alu instid0(SALU_CYCLE_1)
	s_or_b32 s56, s56, s58
	s_or_b32 exec_lo, exec_lo, s57
	s_and_saveexec_b32 s57, s56
	s_cbranch_execnz .LBB25_1046
	s_branch .LBB25_1047
.LBB25_3130:                            ;   in Loop: Header=BB25_17 Depth=1
	s_mov_b32 s72, exec_lo
                                        ; implicit-def: $vgpr0
	v_cmpx_lt_i16_e32 25, v13
	s_xor_b32 s72, exec_lo, s72
	s_cbranch_execz .LBB25_3162
; %bb.3131:                             ;   in Loop: Header=BB25_17 Depth=1
	s_mov_b32 s74, exec_lo
                                        ; implicit-def: $vgpr0
	v_cmpx_lt_i16_e32 28, v13
	s_xor_b32 s74, exec_lo, s74
	s_cbranch_execz .LBB25_3147
; %bb.3132:                             ;   in Loop: Header=BB25_17 Depth=1
	s_mov_b32 s75, 0
	s_mov_b32 s73, exec_lo
                                        ; implicit-def: $vgpr0
	v_cmpx_lt_i16_e32 43, v13
	s_xor_b32 s73, exec_lo, s73
	s_cbranch_execz .LBB25_3142
; %bb.3133:                             ;   in Loop: Header=BB25_17 Depth=1
	s_mov_b32 s76, exec_lo
                                        ; implicit-def: $vgpr0
	v_cmpx_lt_i16_e32 45, v13
	s_xor_b32 s76, exec_lo, s76
	s_cbranch_execz .LBB25_3137
; %bb.3134:                             ;   in Loop: Header=BB25_17 Depth=1
	s_mov_b32 s77, exec_lo
                                        ; implicit-def: $vgpr0
	v_cmpx_eq_u16_e32 46, v13
	s_cbranch_execz .LBB25_3136
; %bb.3135:                             ;   in Loop: Header=BB25_17 Depth=1
	flat_load_b32 v0, v[2:3]
	s_mov_b32 s75, exec_lo
	s_wait_loadcnt_dscnt 0x0
	v_lshlrev_b32_e32 v0, 16, v0
.LBB25_3136:                            ;   in Loop: Header=BB25_17 Depth=1
	s_wait_xcnt 0x0
	s_or_b32 exec_lo, exec_lo, s77
	s_delay_alu instid0(SALU_CYCLE_1)
	s_and_b32 s75, s75, exec_lo
                                        ; implicit-def: $vgpr13
                                        ; implicit-def: $vgpr2_vgpr3
.LBB25_3137:                            ;   in Loop: Header=BB25_17 Depth=1
	s_and_not1_saveexec_b32 s76, s76
	s_cbranch_execz .LBB25_3141
; %bb.3138:                             ;   in Loop: Header=BB25_17 Depth=1
	s_mov_b32 s78, s75
	s_mov_b32 s77, exec_lo
                                        ; implicit-def: $vgpr0
	v_cmpx_eq_u16_e32 44, v13
	s_cbranch_execz .LBB25_3140
; %bb.3139:                             ;   in Loop: Header=BB25_17 Depth=1
	flat_load_u8 v0, v[2:3]
	s_or_b32 s78, s75, exec_lo
	s_wait_loadcnt_dscnt 0x0
	v_lshlrev_b32_e32 v2, 23, v0
	v_cmp_ne_u32_e32 vcc_lo, 0xff, v0
	s_delay_alu instid0(VALU_DEP_2) | instskip(SKIP_1) | instid1(VALU_DEP_2)
	v_cndmask_b32_e32 v2, 0x7f800001, v2, vcc_lo
	v_cmp_ne_u32_e32 vcc_lo, 0, v0
	v_cndmask_b32_e32 v0, 0x400000, v2, vcc_lo
.LBB25_3140:                            ;   in Loop: Header=BB25_17 Depth=1
	s_or_b32 exec_lo, exec_lo, s77
	s_delay_alu instid0(SALU_CYCLE_1) | instskip(SKIP_1) | instid1(SALU_CYCLE_1)
	s_and_not1_b32 s75, s75, exec_lo
	s_and_b32 s77, s78, exec_lo
	s_or_b32 s75, s75, s77
.LBB25_3141:                            ;   in Loop: Header=BB25_17 Depth=1
	s_or_b32 exec_lo, exec_lo, s76
	s_delay_alu instid0(SALU_CYCLE_1)
	s_and_b32 s75, s75, exec_lo
                                        ; implicit-def: $vgpr13
                                        ; implicit-def: $vgpr2_vgpr3
.LBB25_3142:                            ;   in Loop: Header=BB25_17 Depth=1
	s_and_not1_saveexec_b32 s73, s73
	s_cbranch_execz .LBB25_3146
; %bb.3143:                             ;   in Loop: Header=BB25_17 Depth=1
	s_mov_b32 s77, s75
	s_mov_b32 s76, exec_lo
                                        ; implicit-def: $vgpr0
	v_cmpx_eq_u16_e32 29, v13
	s_cbranch_execz .LBB25_3145
; %bb.3144:                             ;   in Loop: Header=BB25_17 Depth=1
	flat_load_b64 v[2:3], v[2:3]
	s_or_b32 s77, s75, exec_lo
	s_wait_loadcnt_dscnt 0x0
	v_clz_i32_u32_e32 v0, v3
	s_delay_alu instid0(VALU_DEP_1) | instskip(SKIP_1) | instid1(VALU_DEP_1)
	v_min_u32_e32 v0, 32, v0
	s_wait_xcnt 0x0
	v_lshlrev_b64_e32 v[2:3], v0, v[2:3]
	v_sub_nc_u32_e32 v0, 32, v0
	s_delay_alu instid0(VALU_DEP_2) | instskip(NEXT) | instid1(VALU_DEP_1)
	v_min_u32_e32 v2, 1, v2
	v_or_b32_e32 v2, v3, v2
	s_delay_alu instid0(VALU_DEP_1) | instskip(NEXT) | instid1(VALU_DEP_1)
	v_cvt_f32_u32_e32 v2, v2
	v_ldexp_f32 v0, v2, v0
.LBB25_3145:                            ;   in Loop: Header=BB25_17 Depth=1
	s_or_b32 exec_lo, exec_lo, s76
	s_delay_alu instid0(SALU_CYCLE_1) | instskip(SKIP_1) | instid1(SALU_CYCLE_1)
	s_and_not1_b32 s75, s75, exec_lo
	s_and_b32 s76, s77, exec_lo
	s_or_b32 s75, s75, s76
.LBB25_3146:                            ;   in Loop: Header=BB25_17 Depth=1
	s_or_b32 exec_lo, exec_lo, s73
	s_delay_alu instid0(SALU_CYCLE_1)
	s_and_b32 s73, s75, exec_lo
                                        ; implicit-def: $vgpr13
                                        ; implicit-def: $vgpr2_vgpr3
.LBB25_3147:                            ;   in Loop: Header=BB25_17 Depth=1
	s_and_not1_saveexec_b32 s74, s74
	s_cbranch_execz .LBB25_3161
; %bb.3148:                             ;   in Loop: Header=BB25_17 Depth=1
	s_mov_b32 s75, exec_lo
                                        ; implicit-def: $vgpr0
	v_cmpx_lt_i16_e32 26, v13
	s_xor_b32 s75, exec_lo, s75
	s_cbranch_execz .LBB25_3154
; %bb.3149:                             ;   in Loop: Header=BB25_17 Depth=1
	s_mov_b32 s76, exec_lo
                                        ; implicit-def: $vgpr0
	v_cmpx_lt_i16_e32 27, v13
	s_xor_b32 s76, exec_lo, s76
	s_cbranch_execz .LBB25_3151
; %bb.3150:                             ;   in Loop: Header=BB25_17 Depth=1
	flat_load_b32 v0, v[2:3]
                                        ; implicit-def: $vgpr2_vgpr3
	s_wait_loadcnt_dscnt 0x0
	v_cvt_f32_u32_e32 v0, v0
.LBB25_3151:                            ;   in Loop: Header=BB25_17 Depth=1
	s_wait_xcnt 0x0
	s_and_not1_saveexec_b32 s76, s76
	s_cbranch_execz .LBB25_3153
; %bb.3152:                             ;   in Loop: Header=BB25_17 Depth=1
	flat_load_u16 v0, v[2:3]
	s_wait_loadcnt_dscnt 0x0
	v_cvt_f32_u32_e32 v0, v0
.LBB25_3153:                            ;   in Loop: Header=BB25_17 Depth=1
	s_wait_xcnt 0x0
	s_or_b32 exec_lo, exec_lo, s76
                                        ; implicit-def: $vgpr2_vgpr3
.LBB25_3154:                            ;   in Loop: Header=BB25_17 Depth=1
	s_and_not1_saveexec_b32 s75, s75
	s_cbranch_execz .LBB25_3160
; %bb.3155:                             ;   in Loop: Header=BB25_17 Depth=1
	flat_load_u8 v2, v[2:3]
	s_mov_b32 s76, 0
	s_mov_b32 s77, exec_lo
	s_wait_loadcnt_dscnt 0x0
	v_cmpx_lt_i16_e32 0x7f, v2
	s_xor_b32 s77, exec_lo, s77
	s_cbranch_execnz .LBB25_3598
; %bb.3156:                             ;   in Loop: Header=BB25_17 Depth=1
	s_or_saveexec_b32 s77, s77
	v_mov_b32_e32 v0, 0x7f800001
	s_xor_b32 exec_lo, exec_lo, s77
	s_cbranch_execnz .LBB25_3601
.LBB25_3157:                            ;   in Loop: Header=BB25_17 Depth=1
	s_or_b32 exec_lo, exec_lo, s77
	s_and_saveexec_b32 s77, s76
	s_cbranch_execz .LBB25_3159
.LBB25_3158:                            ;   in Loop: Header=BB25_17 Depth=1
	v_and_b32_e32 v0, 0xffff, v2
	s_delay_alu instid0(VALU_DEP_1) | instskip(SKIP_1) | instid1(VALU_DEP_2)
	v_and_b32_e32 v3, 7, v0
	v_bfe_u32 v15, v0, 3, 4
	v_clz_i32_u32_e32 v13, v3
	s_delay_alu instid0(VALU_DEP_2) | instskip(NEXT) | instid1(VALU_DEP_2)
	v_cmp_eq_u32_e32 vcc_lo, 0, v15
	v_min_u32_e32 v13, 32, v13
	s_delay_alu instid0(VALU_DEP_1) | instskip(NEXT) | instid1(VALU_DEP_1)
	v_subrev_nc_u32_e32 v14, 28, v13
	v_dual_lshlrev_b32 v0, v14, v0 :: v_dual_sub_nc_u32 v13, 29, v13
	s_delay_alu instid0(VALU_DEP_1) | instskip(NEXT) | instid1(VALU_DEP_2)
	v_dual_lshlrev_b32 v2, 24, v2 :: v_dual_bitop2_b32 v0, 7, v0 bitop3:0x40
	v_cndmask_b32_e32 v13, v15, v13, vcc_lo
	s_delay_alu instid0(VALU_DEP_2) | instskip(NEXT) | instid1(VALU_DEP_3)
	v_cndmask_b32_e32 v0, v3, v0, vcc_lo
	v_and_b32_e32 v2, 0x80000000, v2
	s_delay_alu instid0(VALU_DEP_3) | instskip(NEXT) | instid1(VALU_DEP_3)
	v_lshl_add_u32 v3, v13, 23, 0x3b800000
	v_lshlrev_b32_e32 v0, 20, v0
	s_delay_alu instid0(VALU_DEP_1)
	v_or3_b32 v0, v2, v3, v0
.LBB25_3159:                            ;   in Loop: Header=BB25_17 Depth=1
	s_or_b32 exec_lo, exec_lo, s77
.LBB25_3160:                            ;   in Loop: Header=BB25_17 Depth=1
	s_delay_alu instid0(SALU_CYCLE_1) | instskip(NEXT) | instid1(SALU_CYCLE_1)
	s_or_b32 exec_lo, exec_lo, s75
	s_or_b32 s73, s73, exec_lo
.LBB25_3161:                            ;   in Loop: Header=BB25_17 Depth=1
	s_or_b32 exec_lo, exec_lo, s74
	s_delay_alu instid0(SALU_CYCLE_1)
	s_and_b32 s73, s73, exec_lo
                                        ; implicit-def: $vgpr13
                                        ; implicit-def: $vgpr2_vgpr3
.LBB25_3162:                            ;   in Loop: Header=BB25_17 Depth=1
	s_and_not1_saveexec_b32 s72, s72
	s_cbranch_execz .LBB25_3188
; %bb.3163:                             ;   in Loop: Header=BB25_17 Depth=1
	s_mov_b32 s75, s73
	s_mov_b32 s74, exec_lo
                                        ; implicit-def: $vgpr0
	v_cmpx_lt_i16_e32 22, v13
	s_xor_b32 s74, exec_lo, s74
	s_cbranch_execz .LBB25_3177
; %bb.3164:                             ;   in Loop: Header=BB25_17 Depth=1
	s_mov_b32 s75, exec_lo
                                        ; implicit-def: $vgpr0
	v_cmpx_lt_i16_e32 23, v13
	s_xor_b32 s75, exec_lo, s75
	s_cbranch_execz .LBB25_3174
; %bb.3165:                             ;   in Loop: Header=BB25_17 Depth=1
	;; [unrolled: 6-line block ×3, first 2 shown]
	flat_load_u8 v2, v[2:3]
	s_mov_b32 s77, 0
	s_mov_b32 s78, exec_lo
	s_wait_loadcnt_dscnt 0x0
	v_cmpx_lt_i16_e32 0x7f, v2
	s_xor_b32 s78, exec_lo, s78
	s_cbranch_execnz .LBB25_3610
; %bb.3167:                             ;   in Loop: Header=BB25_17 Depth=1
	s_or_saveexec_b32 s78, s78
	v_mov_b32_e32 v0, 0x7f800001
	s_xor_b32 exec_lo, exec_lo, s78
	s_cbranch_execnz .LBB25_3613
.LBB25_3168:                            ;   in Loop: Header=BB25_17 Depth=1
	s_or_b32 exec_lo, exec_lo, s78
	s_and_saveexec_b32 s78, s77
	s_cbranch_execz .LBB25_3170
.LBB25_3169:                            ;   in Loop: Header=BB25_17 Depth=1
	v_and_b32_e32 v0, 0xffff, v2
	s_delay_alu instid0(VALU_DEP_1) | instskip(SKIP_1) | instid1(VALU_DEP_2)
	v_and_b32_e32 v3, 3, v0
	v_bfe_u32 v15, v0, 2, 5
	v_clz_i32_u32_e32 v13, v3
	s_delay_alu instid0(VALU_DEP_2) | instskip(NEXT) | instid1(VALU_DEP_2)
	v_cmp_eq_u32_e32 vcc_lo, 0, v15
	v_min_u32_e32 v13, 32, v13
	s_delay_alu instid0(VALU_DEP_1) | instskip(NEXT) | instid1(VALU_DEP_1)
	v_subrev_nc_u32_e32 v14, 29, v13
	v_dual_lshlrev_b32 v0, v14, v0 :: v_dual_sub_nc_u32 v13, 30, v13
	s_delay_alu instid0(VALU_DEP_1) | instskip(NEXT) | instid1(VALU_DEP_2)
	v_dual_lshlrev_b32 v2, 24, v2 :: v_dual_bitop2_b32 v0, 3, v0 bitop3:0x40
	v_cndmask_b32_e32 v13, v15, v13, vcc_lo
	s_delay_alu instid0(VALU_DEP_2) | instskip(NEXT) | instid1(VALU_DEP_3)
	v_cndmask_b32_e32 v0, v3, v0, vcc_lo
	v_and_b32_e32 v2, 0x80000000, v2
	s_delay_alu instid0(VALU_DEP_3) | instskip(NEXT) | instid1(VALU_DEP_3)
	v_lshl_add_u32 v3, v13, 23, 0x37800000
	v_lshlrev_b32_e32 v0, 21, v0
	s_delay_alu instid0(VALU_DEP_1)
	v_or3_b32 v0, v2, v3, v0
.LBB25_3170:                            ;   in Loop: Header=BB25_17 Depth=1
	s_or_b32 exec_lo, exec_lo, s78
                                        ; implicit-def: $vgpr2_vgpr3
.LBB25_3171:                            ;   in Loop: Header=BB25_17 Depth=1
	s_and_not1_saveexec_b32 s76, s76
	s_cbranch_execz .LBB25_3173
; %bb.3172:                             ;   in Loop: Header=BB25_17 Depth=1
	flat_load_u8 v0, v[2:3]
	s_wait_loadcnt_dscnt 0x0
	v_lshlrev_b32_e32 v0, 24, v0
	s_wait_xcnt 0x0
	s_delay_alu instid0(VALU_DEP_1) | instskip(NEXT) | instid1(VALU_DEP_1)
	v_and_b32_e32 v2, 0x7f000000, v0
	v_clz_i32_u32_e32 v3, v2
	v_add_nc_u32_e32 v14, 0x1000000, v2
	v_cmp_ne_u32_e32 vcc_lo, 0, v2
	s_delay_alu instid0(VALU_DEP_3) | instskip(NEXT) | instid1(VALU_DEP_1)
	v_min_u32_e32 v3, 32, v3
	v_sub_nc_u32_e64 v3, v3, 4 clamp
	s_delay_alu instid0(VALU_DEP_1) | instskip(NEXT) | instid1(VALU_DEP_1)
	v_dual_lshlrev_b32 v13, v3, v2 :: v_dual_lshlrev_b32 v3, 23, v3
	v_lshrrev_b32_e32 v13, 4, v13
	s_delay_alu instid0(VALU_DEP_1) | instskip(NEXT) | instid1(VALU_DEP_1)
	v_dual_sub_nc_u32 v3, v13, v3 :: v_dual_ashrrev_i32 v13, 8, v14
	v_add_nc_u32_e32 v3, 0x3c000000, v3
	s_delay_alu instid0(VALU_DEP_1) | instskip(NEXT) | instid1(VALU_DEP_1)
	v_and_or_b32 v3, 0x7f800000, v13, v3
	v_cndmask_b32_e32 v2, 0, v3, vcc_lo
	s_delay_alu instid0(VALU_DEP_1)
	v_and_or_b32 v0, 0x80000000, v0, v2
.LBB25_3173:                            ;   in Loop: Header=BB25_17 Depth=1
	s_or_b32 exec_lo, exec_lo, s76
                                        ; implicit-def: $vgpr2_vgpr3
.LBB25_3174:                            ;   in Loop: Header=BB25_17 Depth=1
	s_and_not1_saveexec_b32 s75, s75
	s_cbranch_execz .LBB25_3176
; %bb.3175:                             ;   in Loop: Header=BB25_17 Depth=1
	flat_load_u8 v0, v[2:3]
	s_wait_loadcnt_dscnt 0x0
	v_lshlrev_b32_e32 v2, 25, v0
	v_lshlrev_b16 v0, 8, v0
	s_delay_alu instid0(VALU_DEP_1) | instskip(SKIP_1) | instid1(VALU_DEP_2)
	v_and_or_b32 v13, 0x7f00, v0, 0.5
	v_bfe_i32 v0, v0, 0, 16
	v_dual_add_f32 v13, -0.5, v13 :: v_dual_lshrrev_b32 v3, 4, v2
	v_cmp_gt_u32_e32 vcc_lo, 0x8000000, v2
	s_delay_alu instid0(VALU_DEP_2) | instskip(NEXT) | instid1(VALU_DEP_1)
	v_or_b32_e32 v3, 0x70000000, v3
	v_mul_f32_e32 v3, 0x7800000, v3
	s_delay_alu instid0(VALU_DEP_1) | instskip(NEXT) | instid1(VALU_DEP_1)
	v_cndmask_b32_e32 v2, v3, v13, vcc_lo
	v_and_or_b32 v0, 0x80000000, v0, v2
.LBB25_3176:                            ;   in Loop: Header=BB25_17 Depth=1
	s_or_b32 exec_lo, exec_lo, s75
	s_delay_alu instid0(SALU_CYCLE_1)
	s_or_b32 s75, s73, exec_lo
                                        ; implicit-def: $vgpr13
                                        ; implicit-def: $vgpr2_vgpr3
.LBB25_3177:                            ;   in Loop: Header=BB25_17 Depth=1
	s_and_not1_saveexec_b32 s74, s74
	s_cbranch_execz .LBB25_3187
; %bb.3178:                             ;   in Loop: Header=BB25_17 Depth=1
	s_mov_b32 s76, s75
	s_mov_b32 s77, exec_lo
                                        ; implicit-def: $vgpr0
	v_cmpx_lt_i16_e32 14, v13
	s_xor_b32 s77, exec_lo, s77
	s_cbranch_execz .LBB25_3182
; %bb.3179:                             ;   in Loop: Header=BB25_17 Depth=1
	s_mov_b32 s76, s75
	s_mov_b32 s78, exec_lo
                                        ; implicit-def: $vgpr0
	v_cmpx_eq_u16_e32 15, v13
	s_cbranch_execz .LBB25_3181
; %bb.3180:                             ;   in Loop: Header=BB25_17 Depth=1
	flat_load_u16 v0, v[2:3]
	s_or_b32 s76, s75, exec_lo
	s_wait_loadcnt_dscnt 0x0
	v_lshlrev_b32_e32 v0, 16, v0
.LBB25_3181:                            ;   in Loop: Header=BB25_17 Depth=1
	s_wait_xcnt 0x0
	s_or_b32 exec_lo, exec_lo, s78
	s_delay_alu instid0(SALU_CYCLE_1) | instskip(SKIP_1) | instid1(SALU_CYCLE_1)
	s_and_not1_b32 s78, s75, exec_lo
	s_and_b32 s76, s76, exec_lo
                                        ; implicit-def: $vgpr13
                                        ; implicit-def: $vgpr2_vgpr3
	s_or_b32 s76, s78, s76
.LBB25_3182:                            ;   in Loop: Header=BB25_17 Depth=1
	s_and_not1_saveexec_b32 s77, s77
	s_cbranch_execz .LBB25_3186
; %bb.3183:                             ;   in Loop: Header=BB25_17 Depth=1
	s_mov_b32 s78, s76
	s_mov_b32 s79, exec_lo
                                        ; implicit-def: $vgpr0
	v_cmpx_eq_u16_e32 11, v13
	s_cbranch_execz .LBB25_3185
; %bb.3184:                             ;   in Loop: Header=BB25_17 Depth=1
	flat_load_u8 v0, v[2:3]
	s_or_b32 s78, s76, exec_lo
	s_wait_loadcnt_dscnt 0x0
	v_cmp_ne_u16_e32 vcc_lo, 0, v0
	v_cndmask_b32_e64 v0, 0, 1.0, vcc_lo
.LBB25_3185:                            ;   in Loop: Header=BB25_17 Depth=1
	s_wait_xcnt 0x0
	s_or_b32 exec_lo, exec_lo, s79
	s_delay_alu instid0(SALU_CYCLE_1) | instskip(SKIP_1) | instid1(SALU_CYCLE_1)
	s_and_not1_b32 s76, s76, exec_lo
	s_and_b32 s78, s78, exec_lo
	s_or_b32 s76, s76, s78
.LBB25_3186:                            ;   in Loop: Header=BB25_17 Depth=1
	s_or_b32 exec_lo, exec_lo, s77
	s_delay_alu instid0(SALU_CYCLE_1) | instskip(SKIP_1) | instid1(SALU_CYCLE_1)
	s_and_not1_b32 s75, s75, exec_lo
	s_and_b32 s76, s76, exec_lo
	s_or_b32 s75, s75, s76
.LBB25_3187:                            ;   in Loop: Header=BB25_17 Depth=1
	s_or_b32 exec_lo, exec_lo, s74
	s_delay_alu instid0(SALU_CYCLE_1) | instskip(SKIP_1) | instid1(SALU_CYCLE_1)
	s_and_not1_b32 s73, s73, exec_lo
	s_and_b32 s74, s75, exec_lo
	s_or_b32 s73, s73, s74
.LBB25_3188:                            ;   in Loop: Header=BB25_17 Depth=1
	s_or_b32 exec_lo, exec_lo, s72
	s_delay_alu instid0(SALU_CYCLE_1)
	s_and_b32 s72, s73, exec_lo
                                        ; implicit-def: $vgpr13
                                        ; implicit-def: $vgpr2_vgpr3
	s_and_not1_saveexec_b32 s59, s59
	s_cbranch_execz .LBB25_1455
.LBB25_3189:                            ;   in Loop: Header=BB25_17 Depth=1
	s_mov_b32 s73, exec_lo
                                        ; implicit-def: $vgpr0
	v_cmpx_lt_i16_e32 4, v13
	s_xor_b32 s73, exec_lo, s73
	s_cbranch_execz .LBB25_3211
; %bb.3190:                             ;   in Loop: Header=BB25_17 Depth=1
	s_mov_b32 s74, exec_lo
                                        ; implicit-def: $vgpr0
	v_cmpx_lt_i16_e32 7, v13
	s_xor_b32 s74, exec_lo, s74
	s_cbranch_execz .LBB25_3200
; %bb.3191:                             ;   in Loop: Header=BB25_17 Depth=1
	;; [unrolled: 6-line block ×4, first 2 shown]
	flat_load_b64 v[2:3], v[2:3]
	s_wait_loadcnt_dscnt 0x0
	v_cvt_f32_f64_e32 v0, v[2:3]
                                        ; implicit-def: $vgpr2_vgpr3
.LBB25_3194:                            ;   in Loop: Header=BB25_17 Depth=1
	s_wait_xcnt 0x0
	s_and_not1_saveexec_b32 s76, s76
	s_cbranch_execz .LBB25_3196
; %bb.3195:                             ;   in Loop: Header=BB25_17 Depth=1
	flat_load_b32 v0, v[2:3]
.LBB25_3196:                            ;   in Loop: Header=BB25_17 Depth=1
	s_wait_xcnt 0x0
	s_or_b32 exec_lo, exec_lo, s76
                                        ; implicit-def: $vgpr2_vgpr3
.LBB25_3197:                            ;   in Loop: Header=BB25_17 Depth=1
	s_and_not1_saveexec_b32 s75, s75
	s_cbranch_execz .LBB25_3199
; %bb.3198:                             ;   in Loop: Header=BB25_17 Depth=1
	s_wait_loadcnt_dscnt 0x0
	flat_load_b32 v0, v[2:3]
	s_wait_loadcnt_dscnt 0x0
	v_cvt_f32_f16_e32 v0, v0
.LBB25_3199:                            ;   in Loop: Header=BB25_17 Depth=1
	s_wait_xcnt 0x0
	s_or_b32 exec_lo, exec_lo, s75
                                        ; implicit-def: $vgpr2_vgpr3
                                        ; implicit-def: $vgpr13
.LBB25_3200:                            ;   in Loop: Header=BB25_17 Depth=1
	s_and_not1_saveexec_b32 s74, s74
	s_cbranch_execz .LBB25_3210
; %bb.3201:                             ;   in Loop: Header=BB25_17 Depth=1
	s_mov_b32 s75, exec_lo
                                        ; implicit-def: $vgpr0
	v_cmpx_lt_i16_e32 5, v13
	s_xor_b32 s75, exec_lo, s75
	s_cbranch_execz .LBB25_3207
; %bb.3202:                             ;   in Loop: Header=BB25_17 Depth=1
	s_mov_b32 s76, exec_lo
                                        ; implicit-def: $vgpr0
	v_cmpx_lt_i16_e32 6, v13
	s_xor_b32 s76, exec_lo, s76
	s_cbranch_execz .LBB25_3204
; %bb.3203:                             ;   in Loop: Header=BB25_17 Depth=1
	flat_load_b64 v[2:3], v[2:3]
	s_wait_loadcnt_dscnt 0x0
	v_cvt_f32_f64_e32 v0, v[2:3]
                                        ; implicit-def: $vgpr2_vgpr3
.LBB25_3204:                            ;   in Loop: Header=BB25_17 Depth=1
	s_wait_xcnt 0x0
	s_and_not1_saveexec_b32 s76, s76
	s_cbranch_execz .LBB25_3206
; %bb.3205:                             ;   in Loop: Header=BB25_17 Depth=1
	s_wait_loadcnt_dscnt 0x0
	flat_load_b32 v0, v[2:3]
.LBB25_3206:                            ;   in Loop: Header=BB25_17 Depth=1
	s_wait_xcnt 0x0
	s_or_b32 exec_lo, exec_lo, s76
                                        ; implicit-def: $vgpr2_vgpr3
.LBB25_3207:                            ;   in Loop: Header=BB25_17 Depth=1
	s_and_not1_saveexec_b32 s75, s75
	s_cbranch_execz .LBB25_3209
; %bb.3208:                             ;   in Loop: Header=BB25_17 Depth=1
	s_wait_loadcnt_dscnt 0x0
	flat_load_u16 v0, v[2:3]
	s_wait_loadcnt_dscnt 0x0
	v_cvt_f32_f16_e32 v0, v0
.LBB25_3209:                            ;   in Loop: Header=BB25_17 Depth=1
	s_wait_xcnt 0x0
	s_or_b32 exec_lo, exec_lo, s75
.LBB25_3210:                            ;   in Loop: Header=BB25_17 Depth=1
	s_delay_alu instid0(SALU_CYCLE_1)
	s_or_b32 exec_lo, exec_lo, s74
                                        ; implicit-def: $vgpr13
                                        ; implicit-def: $vgpr2_vgpr3
.LBB25_3211:                            ;   in Loop: Header=BB25_17 Depth=1
	s_and_not1_saveexec_b32 s73, s73
	s_cbranch_execz .LBB25_3229
; %bb.3212:                             ;   in Loop: Header=BB25_17 Depth=1
	s_mov_b32 s74, exec_lo
                                        ; implicit-def: $vgpr0
	v_cmpx_lt_i16_e32 1, v13
	s_xor_b32 s74, exec_lo, s74
	s_cbranch_execz .LBB25_3222
; %bb.3213:                             ;   in Loop: Header=BB25_17 Depth=1
	s_mov_b32 s75, exec_lo
                                        ; implicit-def: $vgpr0
	v_cmpx_lt_i16_e32 2, v13
	s_xor_b32 s75, exec_lo, s75
	;; [unrolled: 6-line block ×3, first 2 shown]
	s_cbranch_execz .LBB25_3216
; %bb.3215:                             ;   in Loop: Header=BB25_17 Depth=1
	flat_load_b64 v[2:3], v[2:3]
	s_wait_loadcnt_dscnt 0x0
	v_xor_b32_e32 v0, v2, v3
	v_cls_i32_e32 v13, v3
	s_delay_alu instid0(VALU_DEP_2) | instskip(NEXT) | instid1(VALU_DEP_1)
	v_ashrrev_i32_e32 v0, 31, v0
	v_add_nc_u32_e32 v0, 32, v0
	s_delay_alu instid0(VALU_DEP_1) | instskip(SKIP_1) | instid1(VALU_DEP_1)
	v_add_min_u32_e64 v0, v13, -1, v0
	s_wait_xcnt 0x0
	v_lshlrev_b64_e32 v[2:3], v0, v[2:3]
	v_sub_nc_u32_e32 v0, 32, v0
	s_delay_alu instid0(VALU_DEP_2) | instskip(NEXT) | instid1(VALU_DEP_1)
	v_min_u32_e32 v2, 1, v2
	v_or_b32_e32 v2, v3, v2
	s_delay_alu instid0(VALU_DEP_1) | instskip(NEXT) | instid1(VALU_DEP_1)
	v_cvt_f32_i32_e32 v2, v2
	v_ldexp_f32 v0, v2, v0
                                        ; implicit-def: $vgpr2_vgpr3
.LBB25_3216:                            ;   in Loop: Header=BB25_17 Depth=1
	s_and_not1_saveexec_b32 s76, s76
	s_cbranch_execz .LBB25_3218
; %bb.3217:                             ;   in Loop: Header=BB25_17 Depth=1
	s_wait_loadcnt_dscnt 0x0
	flat_load_b32 v0, v[2:3]
	s_wait_loadcnt_dscnt 0x0
	v_cvt_f32_i32_e32 v0, v0
.LBB25_3218:                            ;   in Loop: Header=BB25_17 Depth=1
	s_wait_xcnt 0x0
	s_or_b32 exec_lo, exec_lo, s76
                                        ; implicit-def: $vgpr2_vgpr3
.LBB25_3219:                            ;   in Loop: Header=BB25_17 Depth=1
	s_and_not1_saveexec_b32 s75, s75
	s_cbranch_execz .LBB25_3221
; %bb.3220:                             ;   in Loop: Header=BB25_17 Depth=1
	s_wait_loadcnt_dscnt 0x0
	flat_load_i16 v0, v[2:3]
	s_wait_loadcnt_dscnt 0x0
	v_cvt_f32_i32_e32 v0, v0
.LBB25_3221:                            ;   in Loop: Header=BB25_17 Depth=1
	s_wait_xcnt 0x0
	s_or_b32 exec_lo, exec_lo, s75
                                        ; implicit-def: $vgpr2_vgpr3
                                        ; implicit-def: $vgpr13
.LBB25_3222:                            ;   in Loop: Header=BB25_17 Depth=1
	s_and_not1_saveexec_b32 s74, s74
	s_cbranch_execz .LBB25_3228
; %bb.3223:                             ;   in Loop: Header=BB25_17 Depth=1
	s_mov_b32 s75, exec_lo
                                        ; implicit-def: $vgpr0
	v_cmpx_lt_i16_e32 0, v13
	s_xor_b32 s75, exec_lo, s75
	s_cbranch_execz .LBB25_3225
; %bb.3224:                             ;   in Loop: Header=BB25_17 Depth=1
	s_wait_loadcnt_dscnt 0x0
	flat_load_i8 v0, v[2:3]
                                        ; implicit-def: $vgpr2_vgpr3
	s_wait_loadcnt_dscnt 0x0
	v_cvt_f32_i32_e32 v0, v0
.LBB25_3225:                            ;   in Loop: Header=BB25_17 Depth=1
	s_wait_xcnt 0x0
	s_and_not1_saveexec_b32 s75, s75
	s_cbranch_execz .LBB25_3227
; %bb.3226:                             ;   in Loop: Header=BB25_17 Depth=1
	s_wait_loadcnt_dscnt 0x0
	flat_load_u8 v0, v[2:3]
	s_wait_loadcnt_dscnt 0x0
	v_cvt_f32_ubyte0_e32 v0, v0
.LBB25_3227:                            ;   in Loop: Header=BB25_17 Depth=1
	s_wait_xcnt 0x0
	s_or_b32 exec_lo, exec_lo, s75
.LBB25_3228:                            ;   in Loop: Header=BB25_17 Depth=1
	s_delay_alu instid0(SALU_CYCLE_1)
	s_or_b32 exec_lo, exec_lo, s74
.LBB25_3229:                            ;   in Loop: Header=BB25_17 Depth=1
	s_delay_alu instid0(SALU_CYCLE_1) | instskip(NEXT) | instid1(SALU_CYCLE_1)
	s_or_b32 exec_lo, exec_lo, s73
	s_or_b32 s72, s72, exec_lo
	s_or_b32 exec_lo, exec_lo, s59
	s_mov_b32 s73, 0
	s_and_saveexec_b32 s59, s72
	s_cbranch_execnz .LBB25_1456
	s_branch .LBB25_1457
.LBB25_3230:                            ;   in Loop: Header=BB25_17 Depth=1
	s_mov_b32 s45, -1
	s_mov_b32 s47, exec_lo
	v_cmpx_eq_u16_e32 0x80, v2
; %bb.3231:                             ;   in Loop: Header=BB25_17 Depth=1
	s_xor_b32 s45, exec_lo, -1
; %bb.3232:                             ;   in Loop: Header=BB25_17 Depth=1
	s_or_b32 exec_lo, exec_lo, s47
	s_delay_alu instid0(SALU_CYCLE_1)
	s_and_b32 s45, s45, exec_lo
	s_or_saveexec_b32 s46, s46
	v_mov_b32_e32 v0, 0x7f800001
	s_xor_b32 exec_lo, exec_lo, s46
	s_cbranch_execz .LBB25_2588
.LBB25_3233:                            ;   in Loop: Header=BB25_17 Depth=1
	v_cmp_ne_u16_e32 vcc_lo, 0, v2
	v_mov_b32_e32 v0, 0
	s_and_not1_b32 s45, s45, exec_lo
	s_and_b32 s47, vcc_lo, exec_lo
	s_delay_alu instid0(SALU_CYCLE_1)
	s_or_b32 s45, s45, s47
	s_or_b32 exec_lo, exec_lo, s46
	s_and_saveexec_b32 s46, s45
	s_cbranch_execnz .LBB25_2589
	s_branch .LBB25_2590
.LBB25_3234:                            ;   in Loop: Header=BB25_17 Depth=1
	s_mov_b32 s47, -1
	s_mov_b32 s57, exec_lo
	v_cmpx_eq_u16_e32 0x80, v2
; %bb.3235:                             ;   in Loop: Header=BB25_17 Depth=1
	s_xor_b32 s47, exec_lo, -1
; %bb.3236:                             ;   in Loop: Header=BB25_17 Depth=1
	s_or_b32 exec_lo, exec_lo, s57
	s_delay_alu instid0(SALU_CYCLE_1)
	s_and_b32 s47, s47, exec_lo
	s_or_saveexec_b32 s56, s56
	v_mov_b32_e32 v0, 0x7f800001
	s_xor_b32 exec_lo, exec_lo, s56
	s_cbranch_execz .LBB25_2693
.LBB25_3237:                            ;   in Loop: Header=BB25_17 Depth=1
	v_cmp_ne_u16_e32 vcc_lo, 0, v2
	v_mov_b32_e32 v0, 0
	s_and_not1_b32 s47, s47, exec_lo
	s_and_b32 s57, vcc_lo, exec_lo
	s_delay_alu instid0(SALU_CYCLE_1)
	s_or_b32 s47, s47, s57
	s_or_b32 exec_lo, exec_lo, s56
	s_and_saveexec_b32 s56, s47
	s_cbranch_execnz .LBB25_2694
	s_branch .LBB25_2695
.LBB25_3238:                            ;   in Loop: Header=BB25_17 Depth=1
	s_mov_b32 s57, -1
	s_mov_b32 s59, exec_lo
	v_cmpx_eq_u16_e32 0x80, v2
; %bb.3239:                             ;   in Loop: Header=BB25_17 Depth=1
	s_xor_b32 s57, exec_lo, -1
; %bb.3240:                             ;   in Loop: Header=BB25_17 Depth=1
	s_or_b32 exec_lo, exec_lo, s59
	s_delay_alu instid0(SALU_CYCLE_1)
	s_and_b32 s57, s57, exec_lo
	s_or_saveexec_b32 s58, s58
	v_mov_b32_e32 v0, 0x7f800001
	s_xor_b32 exec_lo, exec_lo, s58
	s_cbranch_execz .LBB25_1056
.LBB25_3241:                            ;   in Loop: Header=BB25_17 Depth=1
	v_cmp_ne_u16_e32 vcc_lo, 0, v2
	v_mov_b32_e32 v0, 0
	s_and_not1_b32 s57, s57, exec_lo
	s_and_b32 s59, vcc_lo, exec_lo
	s_delay_alu instid0(SALU_CYCLE_1)
	s_or_b32 s57, s57, s59
	s_or_b32 exec_lo, exec_lo, s58
	s_and_saveexec_b32 s58, s57
	s_cbranch_execnz .LBB25_1057
	s_branch .LBB25_1058
.LBB25_3242:                            ;   in Loop: Header=BB25_17 Depth=1
	s_mov_b32 s59, -1
	s_mov_b32 s62, exec_lo
	v_cmpx_eq_u16_e32 0x80, v2
; %bb.3243:                             ;   in Loop: Header=BB25_17 Depth=1
	s_xor_b32 s59, exec_lo, -1
; %bb.3244:                             ;   in Loop: Header=BB25_17 Depth=1
	s_or_b32 exec_lo, exec_lo, s62
	s_delay_alu instid0(SALU_CYCLE_1)
	s_and_b32 s59, s59, exec_lo
	s_or_saveexec_b32 s61, s61
	v_mov_b32_e32 v0, 0x7f800001
	s_xor_b32 exec_lo, exec_lo, s61
	s_cbranch_execz .LBB25_1156
.LBB25_3245:                            ;   in Loop: Header=BB25_17 Depth=1
	v_cmp_ne_u16_e32 vcc_lo, 0, v2
	v_mov_b32_e32 v0, 0
	s_and_not1_b32 s59, s59, exec_lo
	s_and_b32 s62, vcc_lo, exec_lo
	s_delay_alu instid0(SALU_CYCLE_1)
	s_or_b32 s59, s59, s62
	s_or_b32 exec_lo, exec_lo, s61
	s_and_saveexec_b32 s61, s59
	s_cbranch_execnz .LBB25_1157
	s_branch .LBB25_1158
.LBB25_3246:                            ;   in Loop: Header=BB25_17 Depth=1
	s_mov_b32 s75, exec_lo
                                        ; implicit-def: $vgpr0
	v_cmpx_lt_i16_e32 25, v13
	s_xor_b32 s75, exec_lo, s75
	s_cbranch_execz .LBB25_3278
; %bb.3247:                             ;   in Loop: Header=BB25_17 Depth=1
	s_mov_b32 s77, exec_lo
                                        ; implicit-def: $vgpr0
	v_cmpx_lt_i16_e32 28, v13
	s_xor_b32 s77, exec_lo, s77
	s_cbranch_execz .LBB25_3263
; %bb.3248:                             ;   in Loop: Header=BB25_17 Depth=1
	s_mov_b32 s78, 0
	s_mov_b32 s76, exec_lo
                                        ; implicit-def: $vgpr0
	v_cmpx_lt_i16_e32 43, v13
	s_xor_b32 s76, exec_lo, s76
	s_cbranch_execz .LBB25_3258
; %bb.3249:                             ;   in Loop: Header=BB25_17 Depth=1
	s_mov_b32 s79, exec_lo
                                        ; implicit-def: $vgpr0
	v_cmpx_lt_i16_e32 45, v13
	s_xor_b32 s79, exec_lo, s79
	s_cbranch_execz .LBB25_3253
; %bb.3250:                             ;   in Loop: Header=BB25_17 Depth=1
	s_mov_b32 s88, exec_lo
                                        ; implicit-def: $vgpr0
	v_cmpx_eq_u16_e32 46, v13
	s_cbranch_execz .LBB25_3252
; %bb.3251:                             ;   in Loop: Header=BB25_17 Depth=1
	flat_load_b32 v0, v[2:3]
	s_mov_b32 s78, exec_lo
	s_wait_loadcnt_dscnt 0x0
	v_lshlrev_b32_e32 v0, 16, v0
.LBB25_3252:                            ;   in Loop: Header=BB25_17 Depth=1
	s_wait_xcnt 0x0
	s_or_b32 exec_lo, exec_lo, s88
	s_delay_alu instid0(SALU_CYCLE_1)
	s_and_b32 s78, s78, exec_lo
                                        ; implicit-def: $vgpr13
                                        ; implicit-def: $vgpr2_vgpr3
.LBB25_3253:                            ;   in Loop: Header=BB25_17 Depth=1
	s_and_not1_saveexec_b32 s79, s79
	s_cbranch_execz .LBB25_3257
; %bb.3254:                             ;   in Loop: Header=BB25_17 Depth=1
	s_mov_b32 s89, s78
	s_mov_b32 s88, exec_lo
                                        ; implicit-def: $vgpr0
	v_cmpx_eq_u16_e32 44, v13
	s_cbranch_execz .LBB25_3256
; %bb.3255:                             ;   in Loop: Header=BB25_17 Depth=1
	flat_load_u8 v0, v[2:3]
	s_or_b32 s89, s78, exec_lo
	s_wait_loadcnt_dscnt 0x0
	v_lshlrev_b32_e32 v2, 23, v0
	v_cmp_ne_u32_e32 vcc_lo, 0xff, v0
	s_delay_alu instid0(VALU_DEP_2) | instskip(SKIP_1) | instid1(VALU_DEP_2)
	v_cndmask_b32_e32 v2, 0x7f800001, v2, vcc_lo
	v_cmp_ne_u32_e32 vcc_lo, 0, v0
	v_cndmask_b32_e32 v0, 0x400000, v2, vcc_lo
.LBB25_3256:                            ;   in Loop: Header=BB25_17 Depth=1
	s_or_b32 exec_lo, exec_lo, s88
	s_delay_alu instid0(SALU_CYCLE_1) | instskip(SKIP_1) | instid1(SALU_CYCLE_1)
	s_and_not1_b32 s78, s78, exec_lo
	s_and_b32 s88, s89, exec_lo
	s_or_b32 s78, s78, s88
.LBB25_3257:                            ;   in Loop: Header=BB25_17 Depth=1
	s_or_b32 exec_lo, exec_lo, s79
	s_delay_alu instid0(SALU_CYCLE_1)
	s_and_b32 s78, s78, exec_lo
                                        ; implicit-def: $vgpr13
                                        ; implicit-def: $vgpr2_vgpr3
.LBB25_3258:                            ;   in Loop: Header=BB25_17 Depth=1
	s_and_not1_saveexec_b32 s76, s76
	s_cbranch_execz .LBB25_3262
; %bb.3259:                             ;   in Loop: Header=BB25_17 Depth=1
	s_mov_b32 s88, s78
	s_mov_b32 s79, exec_lo
                                        ; implicit-def: $vgpr0
	v_cmpx_eq_u16_e32 29, v13
	s_cbranch_execz .LBB25_3261
; %bb.3260:                             ;   in Loop: Header=BB25_17 Depth=1
	flat_load_b64 v[2:3], v[2:3]
	s_or_b32 s88, s78, exec_lo
	s_wait_loadcnt_dscnt 0x0
	v_clz_i32_u32_e32 v0, v3
	s_delay_alu instid0(VALU_DEP_1) | instskip(SKIP_1) | instid1(VALU_DEP_1)
	v_min_u32_e32 v0, 32, v0
	s_wait_xcnt 0x0
	v_lshlrev_b64_e32 v[2:3], v0, v[2:3]
	v_sub_nc_u32_e32 v0, 32, v0
	s_delay_alu instid0(VALU_DEP_2) | instskip(NEXT) | instid1(VALU_DEP_1)
	v_min_u32_e32 v2, 1, v2
	v_or_b32_e32 v2, v3, v2
	s_delay_alu instid0(VALU_DEP_1) | instskip(NEXT) | instid1(VALU_DEP_1)
	v_cvt_f32_u32_e32 v2, v2
	v_ldexp_f32 v0, v2, v0
.LBB25_3261:                            ;   in Loop: Header=BB25_17 Depth=1
	s_or_b32 exec_lo, exec_lo, s79
	s_delay_alu instid0(SALU_CYCLE_1) | instskip(SKIP_1) | instid1(SALU_CYCLE_1)
	s_and_not1_b32 s78, s78, exec_lo
	s_and_b32 s79, s88, exec_lo
	s_or_b32 s78, s78, s79
.LBB25_3262:                            ;   in Loop: Header=BB25_17 Depth=1
	s_or_b32 exec_lo, exec_lo, s76
	s_delay_alu instid0(SALU_CYCLE_1)
	s_and_b32 s76, s78, exec_lo
                                        ; implicit-def: $vgpr13
                                        ; implicit-def: $vgpr2_vgpr3
.LBB25_3263:                            ;   in Loop: Header=BB25_17 Depth=1
	s_and_not1_saveexec_b32 s77, s77
	s_cbranch_execz .LBB25_3277
; %bb.3264:                             ;   in Loop: Header=BB25_17 Depth=1
	s_mov_b32 s78, exec_lo
                                        ; implicit-def: $vgpr0
	v_cmpx_lt_i16_e32 26, v13
	s_xor_b32 s78, exec_lo, s78
	s_cbranch_execz .LBB25_3270
; %bb.3265:                             ;   in Loop: Header=BB25_17 Depth=1
	s_mov_b32 s79, exec_lo
                                        ; implicit-def: $vgpr0
	v_cmpx_lt_i16_e32 27, v13
	s_xor_b32 s79, exec_lo, s79
	s_cbranch_execz .LBB25_3267
; %bb.3266:                             ;   in Loop: Header=BB25_17 Depth=1
	flat_load_b32 v0, v[2:3]
                                        ; implicit-def: $vgpr2_vgpr3
	s_wait_loadcnt_dscnt 0x0
	v_cvt_f32_u32_e32 v0, v0
.LBB25_3267:                            ;   in Loop: Header=BB25_17 Depth=1
	s_wait_xcnt 0x0
	s_and_not1_saveexec_b32 s79, s79
	s_cbranch_execz .LBB25_3269
; %bb.3268:                             ;   in Loop: Header=BB25_17 Depth=1
	flat_load_u16 v0, v[2:3]
	s_wait_loadcnt_dscnt 0x0
	v_cvt_f32_u32_e32 v0, v0
.LBB25_3269:                            ;   in Loop: Header=BB25_17 Depth=1
	s_wait_xcnt 0x0
	s_or_b32 exec_lo, exec_lo, s79
                                        ; implicit-def: $vgpr2_vgpr3
.LBB25_3270:                            ;   in Loop: Header=BB25_17 Depth=1
	s_and_not1_saveexec_b32 s78, s78
	s_cbranch_execz .LBB25_3276
; %bb.3271:                             ;   in Loop: Header=BB25_17 Depth=1
	flat_load_u8 v2, v[2:3]
	s_mov_b32 s79, 0
	s_mov_b32 s88, exec_lo
	s_wait_loadcnt_dscnt 0x0
	v_cmpx_lt_i16_e32 0x7f, v2
	s_xor_b32 s88, exec_lo, s88
	s_cbranch_execnz .LBB25_3614
; %bb.3272:                             ;   in Loop: Header=BB25_17 Depth=1
	s_or_saveexec_b32 s88, s88
	v_mov_b32_e32 v0, 0x7f800001
	s_xor_b32 exec_lo, exec_lo, s88
	s_cbranch_execnz .LBB25_3617
.LBB25_3273:                            ;   in Loop: Header=BB25_17 Depth=1
	s_or_b32 exec_lo, exec_lo, s88
	s_and_saveexec_b32 s88, s79
	s_cbranch_execz .LBB25_3275
.LBB25_3274:                            ;   in Loop: Header=BB25_17 Depth=1
	v_and_b32_e32 v0, 0xffff, v2
	s_delay_alu instid0(VALU_DEP_1) | instskip(SKIP_1) | instid1(VALU_DEP_2)
	v_and_b32_e32 v3, 7, v0
	v_bfe_u32 v15, v0, 3, 4
	v_clz_i32_u32_e32 v13, v3
	s_delay_alu instid0(VALU_DEP_2) | instskip(NEXT) | instid1(VALU_DEP_2)
	v_cmp_eq_u32_e32 vcc_lo, 0, v15
	v_min_u32_e32 v13, 32, v13
	s_delay_alu instid0(VALU_DEP_1) | instskip(NEXT) | instid1(VALU_DEP_1)
	v_subrev_nc_u32_e32 v14, 28, v13
	v_dual_lshlrev_b32 v0, v14, v0 :: v_dual_sub_nc_u32 v13, 29, v13
	s_delay_alu instid0(VALU_DEP_1) | instskip(NEXT) | instid1(VALU_DEP_2)
	v_dual_lshlrev_b32 v2, 24, v2 :: v_dual_bitop2_b32 v0, 7, v0 bitop3:0x40
	v_cndmask_b32_e32 v13, v15, v13, vcc_lo
	s_delay_alu instid0(VALU_DEP_2) | instskip(NEXT) | instid1(VALU_DEP_3)
	v_cndmask_b32_e32 v0, v3, v0, vcc_lo
	v_and_b32_e32 v2, 0x80000000, v2
	s_delay_alu instid0(VALU_DEP_3) | instskip(NEXT) | instid1(VALU_DEP_3)
	v_lshl_add_u32 v3, v13, 23, 0x3b800000
	v_lshlrev_b32_e32 v0, 20, v0
	s_delay_alu instid0(VALU_DEP_1)
	v_or3_b32 v0, v2, v3, v0
.LBB25_3275:                            ;   in Loop: Header=BB25_17 Depth=1
	s_or_b32 exec_lo, exec_lo, s88
.LBB25_3276:                            ;   in Loop: Header=BB25_17 Depth=1
	s_delay_alu instid0(SALU_CYCLE_1) | instskip(NEXT) | instid1(SALU_CYCLE_1)
	s_or_b32 exec_lo, exec_lo, s78
	s_or_b32 s76, s76, exec_lo
.LBB25_3277:                            ;   in Loop: Header=BB25_17 Depth=1
	s_or_b32 exec_lo, exec_lo, s77
	s_delay_alu instid0(SALU_CYCLE_1)
	s_and_b32 s76, s76, exec_lo
                                        ; implicit-def: $vgpr13
                                        ; implicit-def: $vgpr2_vgpr3
.LBB25_3278:                            ;   in Loop: Header=BB25_17 Depth=1
	s_and_not1_saveexec_b32 s75, s75
	s_cbranch_execz .LBB25_3304
; %bb.3279:                             ;   in Loop: Header=BB25_17 Depth=1
	s_mov_b32 s78, s76
	s_mov_b32 s77, exec_lo
                                        ; implicit-def: $vgpr0
	v_cmpx_lt_i16_e32 22, v13
	s_xor_b32 s77, exec_lo, s77
	s_cbranch_execz .LBB25_3293
; %bb.3280:                             ;   in Loop: Header=BB25_17 Depth=1
	s_mov_b32 s78, exec_lo
                                        ; implicit-def: $vgpr0
	v_cmpx_lt_i16_e32 23, v13
	s_xor_b32 s78, exec_lo, s78
	s_cbranch_execz .LBB25_3290
; %bb.3281:                             ;   in Loop: Header=BB25_17 Depth=1
	;; [unrolled: 6-line block ×3, first 2 shown]
	flat_load_u8 v2, v[2:3]
	s_mov_b32 s88, 0
	s_mov_b32 s89, exec_lo
	s_wait_loadcnt_dscnt 0x0
	v_cmpx_lt_i16_e32 0x7f, v2
	s_xor_b32 s89, exec_lo, s89
	s_cbranch_execnz .LBB25_3626
; %bb.3283:                             ;   in Loop: Header=BB25_17 Depth=1
	s_or_saveexec_b32 s89, s89
	v_mov_b32_e32 v0, 0x7f800001
	s_xor_b32 exec_lo, exec_lo, s89
	s_cbranch_execnz .LBB25_3629
.LBB25_3284:                            ;   in Loop: Header=BB25_17 Depth=1
	s_or_b32 exec_lo, exec_lo, s89
	s_and_saveexec_b32 s89, s88
	s_cbranch_execz .LBB25_3286
.LBB25_3285:                            ;   in Loop: Header=BB25_17 Depth=1
	v_and_b32_e32 v0, 0xffff, v2
	s_delay_alu instid0(VALU_DEP_1) | instskip(SKIP_1) | instid1(VALU_DEP_2)
	v_and_b32_e32 v3, 3, v0
	v_bfe_u32 v15, v0, 2, 5
	v_clz_i32_u32_e32 v13, v3
	s_delay_alu instid0(VALU_DEP_2) | instskip(NEXT) | instid1(VALU_DEP_2)
	v_cmp_eq_u32_e32 vcc_lo, 0, v15
	v_min_u32_e32 v13, 32, v13
	s_delay_alu instid0(VALU_DEP_1) | instskip(NEXT) | instid1(VALU_DEP_1)
	v_subrev_nc_u32_e32 v14, 29, v13
	v_dual_lshlrev_b32 v0, v14, v0 :: v_dual_sub_nc_u32 v13, 30, v13
	s_delay_alu instid0(VALU_DEP_1) | instskip(NEXT) | instid1(VALU_DEP_2)
	v_dual_lshlrev_b32 v2, 24, v2 :: v_dual_bitop2_b32 v0, 3, v0 bitop3:0x40
	v_cndmask_b32_e32 v13, v15, v13, vcc_lo
	s_delay_alu instid0(VALU_DEP_2) | instskip(NEXT) | instid1(VALU_DEP_3)
	v_cndmask_b32_e32 v0, v3, v0, vcc_lo
	v_and_b32_e32 v2, 0x80000000, v2
	s_delay_alu instid0(VALU_DEP_3) | instskip(NEXT) | instid1(VALU_DEP_3)
	v_lshl_add_u32 v3, v13, 23, 0x37800000
	v_lshlrev_b32_e32 v0, 21, v0
	s_delay_alu instid0(VALU_DEP_1)
	v_or3_b32 v0, v2, v3, v0
.LBB25_3286:                            ;   in Loop: Header=BB25_17 Depth=1
	s_or_b32 exec_lo, exec_lo, s89
                                        ; implicit-def: $vgpr2_vgpr3
.LBB25_3287:                            ;   in Loop: Header=BB25_17 Depth=1
	s_and_not1_saveexec_b32 s79, s79
	s_cbranch_execz .LBB25_3289
; %bb.3288:                             ;   in Loop: Header=BB25_17 Depth=1
	flat_load_u8 v0, v[2:3]
	s_wait_loadcnt_dscnt 0x0
	v_lshlrev_b32_e32 v0, 24, v0
	s_wait_xcnt 0x0
	s_delay_alu instid0(VALU_DEP_1) | instskip(NEXT) | instid1(VALU_DEP_1)
	v_and_b32_e32 v2, 0x7f000000, v0
	v_clz_i32_u32_e32 v3, v2
	v_add_nc_u32_e32 v14, 0x1000000, v2
	v_cmp_ne_u32_e32 vcc_lo, 0, v2
	s_delay_alu instid0(VALU_DEP_3) | instskip(NEXT) | instid1(VALU_DEP_1)
	v_min_u32_e32 v3, 32, v3
	v_sub_nc_u32_e64 v3, v3, 4 clamp
	s_delay_alu instid0(VALU_DEP_1) | instskip(NEXT) | instid1(VALU_DEP_1)
	v_dual_lshlrev_b32 v13, v3, v2 :: v_dual_lshlrev_b32 v3, 23, v3
	v_lshrrev_b32_e32 v13, 4, v13
	s_delay_alu instid0(VALU_DEP_1) | instskip(NEXT) | instid1(VALU_DEP_1)
	v_dual_sub_nc_u32 v3, v13, v3 :: v_dual_ashrrev_i32 v13, 8, v14
	v_add_nc_u32_e32 v3, 0x3c000000, v3
	s_delay_alu instid0(VALU_DEP_1) | instskip(NEXT) | instid1(VALU_DEP_1)
	v_and_or_b32 v3, 0x7f800000, v13, v3
	v_cndmask_b32_e32 v2, 0, v3, vcc_lo
	s_delay_alu instid0(VALU_DEP_1)
	v_and_or_b32 v0, 0x80000000, v0, v2
.LBB25_3289:                            ;   in Loop: Header=BB25_17 Depth=1
	s_or_b32 exec_lo, exec_lo, s79
                                        ; implicit-def: $vgpr2_vgpr3
.LBB25_3290:                            ;   in Loop: Header=BB25_17 Depth=1
	s_and_not1_saveexec_b32 s78, s78
	s_cbranch_execz .LBB25_3292
; %bb.3291:                             ;   in Loop: Header=BB25_17 Depth=1
	flat_load_u8 v0, v[2:3]
	s_wait_loadcnt_dscnt 0x0
	v_lshlrev_b32_e32 v2, 25, v0
	v_lshlrev_b16 v0, 8, v0
	s_delay_alu instid0(VALU_DEP_1) | instskip(SKIP_1) | instid1(VALU_DEP_2)
	v_and_or_b32 v13, 0x7f00, v0, 0.5
	v_bfe_i32 v0, v0, 0, 16
	v_dual_add_f32 v13, -0.5, v13 :: v_dual_lshrrev_b32 v3, 4, v2
	v_cmp_gt_u32_e32 vcc_lo, 0x8000000, v2
	s_delay_alu instid0(VALU_DEP_2) | instskip(NEXT) | instid1(VALU_DEP_1)
	v_or_b32_e32 v3, 0x70000000, v3
	v_mul_f32_e32 v3, 0x7800000, v3
	s_delay_alu instid0(VALU_DEP_1) | instskip(NEXT) | instid1(VALU_DEP_1)
	v_cndmask_b32_e32 v2, v3, v13, vcc_lo
	v_and_or_b32 v0, 0x80000000, v0, v2
.LBB25_3292:                            ;   in Loop: Header=BB25_17 Depth=1
	s_or_b32 exec_lo, exec_lo, s78
	s_delay_alu instid0(SALU_CYCLE_1)
	s_or_b32 s78, s76, exec_lo
                                        ; implicit-def: $vgpr13
                                        ; implicit-def: $vgpr2_vgpr3
.LBB25_3293:                            ;   in Loop: Header=BB25_17 Depth=1
	s_and_not1_saveexec_b32 s77, s77
	s_cbranch_execz .LBB25_3303
; %bb.3294:                             ;   in Loop: Header=BB25_17 Depth=1
	s_mov_b32 s79, s78
	s_mov_b32 s88, exec_lo
                                        ; implicit-def: $vgpr0
	v_cmpx_lt_i16_e32 14, v13
	s_xor_b32 s88, exec_lo, s88
	s_cbranch_execz .LBB25_3298
; %bb.3295:                             ;   in Loop: Header=BB25_17 Depth=1
	s_mov_b32 s79, s78
	s_mov_b32 s89, exec_lo
                                        ; implicit-def: $vgpr0
	v_cmpx_eq_u16_e32 15, v13
	s_cbranch_execz .LBB25_3297
; %bb.3296:                             ;   in Loop: Header=BB25_17 Depth=1
	flat_load_u16 v0, v[2:3]
	s_or_b32 s79, s78, exec_lo
	s_wait_loadcnt_dscnt 0x0
	v_lshlrev_b32_e32 v0, 16, v0
.LBB25_3297:                            ;   in Loop: Header=BB25_17 Depth=1
	s_wait_xcnt 0x0
	s_or_b32 exec_lo, exec_lo, s89
	s_delay_alu instid0(SALU_CYCLE_1) | instskip(SKIP_1) | instid1(SALU_CYCLE_1)
	s_and_not1_b32 s89, s78, exec_lo
	s_and_b32 s79, s79, exec_lo
                                        ; implicit-def: $vgpr13
                                        ; implicit-def: $vgpr2_vgpr3
	s_or_b32 s79, s89, s79
.LBB25_3298:                            ;   in Loop: Header=BB25_17 Depth=1
	s_and_not1_saveexec_b32 s88, s88
	s_cbranch_execz .LBB25_3302
; %bb.3299:                             ;   in Loop: Header=BB25_17 Depth=1
	s_mov_b32 s89, s79
	s_mov_b32 s90, exec_lo
                                        ; implicit-def: $vgpr0
	v_cmpx_eq_u16_e32 11, v13
	s_cbranch_execz .LBB25_3301
; %bb.3300:                             ;   in Loop: Header=BB25_17 Depth=1
	flat_load_u8 v0, v[2:3]
	s_or_b32 s89, s79, exec_lo
	s_wait_loadcnt_dscnt 0x0
	v_cmp_ne_u16_e32 vcc_lo, 0, v0
	v_cndmask_b32_e64 v0, 0, 1.0, vcc_lo
.LBB25_3301:                            ;   in Loop: Header=BB25_17 Depth=1
	s_wait_xcnt 0x0
	s_or_b32 exec_lo, exec_lo, s90
	s_delay_alu instid0(SALU_CYCLE_1) | instskip(SKIP_1) | instid1(SALU_CYCLE_1)
	s_and_not1_b32 s79, s79, exec_lo
	s_and_b32 s89, s89, exec_lo
	s_or_b32 s79, s79, s89
.LBB25_3302:                            ;   in Loop: Header=BB25_17 Depth=1
	s_or_b32 exec_lo, exec_lo, s88
	s_delay_alu instid0(SALU_CYCLE_1) | instskip(SKIP_1) | instid1(SALU_CYCLE_1)
	s_and_not1_b32 s78, s78, exec_lo
	s_and_b32 s79, s79, exec_lo
	s_or_b32 s78, s78, s79
.LBB25_3303:                            ;   in Loop: Header=BB25_17 Depth=1
	s_or_b32 exec_lo, exec_lo, s77
	s_delay_alu instid0(SALU_CYCLE_1) | instskip(SKIP_1) | instid1(SALU_CYCLE_1)
	s_and_not1_b32 s76, s76, exec_lo
	s_and_b32 s77, s78, exec_lo
	s_or_b32 s76, s76, s77
.LBB25_3304:                            ;   in Loop: Header=BB25_17 Depth=1
	s_or_b32 exec_lo, exec_lo, s75
	s_delay_alu instid0(SALU_CYCLE_1)
	s_and_b32 s75, s76, exec_lo
                                        ; implicit-def: $vgpr13
                                        ; implicit-def: $vgpr2_vgpr3
	s_and_not1_saveexec_b32 s63, s63
	s_cbranch_execz .LBB25_1566
.LBB25_3305:                            ;   in Loop: Header=BB25_17 Depth=1
	s_mov_b32 s76, exec_lo
                                        ; implicit-def: $vgpr0
	v_cmpx_lt_i16_e32 4, v13
	s_xor_b32 s76, exec_lo, s76
	s_cbranch_execz .LBB25_3327
; %bb.3306:                             ;   in Loop: Header=BB25_17 Depth=1
	s_mov_b32 s77, exec_lo
                                        ; implicit-def: $vgpr0
	v_cmpx_lt_i16_e32 7, v13
	s_xor_b32 s77, exec_lo, s77
	s_cbranch_execz .LBB25_3316
; %bb.3307:                             ;   in Loop: Header=BB25_17 Depth=1
	;; [unrolled: 6-line block ×4, first 2 shown]
	flat_load_b64 v[2:3], v[2:3]
	s_wait_loadcnt_dscnt 0x0
	v_cvt_f32_f64_e32 v0, v[2:3]
                                        ; implicit-def: $vgpr2_vgpr3
.LBB25_3310:                            ;   in Loop: Header=BB25_17 Depth=1
	s_wait_xcnt 0x0
	s_and_not1_saveexec_b32 s79, s79
	s_cbranch_execz .LBB25_3312
; %bb.3311:                             ;   in Loop: Header=BB25_17 Depth=1
	flat_load_b32 v0, v[2:3]
.LBB25_3312:                            ;   in Loop: Header=BB25_17 Depth=1
	s_wait_xcnt 0x0
	s_or_b32 exec_lo, exec_lo, s79
                                        ; implicit-def: $vgpr2_vgpr3
.LBB25_3313:                            ;   in Loop: Header=BB25_17 Depth=1
	s_and_not1_saveexec_b32 s78, s78
	s_cbranch_execz .LBB25_3315
; %bb.3314:                             ;   in Loop: Header=BB25_17 Depth=1
	s_wait_loadcnt_dscnt 0x0
	flat_load_b32 v0, v[2:3]
	s_wait_loadcnt_dscnt 0x0
	v_cvt_f32_f16_e32 v0, v0
.LBB25_3315:                            ;   in Loop: Header=BB25_17 Depth=1
	s_wait_xcnt 0x0
	s_or_b32 exec_lo, exec_lo, s78
                                        ; implicit-def: $vgpr2_vgpr3
                                        ; implicit-def: $vgpr13
.LBB25_3316:                            ;   in Loop: Header=BB25_17 Depth=1
	s_and_not1_saveexec_b32 s77, s77
	s_cbranch_execz .LBB25_3326
; %bb.3317:                             ;   in Loop: Header=BB25_17 Depth=1
	s_mov_b32 s78, exec_lo
                                        ; implicit-def: $vgpr0
	v_cmpx_lt_i16_e32 5, v13
	s_xor_b32 s78, exec_lo, s78
	s_cbranch_execz .LBB25_3323
; %bb.3318:                             ;   in Loop: Header=BB25_17 Depth=1
	s_mov_b32 s79, exec_lo
                                        ; implicit-def: $vgpr0
	v_cmpx_lt_i16_e32 6, v13
	s_xor_b32 s79, exec_lo, s79
	s_cbranch_execz .LBB25_3320
; %bb.3319:                             ;   in Loop: Header=BB25_17 Depth=1
	flat_load_b64 v[2:3], v[2:3]
	s_wait_loadcnt_dscnt 0x0
	v_cvt_f32_f64_e32 v0, v[2:3]
                                        ; implicit-def: $vgpr2_vgpr3
.LBB25_3320:                            ;   in Loop: Header=BB25_17 Depth=1
	s_wait_xcnt 0x0
	s_and_not1_saveexec_b32 s79, s79
	s_cbranch_execz .LBB25_3322
; %bb.3321:                             ;   in Loop: Header=BB25_17 Depth=1
	s_wait_loadcnt_dscnt 0x0
	flat_load_b32 v0, v[2:3]
.LBB25_3322:                            ;   in Loop: Header=BB25_17 Depth=1
	s_wait_xcnt 0x0
	s_or_b32 exec_lo, exec_lo, s79
                                        ; implicit-def: $vgpr2_vgpr3
.LBB25_3323:                            ;   in Loop: Header=BB25_17 Depth=1
	s_and_not1_saveexec_b32 s78, s78
	s_cbranch_execz .LBB25_3325
; %bb.3324:                             ;   in Loop: Header=BB25_17 Depth=1
	s_wait_loadcnt_dscnt 0x0
	flat_load_u16 v0, v[2:3]
	s_wait_loadcnt_dscnt 0x0
	v_cvt_f32_f16_e32 v0, v0
.LBB25_3325:                            ;   in Loop: Header=BB25_17 Depth=1
	s_wait_xcnt 0x0
	s_or_b32 exec_lo, exec_lo, s78
.LBB25_3326:                            ;   in Loop: Header=BB25_17 Depth=1
	s_delay_alu instid0(SALU_CYCLE_1)
	s_or_b32 exec_lo, exec_lo, s77
                                        ; implicit-def: $vgpr13
                                        ; implicit-def: $vgpr2_vgpr3
.LBB25_3327:                            ;   in Loop: Header=BB25_17 Depth=1
	s_and_not1_saveexec_b32 s76, s76
	s_cbranch_execz .LBB25_3345
; %bb.3328:                             ;   in Loop: Header=BB25_17 Depth=1
	s_mov_b32 s77, exec_lo
                                        ; implicit-def: $vgpr0
	v_cmpx_lt_i16_e32 1, v13
	s_xor_b32 s77, exec_lo, s77
	s_cbranch_execz .LBB25_3338
; %bb.3329:                             ;   in Loop: Header=BB25_17 Depth=1
	s_mov_b32 s78, exec_lo
                                        ; implicit-def: $vgpr0
	v_cmpx_lt_i16_e32 2, v13
	s_xor_b32 s78, exec_lo, s78
	;; [unrolled: 6-line block ×3, first 2 shown]
	s_cbranch_execz .LBB25_3332
; %bb.3331:                             ;   in Loop: Header=BB25_17 Depth=1
	flat_load_b64 v[2:3], v[2:3]
	s_wait_loadcnt_dscnt 0x0
	v_xor_b32_e32 v0, v2, v3
	v_cls_i32_e32 v13, v3
	s_delay_alu instid0(VALU_DEP_2) | instskip(NEXT) | instid1(VALU_DEP_1)
	v_ashrrev_i32_e32 v0, 31, v0
	v_add_nc_u32_e32 v0, 32, v0
	s_delay_alu instid0(VALU_DEP_1) | instskip(SKIP_1) | instid1(VALU_DEP_1)
	v_add_min_u32_e64 v0, v13, -1, v0
	s_wait_xcnt 0x0
	v_lshlrev_b64_e32 v[2:3], v0, v[2:3]
	v_sub_nc_u32_e32 v0, 32, v0
	s_delay_alu instid0(VALU_DEP_2) | instskip(NEXT) | instid1(VALU_DEP_1)
	v_min_u32_e32 v2, 1, v2
	v_or_b32_e32 v2, v3, v2
	s_delay_alu instid0(VALU_DEP_1) | instskip(NEXT) | instid1(VALU_DEP_1)
	v_cvt_f32_i32_e32 v2, v2
	v_ldexp_f32 v0, v2, v0
                                        ; implicit-def: $vgpr2_vgpr3
.LBB25_3332:                            ;   in Loop: Header=BB25_17 Depth=1
	s_and_not1_saveexec_b32 s79, s79
	s_cbranch_execz .LBB25_3334
; %bb.3333:                             ;   in Loop: Header=BB25_17 Depth=1
	s_wait_loadcnt_dscnt 0x0
	flat_load_b32 v0, v[2:3]
	s_wait_loadcnt_dscnt 0x0
	v_cvt_f32_i32_e32 v0, v0
.LBB25_3334:                            ;   in Loop: Header=BB25_17 Depth=1
	s_wait_xcnt 0x0
	s_or_b32 exec_lo, exec_lo, s79
                                        ; implicit-def: $vgpr2_vgpr3
.LBB25_3335:                            ;   in Loop: Header=BB25_17 Depth=1
	s_and_not1_saveexec_b32 s78, s78
	s_cbranch_execz .LBB25_3337
; %bb.3336:                             ;   in Loop: Header=BB25_17 Depth=1
	s_wait_loadcnt_dscnt 0x0
	flat_load_i16 v0, v[2:3]
	s_wait_loadcnt_dscnt 0x0
	v_cvt_f32_i32_e32 v0, v0
.LBB25_3337:                            ;   in Loop: Header=BB25_17 Depth=1
	s_wait_xcnt 0x0
	s_or_b32 exec_lo, exec_lo, s78
                                        ; implicit-def: $vgpr2_vgpr3
                                        ; implicit-def: $vgpr13
.LBB25_3338:                            ;   in Loop: Header=BB25_17 Depth=1
	s_and_not1_saveexec_b32 s77, s77
	s_cbranch_execz .LBB25_3344
; %bb.3339:                             ;   in Loop: Header=BB25_17 Depth=1
	s_mov_b32 s78, exec_lo
                                        ; implicit-def: $vgpr0
	v_cmpx_lt_i16_e32 0, v13
	s_xor_b32 s78, exec_lo, s78
	s_cbranch_execz .LBB25_3341
; %bb.3340:                             ;   in Loop: Header=BB25_17 Depth=1
	s_wait_loadcnt_dscnt 0x0
	flat_load_i8 v0, v[2:3]
                                        ; implicit-def: $vgpr2_vgpr3
	s_wait_loadcnt_dscnt 0x0
	v_cvt_f32_i32_e32 v0, v0
.LBB25_3341:                            ;   in Loop: Header=BB25_17 Depth=1
	s_wait_xcnt 0x0
	s_and_not1_saveexec_b32 s78, s78
	s_cbranch_execz .LBB25_3343
; %bb.3342:                             ;   in Loop: Header=BB25_17 Depth=1
	s_wait_loadcnt_dscnt 0x0
	flat_load_u8 v0, v[2:3]
	s_wait_loadcnt_dscnt 0x0
	v_cvt_f32_ubyte0_e32 v0, v0
.LBB25_3343:                            ;   in Loop: Header=BB25_17 Depth=1
	s_wait_xcnt 0x0
	s_or_b32 exec_lo, exec_lo, s78
.LBB25_3344:                            ;   in Loop: Header=BB25_17 Depth=1
	s_delay_alu instid0(SALU_CYCLE_1)
	s_or_b32 exec_lo, exec_lo, s77
.LBB25_3345:                            ;   in Loop: Header=BB25_17 Depth=1
	s_delay_alu instid0(SALU_CYCLE_1) | instskip(NEXT) | instid1(SALU_CYCLE_1)
	s_or_b32 exec_lo, exec_lo, s76
	s_or_b32 s75, s75, exec_lo
	s_or_b32 exec_lo, exec_lo, s63
	s_mov_b32 s76, 0
	s_and_saveexec_b32 s63, s75
	s_cbranch_execnz .LBB25_1567
	s_branch .LBB25_1568
.LBB25_3346:                            ;   in Loop: Header=BB25_17 Depth=1
	s_mov_b32 s56, -1
	s_mov_b32 s58, exec_lo
	v_cmpx_eq_u16_e32 0x80, v2
; %bb.3347:                             ;   in Loop: Header=BB25_17 Depth=1
	s_xor_b32 s56, exec_lo, -1
; %bb.3348:                             ;   in Loop: Header=BB25_17 Depth=1
	s_or_b32 exec_lo, exec_lo, s58
	s_delay_alu instid0(SALU_CYCLE_1)
	s_and_b32 s56, s56, exec_lo
	s_or_saveexec_b32 s57, s57
	v_mov_b32_e32 v0, 0x7f800001
	s_xor_b32 exec_lo, exec_lo, s57
	s_cbranch_execz .LBB25_2704
.LBB25_3349:                            ;   in Loop: Header=BB25_17 Depth=1
	v_cmp_ne_u16_e32 vcc_lo, 0, v2
	v_mov_b32_e32 v0, 0
	s_and_not1_b32 s56, s56, exec_lo
	s_and_b32 s58, vcc_lo, exec_lo
	s_delay_alu instid0(SALU_CYCLE_1)
	s_or_b32 s56, s56, s58
	s_or_b32 exec_lo, exec_lo, s57
	s_and_saveexec_b32 s57, s56
	s_cbranch_execnz .LBB25_2705
	s_branch .LBB25_2706
.LBB25_3350:                            ;   in Loop: Header=BB25_17 Depth=1
	s_mov_b32 s58, -1
	s_mov_b32 s61, exec_lo
	v_cmpx_eq_u16_e32 0x80, v2
; %bb.3351:                             ;   in Loop: Header=BB25_17 Depth=1
	s_xor_b32 s58, exec_lo, -1
; %bb.3352:                             ;   in Loop: Header=BB25_17 Depth=1
	s_or_b32 exec_lo, exec_lo, s61
	s_delay_alu instid0(SALU_CYCLE_1)
	s_and_b32 s58, s58, exec_lo
	s_or_saveexec_b32 s59, s59
	v_mov_b32_e32 v0, 0x7f800001
	s_xor_b32 exec_lo, exec_lo, s59
	s_cbranch_execz .LBB25_2809
.LBB25_3353:                            ;   in Loop: Header=BB25_17 Depth=1
	v_cmp_ne_u16_e32 vcc_lo, 0, v2
	v_mov_b32_e32 v0, 0
	s_and_not1_b32 s58, s58, exec_lo
	s_and_b32 s61, vcc_lo, exec_lo
	s_delay_alu instid0(SALU_CYCLE_1)
	s_or_b32 s58, s58, s61
	s_or_b32 exec_lo, exec_lo, s59
	s_and_saveexec_b32 s59, s58
	s_cbranch_execnz .LBB25_2810
	s_branch .LBB25_2811
.LBB25_3354:                            ;   in Loop: Header=BB25_17 Depth=1
	s_mov_b32 s61, -1
	s_mov_b32 s63, exec_lo
	v_cmpx_eq_u16_e32 0x80, v2
; %bb.3355:                             ;   in Loop: Header=BB25_17 Depth=1
	s_xor_b32 s61, exec_lo, -1
; %bb.3356:                             ;   in Loop: Header=BB25_17 Depth=1
	s_or_b32 exec_lo, exec_lo, s63
	s_delay_alu instid0(SALU_CYCLE_1)
	s_and_b32 s61, s61, exec_lo
	s_or_saveexec_b32 s62, s62
	v_mov_b32_e32 v0, 0x7f800001
	s_xor_b32 exec_lo, exec_lo, s62
	s_cbranch_execz .LBB25_1167
.LBB25_3357:                            ;   in Loop: Header=BB25_17 Depth=1
	v_cmp_ne_u16_e32 vcc_lo, 0, v2
	v_mov_b32_e32 v0, 0
	s_and_not1_b32 s61, s61, exec_lo
	s_and_b32 s63, vcc_lo, exec_lo
	s_delay_alu instid0(SALU_CYCLE_1)
	s_or_b32 s61, s61, s63
	s_or_b32 exec_lo, exec_lo, s62
	s_and_saveexec_b32 s62, s61
	s_cbranch_execnz .LBB25_1168
	s_branch .LBB25_1169
.LBB25_3358:                            ;   in Loop: Header=BB25_17 Depth=1
	s_mov_b32 s63, -1
	s_mov_b32 s73, exec_lo
	v_cmpx_eq_u16_e32 0x80, v2
; %bb.3359:                             ;   in Loop: Header=BB25_17 Depth=1
	s_xor_b32 s63, exec_lo, -1
; %bb.3360:                             ;   in Loop: Header=BB25_17 Depth=1
	s_or_b32 exec_lo, exec_lo, s73
	s_delay_alu instid0(SALU_CYCLE_1)
	s_and_b32 s63, s63, exec_lo
	s_or_saveexec_b32 s72, s72
	v_mov_b32_e32 v0, 0x7f800001
	s_xor_b32 exec_lo, exec_lo, s72
	s_cbranch_execz .LBB25_1267
.LBB25_3361:                            ;   in Loop: Header=BB25_17 Depth=1
	v_cmp_ne_u16_e32 vcc_lo, 0, v2
	v_mov_b32_e32 v0, 0
	s_and_not1_b32 s63, s63, exec_lo
	s_and_b32 s73, vcc_lo, exec_lo
	s_delay_alu instid0(SALU_CYCLE_1)
	s_or_b32 s63, s63, s73
	s_or_b32 exec_lo, exec_lo, s72
	s_and_saveexec_b32 s72, s63
	s_cbranch_execnz .LBB25_1268
	s_branch .LBB25_1269
.LBB25_3362:                            ;   in Loop: Header=BB25_17 Depth=1
	s_mov_b32 s78, exec_lo
                                        ; implicit-def: $vgpr0
	v_cmpx_lt_i16_e32 25, v13
	s_xor_b32 s78, exec_lo, s78
	s_cbranch_execz .LBB25_3394
; %bb.3363:                             ;   in Loop: Header=BB25_17 Depth=1
	s_mov_b32 s88, exec_lo
                                        ; implicit-def: $vgpr0
	v_cmpx_lt_i16_e32 28, v13
	s_xor_b32 s88, exec_lo, s88
	s_cbranch_execz .LBB25_3379
; %bb.3364:                             ;   in Loop: Header=BB25_17 Depth=1
	s_mov_b32 s89, 0
	s_mov_b32 s79, exec_lo
                                        ; implicit-def: $vgpr0
	v_cmpx_lt_i16_e32 43, v13
	s_xor_b32 s79, exec_lo, s79
	s_cbranch_execz .LBB25_3374
; %bb.3365:                             ;   in Loop: Header=BB25_17 Depth=1
	s_mov_b32 s90, exec_lo
                                        ; implicit-def: $vgpr0
	v_cmpx_lt_i16_e32 45, v13
	s_xor_b32 s90, exec_lo, s90
	s_cbranch_execz .LBB25_3369
; %bb.3366:                             ;   in Loop: Header=BB25_17 Depth=1
	s_mov_b32 s91, exec_lo
                                        ; implicit-def: $vgpr0
	v_cmpx_eq_u16_e32 46, v13
	s_cbranch_execz .LBB25_3368
; %bb.3367:                             ;   in Loop: Header=BB25_17 Depth=1
	flat_load_b32 v0, v[2:3]
	s_mov_b32 s89, exec_lo
	s_wait_loadcnt_dscnt 0x0
	v_lshlrev_b32_e32 v0, 16, v0
.LBB25_3368:                            ;   in Loop: Header=BB25_17 Depth=1
	s_wait_xcnt 0x0
	s_or_b32 exec_lo, exec_lo, s91
	s_delay_alu instid0(SALU_CYCLE_1)
	s_and_b32 s89, s89, exec_lo
                                        ; implicit-def: $vgpr13
                                        ; implicit-def: $vgpr2_vgpr3
.LBB25_3369:                            ;   in Loop: Header=BB25_17 Depth=1
	s_and_not1_saveexec_b32 s90, s90
	s_cbranch_execz .LBB25_3373
; %bb.3370:                             ;   in Loop: Header=BB25_17 Depth=1
	s_mov_b32 s92, s89
	s_mov_b32 s91, exec_lo
                                        ; implicit-def: $vgpr0
	v_cmpx_eq_u16_e32 44, v13
	s_cbranch_execz .LBB25_3372
; %bb.3371:                             ;   in Loop: Header=BB25_17 Depth=1
	flat_load_u8 v0, v[2:3]
	s_or_b32 s92, s89, exec_lo
	s_wait_loadcnt_dscnt 0x0
	v_lshlrev_b32_e32 v2, 23, v0
	v_cmp_ne_u32_e32 vcc_lo, 0xff, v0
	s_delay_alu instid0(VALU_DEP_2) | instskip(SKIP_1) | instid1(VALU_DEP_2)
	v_cndmask_b32_e32 v2, 0x7f800001, v2, vcc_lo
	v_cmp_ne_u32_e32 vcc_lo, 0, v0
	v_cndmask_b32_e32 v0, 0x400000, v2, vcc_lo
.LBB25_3372:                            ;   in Loop: Header=BB25_17 Depth=1
	s_or_b32 exec_lo, exec_lo, s91
	s_delay_alu instid0(SALU_CYCLE_1) | instskip(SKIP_1) | instid1(SALU_CYCLE_1)
	s_and_not1_b32 s89, s89, exec_lo
	s_and_b32 s91, s92, exec_lo
	s_or_b32 s89, s89, s91
.LBB25_3373:                            ;   in Loop: Header=BB25_17 Depth=1
	s_or_b32 exec_lo, exec_lo, s90
	s_delay_alu instid0(SALU_CYCLE_1)
	s_and_b32 s89, s89, exec_lo
                                        ; implicit-def: $vgpr13
                                        ; implicit-def: $vgpr2_vgpr3
.LBB25_3374:                            ;   in Loop: Header=BB25_17 Depth=1
	s_and_not1_saveexec_b32 s79, s79
	s_cbranch_execz .LBB25_3378
; %bb.3375:                             ;   in Loop: Header=BB25_17 Depth=1
	s_mov_b32 s91, s89
	s_mov_b32 s90, exec_lo
                                        ; implicit-def: $vgpr0
	v_cmpx_eq_u16_e32 29, v13
	s_cbranch_execz .LBB25_3377
; %bb.3376:                             ;   in Loop: Header=BB25_17 Depth=1
	flat_load_b64 v[2:3], v[2:3]
	s_or_b32 s91, s89, exec_lo
	s_wait_loadcnt_dscnt 0x0
	v_clz_i32_u32_e32 v0, v3
	s_delay_alu instid0(VALU_DEP_1) | instskip(SKIP_1) | instid1(VALU_DEP_1)
	v_min_u32_e32 v0, 32, v0
	s_wait_xcnt 0x0
	v_lshlrev_b64_e32 v[2:3], v0, v[2:3]
	v_sub_nc_u32_e32 v0, 32, v0
	s_delay_alu instid0(VALU_DEP_2) | instskip(NEXT) | instid1(VALU_DEP_1)
	v_min_u32_e32 v2, 1, v2
	v_or_b32_e32 v2, v3, v2
	s_delay_alu instid0(VALU_DEP_1) | instskip(NEXT) | instid1(VALU_DEP_1)
	v_cvt_f32_u32_e32 v2, v2
	v_ldexp_f32 v0, v2, v0
.LBB25_3377:                            ;   in Loop: Header=BB25_17 Depth=1
	s_or_b32 exec_lo, exec_lo, s90
	s_delay_alu instid0(SALU_CYCLE_1) | instskip(SKIP_1) | instid1(SALU_CYCLE_1)
	s_and_not1_b32 s89, s89, exec_lo
	s_and_b32 s90, s91, exec_lo
	s_or_b32 s89, s89, s90
.LBB25_3378:                            ;   in Loop: Header=BB25_17 Depth=1
	s_or_b32 exec_lo, exec_lo, s79
	s_delay_alu instid0(SALU_CYCLE_1)
	s_and_b32 s79, s89, exec_lo
                                        ; implicit-def: $vgpr13
                                        ; implicit-def: $vgpr2_vgpr3
.LBB25_3379:                            ;   in Loop: Header=BB25_17 Depth=1
	s_and_not1_saveexec_b32 s88, s88
	s_cbranch_execz .LBB25_3393
; %bb.3380:                             ;   in Loop: Header=BB25_17 Depth=1
	s_mov_b32 s89, exec_lo
                                        ; implicit-def: $vgpr0
	v_cmpx_lt_i16_e32 26, v13
	s_xor_b32 s89, exec_lo, s89
	s_cbranch_execz .LBB25_3386
; %bb.3381:                             ;   in Loop: Header=BB25_17 Depth=1
	s_mov_b32 s90, exec_lo
                                        ; implicit-def: $vgpr0
	v_cmpx_lt_i16_e32 27, v13
	s_xor_b32 s90, exec_lo, s90
	s_cbranch_execz .LBB25_3383
; %bb.3382:                             ;   in Loop: Header=BB25_17 Depth=1
	flat_load_b32 v0, v[2:3]
                                        ; implicit-def: $vgpr2_vgpr3
	s_wait_loadcnt_dscnt 0x0
	v_cvt_f32_u32_e32 v0, v0
.LBB25_3383:                            ;   in Loop: Header=BB25_17 Depth=1
	s_wait_xcnt 0x0
	s_and_not1_saveexec_b32 s90, s90
	s_cbranch_execz .LBB25_3385
; %bb.3384:                             ;   in Loop: Header=BB25_17 Depth=1
	flat_load_u16 v0, v[2:3]
	s_wait_loadcnt_dscnt 0x0
	v_cvt_f32_u32_e32 v0, v0
.LBB25_3385:                            ;   in Loop: Header=BB25_17 Depth=1
	s_wait_xcnt 0x0
	s_or_b32 exec_lo, exec_lo, s90
                                        ; implicit-def: $vgpr2_vgpr3
.LBB25_3386:                            ;   in Loop: Header=BB25_17 Depth=1
	s_and_not1_saveexec_b32 s89, s89
	s_cbranch_execz .LBB25_3392
; %bb.3387:                             ;   in Loop: Header=BB25_17 Depth=1
	flat_load_u8 v2, v[2:3]
	s_mov_b32 s90, 0
	s_mov_b32 s91, exec_lo
	s_wait_loadcnt_dscnt 0x0
	v_cmpx_lt_i16_e32 0x7f, v2
	s_xor_b32 s91, exec_lo, s91
	s_cbranch_execnz .LBB25_3630
; %bb.3388:                             ;   in Loop: Header=BB25_17 Depth=1
	s_or_saveexec_b32 s91, s91
	v_mov_b32_e32 v0, 0x7f800001
	s_xor_b32 exec_lo, exec_lo, s91
	s_cbranch_execnz .LBB25_3633
.LBB25_3389:                            ;   in Loop: Header=BB25_17 Depth=1
	s_or_b32 exec_lo, exec_lo, s91
	s_and_saveexec_b32 s91, s90
	s_cbranch_execz .LBB25_3391
.LBB25_3390:                            ;   in Loop: Header=BB25_17 Depth=1
	v_and_b32_e32 v0, 0xffff, v2
	s_delay_alu instid0(VALU_DEP_1) | instskip(SKIP_1) | instid1(VALU_DEP_2)
	v_and_b32_e32 v3, 7, v0
	v_bfe_u32 v15, v0, 3, 4
	v_clz_i32_u32_e32 v13, v3
	s_delay_alu instid0(VALU_DEP_2) | instskip(NEXT) | instid1(VALU_DEP_2)
	v_cmp_eq_u32_e32 vcc_lo, 0, v15
	v_min_u32_e32 v13, 32, v13
	s_delay_alu instid0(VALU_DEP_1) | instskip(NEXT) | instid1(VALU_DEP_1)
	v_subrev_nc_u32_e32 v14, 28, v13
	v_dual_lshlrev_b32 v0, v14, v0 :: v_dual_sub_nc_u32 v13, 29, v13
	s_delay_alu instid0(VALU_DEP_1) | instskip(NEXT) | instid1(VALU_DEP_2)
	v_dual_lshlrev_b32 v2, 24, v2 :: v_dual_bitop2_b32 v0, 7, v0 bitop3:0x40
	v_cndmask_b32_e32 v13, v15, v13, vcc_lo
	s_delay_alu instid0(VALU_DEP_2) | instskip(NEXT) | instid1(VALU_DEP_3)
	v_cndmask_b32_e32 v0, v3, v0, vcc_lo
	v_and_b32_e32 v2, 0x80000000, v2
	s_delay_alu instid0(VALU_DEP_3) | instskip(NEXT) | instid1(VALU_DEP_3)
	v_lshl_add_u32 v3, v13, 23, 0x3b800000
	v_lshlrev_b32_e32 v0, 20, v0
	s_delay_alu instid0(VALU_DEP_1)
	v_or3_b32 v0, v2, v3, v0
.LBB25_3391:                            ;   in Loop: Header=BB25_17 Depth=1
	s_or_b32 exec_lo, exec_lo, s91
.LBB25_3392:                            ;   in Loop: Header=BB25_17 Depth=1
	s_delay_alu instid0(SALU_CYCLE_1) | instskip(NEXT) | instid1(SALU_CYCLE_1)
	s_or_b32 exec_lo, exec_lo, s89
	s_or_b32 s79, s79, exec_lo
.LBB25_3393:                            ;   in Loop: Header=BB25_17 Depth=1
	s_or_b32 exec_lo, exec_lo, s88
	s_delay_alu instid0(SALU_CYCLE_1)
	s_and_b32 s79, s79, exec_lo
                                        ; implicit-def: $vgpr13
                                        ; implicit-def: $vgpr2_vgpr3
.LBB25_3394:                            ;   in Loop: Header=BB25_17 Depth=1
	s_and_not1_saveexec_b32 s78, s78
	s_cbranch_execz .LBB25_3420
; %bb.3395:                             ;   in Loop: Header=BB25_17 Depth=1
	s_mov_b32 s89, s79
	s_mov_b32 s88, exec_lo
                                        ; implicit-def: $vgpr0
	v_cmpx_lt_i16_e32 22, v13
	s_xor_b32 s88, exec_lo, s88
	s_cbranch_execz .LBB25_3409
; %bb.3396:                             ;   in Loop: Header=BB25_17 Depth=1
	s_mov_b32 s89, exec_lo
                                        ; implicit-def: $vgpr0
	v_cmpx_lt_i16_e32 23, v13
	s_xor_b32 s89, exec_lo, s89
	s_cbranch_execz .LBB25_3406
; %bb.3397:                             ;   in Loop: Header=BB25_17 Depth=1
	;; [unrolled: 6-line block ×3, first 2 shown]
	flat_load_u8 v2, v[2:3]
	s_mov_b32 s91, 0
	s_mov_b32 s92, exec_lo
	s_wait_loadcnt_dscnt 0x0
	v_cmpx_lt_i16_e32 0x7f, v2
	s_xor_b32 s92, exec_lo, s92
	s_cbranch_execnz .LBB25_3638
; %bb.3399:                             ;   in Loop: Header=BB25_17 Depth=1
	s_or_saveexec_b32 s92, s92
	v_mov_b32_e32 v0, 0x7f800001
	s_xor_b32 exec_lo, exec_lo, s92
	s_cbranch_execnz .LBB25_3641
.LBB25_3400:                            ;   in Loop: Header=BB25_17 Depth=1
	s_or_b32 exec_lo, exec_lo, s92
	s_and_saveexec_b32 s92, s91
	s_cbranch_execz .LBB25_3402
.LBB25_3401:                            ;   in Loop: Header=BB25_17 Depth=1
	v_and_b32_e32 v0, 0xffff, v2
	s_delay_alu instid0(VALU_DEP_1) | instskip(SKIP_1) | instid1(VALU_DEP_2)
	v_and_b32_e32 v3, 3, v0
	v_bfe_u32 v15, v0, 2, 5
	v_clz_i32_u32_e32 v13, v3
	s_delay_alu instid0(VALU_DEP_2) | instskip(NEXT) | instid1(VALU_DEP_2)
	v_cmp_eq_u32_e32 vcc_lo, 0, v15
	v_min_u32_e32 v13, 32, v13
	s_delay_alu instid0(VALU_DEP_1) | instskip(NEXT) | instid1(VALU_DEP_1)
	v_subrev_nc_u32_e32 v14, 29, v13
	v_dual_lshlrev_b32 v0, v14, v0 :: v_dual_sub_nc_u32 v13, 30, v13
	s_delay_alu instid0(VALU_DEP_1) | instskip(NEXT) | instid1(VALU_DEP_2)
	v_dual_lshlrev_b32 v2, 24, v2 :: v_dual_bitop2_b32 v0, 3, v0 bitop3:0x40
	v_cndmask_b32_e32 v13, v15, v13, vcc_lo
	s_delay_alu instid0(VALU_DEP_2) | instskip(NEXT) | instid1(VALU_DEP_3)
	v_cndmask_b32_e32 v0, v3, v0, vcc_lo
	v_and_b32_e32 v2, 0x80000000, v2
	s_delay_alu instid0(VALU_DEP_3) | instskip(NEXT) | instid1(VALU_DEP_3)
	v_lshl_add_u32 v3, v13, 23, 0x37800000
	v_lshlrev_b32_e32 v0, 21, v0
	s_delay_alu instid0(VALU_DEP_1)
	v_or3_b32 v0, v2, v3, v0
.LBB25_3402:                            ;   in Loop: Header=BB25_17 Depth=1
	s_or_b32 exec_lo, exec_lo, s92
                                        ; implicit-def: $vgpr2_vgpr3
.LBB25_3403:                            ;   in Loop: Header=BB25_17 Depth=1
	s_and_not1_saveexec_b32 s90, s90
	s_cbranch_execz .LBB25_3405
; %bb.3404:                             ;   in Loop: Header=BB25_17 Depth=1
	flat_load_u8 v0, v[2:3]
	s_wait_loadcnt_dscnt 0x0
	v_lshlrev_b32_e32 v0, 24, v0
	s_wait_xcnt 0x0
	s_delay_alu instid0(VALU_DEP_1) | instskip(NEXT) | instid1(VALU_DEP_1)
	v_and_b32_e32 v2, 0x7f000000, v0
	v_clz_i32_u32_e32 v3, v2
	v_add_nc_u32_e32 v14, 0x1000000, v2
	v_cmp_ne_u32_e32 vcc_lo, 0, v2
	s_delay_alu instid0(VALU_DEP_3) | instskip(NEXT) | instid1(VALU_DEP_1)
	v_min_u32_e32 v3, 32, v3
	v_sub_nc_u32_e64 v3, v3, 4 clamp
	s_delay_alu instid0(VALU_DEP_1) | instskip(NEXT) | instid1(VALU_DEP_1)
	v_dual_lshlrev_b32 v13, v3, v2 :: v_dual_lshlrev_b32 v3, 23, v3
	v_lshrrev_b32_e32 v13, 4, v13
	s_delay_alu instid0(VALU_DEP_1) | instskip(NEXT) | instid1(VALU_DEP_1)
	v_dual_sub_nc_u32 v3, v13, v3 :: v_dual_ashrrev_i32 v13, 8, v14
	v_add_nc_u32_e32 v3, 0x3c000000, v3
	s_delay_alu instid0(VALU_DEP_1) | instskip(NEXT) | instid1(VALU_DEP_1)
	v_and_or_b32 v3, 0x7f800000, v13, v3
	v_cndmask_b32_e32 v2, 0, v3, vcc_lo
	s_delay_alu instid0(VALU_DEP_1)
	v_and_or_b32 v0, 0x80000000, v0, v2
.LBB25_3405:                            ;   in Loop: Header=BB25_17 Depth=1
	s_or_b32 exec_lo, exec_lo, s90
                                        ; implicit-def: $vgpr2_vgpr3
.LBB25_3406:                            ;   in Loop: Header=BB25_17 Depth=1
	s_and_not1_saveexec_b32 s89, s89
	s_cbranch_execz .LBB25_3408
; %bb.3407:                             ;   in Loop: Header=BB25_17 Depth=1
	flat_load_u8 v0, v[2:3]
	s_wait_loadcnt_dscnt 0x0
	v_lshlrev_b32_e32 v2, 25, v0
	v_lshlrev_b16 v0, 8, v0
	s_delay_alu instid0(VALU_DEP_1) | instskip(SKIP_1) | instid1(VALU_DEP_2)
	v_and_or_b32 v13, 0x7f00, v0, 0.5
	v_bfe_i32 v0, v0, 0, 16
	v_dual_add_f32 v13, -0.5, v13 :: v_dual_lshrrev_b32 v3, 4, v2
	v_cmp_gt_u32_e32 vcc_lo, 0x8000000, v2
	s_delay_alu instid0(VALU_DEP_2) | instskip(NEXT) | instid1(VALU_DEP_1)
	v_or_b32_e32 v3, 0x70000000, v3
	v_mul_f32_e32 v3, 0x7800000, v3
	s_delay_alu instid0(VALU_DEP_1) | instskip(NEXT) | instid1(VALU_DEP_1)
	v_cndmask_b32_e32 v2, v3, v13, vcc_lo
	v_and_or_b32 v0, 0x80000000, v0, v2
.LBB25_3408:                            ;   in Loop: Header=BB25_17 Depth=1
	s_or_b32 exec_lo, exec_lo, s89
	s_delay_alu instid0(SALU_CYCLE_1)
	s_or_b32 s89, s79, exec_lo
                                        ; implicit-def: $vgpr13
                                        ; implicit-def: $vgpr2_vgpr3
.LBB25_3409:                            ;   in Loop: Header=BB25_17 Depth=1
	s_and_not1_saveexec_b32 s88, s88
	s_cbranch_execz .LBB25_3419
; %bb.3410:                             ;   in Loop: Header=BB25_17 Depth=1
	s_mov_b32 s90, s89
	s_mov_b32 s91, exec_lo
                                        ; implicit-def: $vgpr0
	v_cmpx_lt_i16_e32 14, v13
	s_xor_b32 s91, exec_lo, s91
	s_cbranch_execz .LBB25_3414
; %bb.3411:                             ;   in Loop: Header=BB25_17 Depth=1
	s_mov_b32 s90, s89
	s_mov_b32 s92, exec_lo
                                        ; implicit-def: $vgpr0
	v_cmpx_eq_u16_e32 15, v13
	s_cbranch_execz .LBB25_3413
; %bb.3412:                             ;   in Loop: Header=BB25_17 Depth=1
	flat_load_u16 v0, v[2:3]
	s_or_b32 s90, s89, exec_lo
	s_wait_loadcnt_dscnt 0x0
	v_lshlrev_b32_e32 v0, 16, v0
.LBB25_3413:                            ;   in Loop: Header=BB25_17 Depth=1
	s_wait_xcnt 0x0
	s_or_b32 exec_lo, exec_lo, s92
	s_delay_alu instid0(SALU_CYCLE_1) | instskip(SKIP_1) | instid1(SALU_CYCLE_1)
	s_and_not1_b32 s92, s89, exec_lo
	s_and_b32 s90, s90, exec_lo
                                        ; implicit-def: $vgpr13
                                        ; implicit-def: $vgpr2_vgpr3
	s_or_b32 s90, s92, s90
.LBB25_3414:                            ;   in Loop: Header=BB25_17 Depth=1
	s_and_not1_saveexec_b32 s91, s91
	s_cbranch_execz .LBB25_3418
; %bb.3415:                             ;   in Loop: Header=BB25_17 Depth=1
	s_mov_b32 s92, s90
	s_mov_b32 s93, exec_lo
                                        ; implicit-def: $vgpr0
	v_cmpx_eq_u16_e32 11, v13
	s_cbranch_execz .LBB25_3417
; %bb.3416:                             ;   in Loop: Header=BB25_17 Depth=1
	flat_load_u8 v0, v[2:3]
	s_or_b32 s92, s90, exec_lo
	s_wait_loadcnt_dscnt 0x0
	v_cmp_ne_u16_e32 vcc_lo, 0, v0
	v_cndmask_b32_e64 v0, 0, 1.0, vcc_lo
.LBB25_3417:                            ;   in Loop: Header=BB25_17 Depth=1
	s_wait_xcnt 0x0
	s_or_b32 exec_lo, exec_lo, s93
	s_delay_alu instid0(SALU_CYCLE_1) | instskip(SKIP_1) | instid1(SALU_CYCLE_1)
	s_and_not1_b32 s90, s90, exec_lo
	s_and_b32 s92, s92, exec_lo
	s_or_b32 s90, s90, s92
.LBB25_3418:                            ;   in Loop: Header=BB25_17 Depth=1
	s_or_b32 exec_lo, exec_lo, s91
	s_delay_alu instid0(SALU_CYCLE_1) | instskip(SKIP_1) | instid1(SALU_CYCLE_1)
	s_and_not1_b32 s89, s89, exec_lo
	s_and_b32 s90, s90, exec_lo
	s_or_b32 s89, s89, s90
.LBB25_3419:                            ;   in Loop: Header=BB25_17 Depth=1
	s_or_b32 exec_lo, exec_lo, s88
	s_delay_alu instid0(SALU_CYCLE_1) | instskip(SKIP_1) | instid1(SALU_CYCLE_1)
	s_and_not1_b32 s79, s79, exec_lo
	s_and_b32 s88, s89, exec_lo
	s_or_b32 s79, s79, s88
.LBB25_3420:                            ;   in Loop: Header=BB25_17 Depth=1
	s_or_b32 exec_lo, exec_lo, s78
	s_delay_alu instid0(SALU_CYCLE_1)
	s_and_b32 s78, s79, exec_lo
                                        ; implicit-def: $vgpr13
                                        ; implicit-def: $vgpr2_vgpr3
	s_and_not1_saveexec_b32 s74, s74
	s_cbranch_execz .LBB25_1677
.LBB25_3421:                            ;   in Loop: Header=BB25_17 Depth=1
	s_mov_b32 s79, exec_lo
                                        ; implicit-def: $vgpr0
	v_cmpx_lt_i16_e32 4, v13
	s_xor_b32 s79, exec_lo, s79
	s_cbranch_execz .LBB25_3443
; %bb.3422:                             ;   in Loop: Header=BB25_17 Depth=1
	s_mov_b32 s88, exec_lo
                                        ; implicit-def: $vgpr0
	v_cmpx_lt_i16_e32 7, v13
	s_xor_b32 s88, exec_lo, s88
	s_cbranch_execz .LBB25_3432
; %bb.3423:                             ;   in Loop: Header=BB25_17 Depth=1
	;; [unrolled: 6-line block ×4, first 2 shown]
	flat_load_b64 v[2:3], v[2:3]
	s_wait_loadcnt_dscnt 0x0
	v_cvt_f32_f64_e32 v0, v[2:3]
                                        ; implicit-def: $vgpr2_vgpr3
.LBB25_3426:                            ;   in Loop: Header=BB25_17 Depth=1
	s_wait_xcnt 0x0
	s_and_not1_saveexec_b32 s90, s90
	s_cbranch_execz .LBB25_3428
; %bb.3427:                             ;   in Loop: Header=BB25_17 Depth=1
	flat_load_b32 v0, v[2:3]
.LBB25_3428:                            ;   in Loop: Header=BB25_17 Depth=1
	s_wait_xcnt 0x0
	s_or_b32 exec_lo, exec_lo, s90
                                        ; implicit-def: $vgpr2_vgpr3
.LBB25_3429:                            ;   in Loop: Header=BB25_17 Depth=1
	s_and_not1_saveexec_b32 s89, s89
	s_cbranch_execz .LBB25_3431
; %bb.3430:                             ;   in Loop: Header=BB25_17 Depth=1
	s_wait_loadcnt_dscnt 0x0
	flat_load_b32 v0, v[2:3]
	s_wait_loadcnt_dscnt 0x0
	v_cvt_f32_f16_e32 v0, v0
.LBB25_3431:                            ;   in Loop: Header=BB25_17 Depth=1
	s_wait_xcnt 0x0
	s_or_b32 exec_lo, exec_lo, s89
                                        ; implicit-def: $vgpr2_vgpr3
                                        ; implicit-def: $vgpr13
.LBB25_3432:                            ;   in Loop: Header=BB25_17 Depth=1
	s_and_not1_saveexec_b32 s88, s88
	s_cbranch_execz .LBB25_3442
; %bb.3433:                             ;   in Loop: Header=BB25_17 Depth=1
	s_mov_b32 s89, exec_lo
                                        ; implicit-def: $vgpr0
	v_cmpx_lt_i16_e32 5, v13
	s_xor_b32 s89, exec_lo, s89
	s_cbranch_execz .LBB25_3439
; %bb.3434:                             ;   in Loop: Header=BB25_17 Depth=1
	s_mov_b32 s90, exec_lo
                                        ; implicit-def: $vgpr0
	v_cmpx_lt_i16_e32 6, v13
	s_xor_b32 s90, exec_lo, s90
	s_cbranch_execz .LBB25_3436
; %bb.3435:                             ;   in Loop: Header=BB25_17 Depth=1
	flat_load_b64 v[2:3], v[2:3]
	s_wait_loadcnt_dscnt 0x0
	v_cvt_f32_f64_e32 v0, v[2:3]
                                        ; implicit-def: $vgpr2_vgpr3
.LBB25_3436:                            ;   in Loop: Header=BB25_17 Depth=1
	s_wait_xcnt 0x0
	s_and_not1_saveexec_b32 s90, s90
	s_cbranch_execz .LBB25_3438
; %bb.3437:                             ;   in Loop: Header=BB25_17 Depth=1
	s_wait_loadcnt_dscnt 0x0
	flat_load_b32 v0, v[2:3]
.LBB25_3438:                            ;   in Loop: Header=BB25_17 Depth=1
	s_wait_xcnt 0x0
	s_or_b32 exec_lo, exec_lo, s90
                                        ; implicit-def: $vgpr2_vgpr3
.LBB25_3439:                            ;   in Loop: Header=BB25_17 Depth=1
	s_and_not1_saveexec_b32 s89, s89
	s_cbranch_execz .LBB25_3441
; %bb.3440:                             ;   in Loop: Header=BB25_17 Depth=1
	s_wait_loadcnt_dscnt 0x0
	flat_load_u16 v0, v[2:3]
	s_wait_loadcnt_dscnt 0x0
	v_cvt_f32_f16_e32 v0, v0
.LBB25_3441:                            ;   in Loop: Header=BB25_17 Depth=1
	s_wait_xcnt 0x0
	s_or_b32 exec_lo, exec_lo, s89
.LBB25_3442:                            ;   in Loop: Header=BB25_17 Depth=1
	s_delay_alu instid0(SALU_CYCLE_1)
	s_or_b32 exec_lo, exec_lo, s88
                                        ; implicit-def: $vgpr13
                                        ; implicit-def: $vgpr2_vgpr3
.LBB25_3443:                            ;   in Loop: Header=BB25_17 Depth=1
	s_and_not1_saveexec_b32 s79, s79
	s_cbranch_execz .LBB25_3461
; %bb.3444:                             ;   in Loop: Header=BB25_17 Depth=1
	s_mov_b32 s88, exec_lo
                                        ; implicit-def: $vgpr0
	v_cmpx_lt_i16_e32 1, v13
	s_xor_b32 s88, exec_lo, s88
	s_cbranch_execz .LBB25_3454
; %bb.3445:                             ;   in Loop: Header=BB25_17 Depth=1
	s_mov_b32 s89, exec_lo
                                        ; implicit-def: $vgpr0
	v_cmpx_lt_i16_e32 2, v13
	s_xor_b32 s89, exec_lo, s89
	;; [unrolled: 6-line block ×3, first 2 shown]
	s_cbranch_execz .LBB25_3448
; %bb.3447:                             ;   in Loop: Header=BB25_17 Depth=1
	flat_load_b64 v[2:3], v[2:3]
	s_wait_loadcnt_dscnt 0x0
	v_xor_b32_e32 v0, v2, v3
	v_cls_i32_e32 v13, v3
	s_delay_alu instid0(VALU_DEP_2) | instskip(NEXT) | instid1(VALU_DEP_1)
	v_ashrrev_i32_e32 v0, 31, v0
	v_add_nc_u32_e32 v0, 32, v0
	s_delay_alu instid0(VALU_DEP_1) | instskip(SKIP_1) | instid1(VALU_DEP_1)
	v_add_min_u32_e64 v0, v13, -1, v0
	s_wait_xcnt 0x0
	v_lshlrev_b64_e32 v[2:3], v0, v[2:3]
	v_sub_nc_u32_e32 v0, 32, v0
	s_delay_alu instid0(VALU_DEP_2) | instskip(NEXT) | instid1(VALU_DEP_1)
	v_min_u32_e32 v2, 1, v2
	v_or_b32_e32 v2, v3, v2
	s_delay_alu instid0(VALU_DEP_1) | instskip(NEXT) | instid1(VALU_DEP_1)
	v_cvt_f32_i32_e32 v2, v2
	v_ldexp_f32 v0, v2, v0
                                        ; implicit-def: $vgpr2_vgpr3
.LBB25_3448:                            ;   in Loop: Header=BB25_17 Depth=1
	s_and_not1_saveexec_b32 s90, s90
	s_cbranch_execz .LBB25_3450
; %bb.3449:                             ;   in Loop: Header=BB25_17 Depth=1
	s_wait_loadcnt_dscnt 0x0
	flat_load_b32 v0, v[2:3]
	s_wait_loadcnt_dscnt 0x0
	v_cvt_f32_i32_e32 v0, v0
.LBB25_3450:                            ;   in Loop: Header=BB25_17 Depth=1
	s_wait_xcnt 0x0
	s_or_b32 exec_lo, exec_lo, s90
                                        ; implicit-def: $vgpr2_vgpr3
.LBB25_3451:                            ;   in Loop: Header=BB25_17 Depth=1
	s_and_not1_saveexec_b32 s89, s89
	s_cbranch_execz .LBB25_3453
; %bb.3452:                             ;   in Loop: Header=BB25_17 Depth=1
	s_wait_loadcnt_dscnt 0x0
	flat_load_i16 v0, v[2:3]
	s_wait_loadcnt_dscnt 0x0
	v_cvt_f32_i32_e32 v0, v0
.LBB25_3453:                            ;   in Loop: Header=BB25_17 Depth=1
	s_wait_xcnt 0x0
	s_or_b32 exec_lo, exec_lo, s89
                                        ; implicit-def: $vgpr2_vgpr3
                                        ; implicit-def: $vgpr13
.LBB25_3454:                            ;   in Loop: Header=BB25_17 Depth=1
	s_and_not1_saveexec_b32 s88, s88
	s_cbranch_execz .LBB25_3460
; %bb.3455:                             ;   in Loop: Header=BB25_17 Depth=1
	s_mov_b32 s89, exec_lo
                                        ; implicit-def: $vgpr0
	v_cmpx_lt_i16_e32 0, v13
	s_xor_b32 s89, exec_lo, s89
	s_cbranch_execz .LBB25_3457
; %bb.3456:                             ;   in Loop: Header=BB25_17 Depth=1
	s_wait_loadcnt_dscnt 0x0
	flat_load_i8 v0, v[2:3]
                                        ; implicit-def: $vgpr2_vgpr3
	s_wait_loadcnt_dscnt 0x0
	v_cvt_f32_i32_e32 v0, v0
.LBB25_3457:                            ;   in Loop: Header=BB25_17 Depth=1
	s_wait_xcnt 0x0
	s_and_not1_saveexec_b32 s89, s89
	s_cbranch_execz .LBB25_3459
; %bb.3458:                             ;   in Loop: Header=BB25_17 Depth=1
	s_wait_loadcnt_dscnt 0x0
	flat_load_u8 v0, v[2:3]
	s_wait_loadcnt_dscnt 0x0
	v_cvt_f32_ubyte0_e32 v0, v0
.LBB25_3459:                            ;   in Loop: Header=BB25_17 Depth=1
	s_wait_xcnt 0x0
	s_or_b32 exec_lo, exec_lo, s89
.LBB25_3460:                            ;   in Loop: Header=BB25_17 Depth=1
	s_delay_alu instid0(SALU_CYCLE_1)
	s_or_b32 exec_lo, exec_lo, s88
.LBB25_3461:                            ;   in Loop: Header=BB25_17 Depth=1
	s_delay_alu instid0(SALU_CYCLE_1) | instskip(NEXT) | instid1(SALU_CYCLE_1)
	s_or_b32 exec_lo, exec_lo, s79
	s_or_b32 s78, s78, exec_lo
	s_or_b32 exec_lo, exec_lo, s74
	s_mov_b32 s79, 0
	s_and_saveexec_b32 s74, s78
	s_cbranch_execnz .LBB25_1678
	s_branch .LBB25_1679
.LBB25_3462:                            ;   in Loop: Header=BB25_17 Depth=1
	s_mov_b32 s59, -1
	s_mov_b32 s62, exec_lo
	v_cmpx_eq_u16_e32 0x80, v2
; %bb.3463:                             ;   in Loop: Header=BB25_17 Depth=1
	s_xor_b32 s59, exec_lo, -1
; %bb.3464:                             ;   in Loop: Header=BB25_17 Depth=1
	s_or_b32 exec_lo, exec_lo, s62
	s_delay_alu instid0(SALU_CYCLE_1)
	s_and_b32 s59, s59, exec_lo
	s_or_saveexec_b32 s61, s61
	v_mov_b32_e32 v0, 0x7f800001
	s_xor_b32 exec_lo, exec_lo, s61
	s_cbranch_execz .LBB25_2820
.LBB25_3465:                            ;   in Loop: Header=BB25_17 Depth=1
	v_cmp_ne_u16_e32 vcc_lo, 0, v2
	v_mov_b32_e32 v0, 0
	s_and_not1_b32 s59, s59, exec_lo
	s_and_b32 s62, vcc_lo, exec_lo
	s_delay_alu instid0(SALU_CYCLE_1)
	s_or_b32 s59, s59, s62
	s_or_b32 exec_lo, exec_lo, s61
	s_and_saveexec_b32 s61, s59
	s_cbranch_execnz .LBB25_2821
	s_branch .LBB25_2822
.LBB25_3466:                            ;   in Loop: Header=BB25_17 Depth=1
	s_mov_b32 s62, -1
	s_mov_b32 s72, exec_lo
	v_cmpx_eq_u16_e32 0x80, v2
; %bb.3467:                             ;   in Loop: Header=BB25_17 Depth=1
	s_xor_b32 s62, exec_lo, -1
; %bb.3468:                             ;   in Loop: Header=BB25_17 Depth=1
	s_or_b32 exec_lo, exec_lo, s72
	s_delay_alu instid0(SALU_CYCLE_1)
	s_and_b32 s62, s62, exec_lo
	s_or_saveexec_b32 s63, s63
	v_mov_b32_e32 v0, 0x7f800001
	s_xor_b32 exec_lo, exec_lo, s63
	s_cbranch_execz .LBB25_2925
.LBB25_3469:                            ;   in Loop: Header=BB25_17 Depth=1
	v_cmp_ne_u16_e32 vcc_lo, 0, v2
	v_mov_b32_e32 v0, 0
	s_and_not1_b32 s62, s62, exec_lo
	s_and_b32 s72, vcc_lo, exec_lo
	s_delay_alu instid0(SALU_CYCLE_1)
	s_or_b32 s62, s62, s72
	s_or_b32 exec_lo, exec_lo, s63
	s_and_saveexec_b32 s63, s62
	s_cbranch_execnz .LBB25_2926
	s_branch .LBB25_2927
.LBB25_3470:                            ;   in Loop: Header=BB25_17 Depth=1
	s_mov_b32 s72, -1
	s_mov_b32 s74, exec_lo
	v_cmpx_eq_u16_e32 0x80, v2
; %bb.3471:                             ;   in Loop: Header=BB25_17 Depth=1
	s_xor_b32 s72, exec_lo, -1
; %bb.3472:                             ;   in Loop: Header=BB25_17 Depth=1
	s_or_b32 exec_lo, exec_lo, s74
	s_delay_alu instid0(SALU_CYCLE_1)
	s_and_b32 s72, s72, exec_lo
	s_or_saveexec_b32 s73, s73
	v_mov_b32_e32 v0, 0x7f800001
	s_xor_b32 exec_lo, exec_lo, s73
	s_cbranch_execz .LBB25_1278
.LBB25_3473:                            ;   in Loop: Header=BB25_17 Depth=1
	v_cmp_ne_u16_e32 vcc_lo, 0, v2
	v_mov_b32_e32 v0, 0
	s_and_not1_b32 s72, s72, exec_lo
	s_and_b32 s74, vcc_lo, exec_lo
	s_delay_alu instid0(SALU_CYCLE_1)
	s_or_b32 s72, s72, s74
	s_or_b32 exec_lo, exec_lo, s73
	s_and_saveexec_b32 s73, s72
	s_cbranch_execnz .LBB25_1279
	s_branch .LBB25_1280
.LBB25_3474:                            ;   in Loop: Header=BB25_17 Depth=1
	s_mov_b32 s74, -1
	s_mov_b32 s76, exec_lo
	v_cmpx_eq_u16_e32 0x80, v2
; %bb.3475:                             ;   in Loop: Header=BB25_17 Depth=1
	s_xor_b32 s74, exec_lo, -1
; %bb.3476:                             ;   in Loop: Header=BB25_17 Depth=1
	s_or_b32 exec_lo, exec_lo, s76
	s_delay_alu instid0(SALU_CYCLE_1)
	s_and_b32 s74, s74, exec_lo
	s_or_saveexec_b32 s75, s75
	v_mov_b32_e32 v0, 0x7f800001
	s_xor_b32 exec_lo, exec_lo, s75
	s_cbranch_execz .LBB25_1378
.LBB25_3477:                            ;   in Loop: Header=BB25_17 Depth=1
	v_cmp_ne_u16_e32 vcc_lo, 0, v2
	v_mov_b32_e32 v0, 0
	s_and_not1_b32 s74, s74, exec_lo
	s_and_b32 s76, vcc_lo, exec_lo
	s_delay_alu instid0(SALU_CYCLE_1)
	s_or_b32 s74, s74, s76
	s_or_b32 exec_lo, exec_lo, s75
	s_and_saveexec_b32 s75, s74
	s_cbranch_execnz .LBB25_1379
	s_branch .LBB25_1380
.LBB25_3478:                            ;   in Loop: Header=BB25_17 Depth=1
	s_mov_b32 s89, exec_lo
                                        ; implicit-def: $vgpr0
	v_cmpx_lt_i16_e32 25, v13
	s_xor_b32 s89, exec_lo, s89
	s_cbranch_execz .LBB25_3510
; %bb.3479:                             ;   in Loop: Header=BB25_17 Depth=1
	s_mov_b32 s91, exec_lo
                                        ; implicit-def: $vgpr0
	v_cmpx_lt_i16_e32 28, v13
	s_xor_b32 s91, exec_lo, s91
	s_cbranch_execz .LBB25_3495
; %bb.3480:                             ;   in Loop: Header=BB25_17 Depth=1
	s_mov_b32 s92, 0
	s_mov_b32 s90, exec_lo
                                        ; implicit-def: $vgpr0
	v_cmpx_lt_i16_e32 43, v13
	s_xor_b32 s90, exec_lo, s90
	s_cbranch_execz .LBB25_3490
; %bb.3481:                             ;   in Loop: Header=BB25_17 Depth=1
	s_mov_b32 s93, exec_lo
                                        ; implicit-def: $vgpr0
	v_cmpx_lt_i16_e32 45, v13
	s_xor_b32 s93, exec_lo, s93
	s_cbranch_execz .LBB25_3485
; %bb.3482:                             ;   in Loop: Header=BB25_17 Depth=1
	s_mov_b32 s94, exec_lo
                                        ; implicit-def: $vgpr0
	v_cmpx_eq_u16_e32 46, v13
	s_cbranch_execz .LBB25_3484
; %bb.3483:                             ;   in Loop: Header=BB25_17 Depth=1
	flat_load_b32 v0, v[2:3]
	s_mov_b32 s92, exec_lo
	s_wait_loadcnt_dscnt 0x0
	v_lshlrev_b32_e32 v0, 16, v0
.LBB25_3484:                            ;   in Loop: Header=BB25_17 Depth=1
	s_wait_xcnt 0x0
	s_or_b32 exec_lo, exec_lo, s94
	s_delay_alu instid0(SALU_CYCLE_1)
	s_and_b32 s92, s92, exec_lo
                                        ; implicit-def: $vgpr13
                                        ; implicit-def: $vgpr2_vgpr3
.LBB25_3485:                            ;   in Loop: Header=BB25_17 Depth=1
	s_and_not1_saveexec_b32 s93, s93
	s_cbranch_execz .LBB25_3489
; %bb.3486:                             ;   in Loop: Header=BB25_17 Depth=1
	s_mov_b32 s95, s92
	s_mov_b32 s94, exec_lo
                                        ; implicit-def: $vgpr0
	v_cmpx_eq_u16_e32 44, v13
	s_cbranch_execz .LBB25_3488
; %bb.3487:                             ;   in Loop: Header=BB25_17 Depth=1
	flat_load_u8 v0, v[2:3]
	s_or_b32 s95, s92, exec_lo
	s_wait_loadcnt_dscnt 0x0
	v_lshlrev_b32_e32 v2, 23, v0
	v_cmp_ne_u32_e32 vcc_lo, 0xff, v0
	s_delay_alu instid0(VALU_DEP_2) | instskip(SKIP_1) | instid1(VALU_DEP_2)
	v_cndmask_b32_e32 v2, 0x7f800001, v2, vcc_lo
	v_cmp_ne_u32_e32 vcc_lo, 0, v0
	v_cndmask_b32_e32 v0, 0x400000, v2, vcc_lo
.LBB25_3488:                            ;   in Loop: Header=BB25_17 Depth=1
	s_or_b32 exec_lo, exec_lo, s94
	s_delay_alu instid0(SALU_CYCLE_1) | instskip(SKIP_1) | instid1(SALU_CYCLE_1)
	s_and_not1_b32 s92, s92, exec_lo
	s_and_b32 s94, s95, exec_lo
	s_or_b32 s92, s92, s94
.LBB25_3489:                            ;   in Loop: Header=BB25_17 Depth=1
	s_or_b32 exec_lo, exec_lo, s93
	s_delay_alu instid0(SALU_CYCLE_1)
	s_and_b32 s92, s92, exec_lo
                                        ; implicit-def: $vgpr13
                                        ; implicit-def: $vgpr2_vgpr3
.LBB25_3490:                            ;   in Loop: Header=BB25_17 Depth=1
	s_and_not1_saveexec_b32 s90, s90
	s_cbranch_execz .LBB25_3494
; %bb.3491:                             ;   in Loop: Header=BB25_17 Depth=1
	s_mov_b32 s94, s92
	s_mov_b32 s93, exec_lo
                                        ; implicit-def: $vgpr0
	v_cmpx_eq_u16_e32 29, v13
	s_cbranch_execz .LBB25_3493
; %bb.3492:                             ;   in Loop: Header=BB25_17 Depth=1
	flat_load_b64 v[2:3], v[2:3]
	s_or_b32 s94, s92, exec_lo
	s_wait_loadcnt_dscnt 0x0
	v_clz_i32_u32_e32 v0, v3
	s_delay_alu instid0(VALU_DEP_1) | instskip(SKIP_1) | instid1(VALU_DEP_1)
	v_min_u32_e32 v0, 32, v0
	s_wait_xcnt 0x0
	v_lshlrev_b64_e32 v[2:3], v0, v[2:3]
	v_sub_nc_u32_e32 v0, 32, v0
	s_delay_alu instid0(VALU_DEP_2) | instskip(NEXT) | instid1(VALU_DEP_1)
	v_min_u32_e32 v2, 1, v2
	v_or_b32_e32 v2, v3, v2
	s_delay_alu instid0(VALU_DEP_1) | instskip(NEXT) | instid1(VALU_DEP_1)
	v_cvt_f32_u32_e32 v2, v2
	v_ldexp_f32 v0, v2, v0
.LBB25_3493:                            ;   in Loop: Header=BB25_17 Depth=1
	s_or_b32 exec_lo, exec_lo, s93
	s_delay_alu instid0(SALU_CYCLE_1) | instskip(SKIP_1) | instid1(SALU_CYCLE_1)
	s_and_not1_b32 s92, s92, exec_lo
	s_and_b32 s93, s94, exec_lo
	s_or_b32 s92, s92, s93
.LBB25_3494:                            ;   in Loop: Header=BB25_17 Depth=1
	s_or_b32 exec_lo, exec_lo, s90
	s_delay_alu instid0(SALU_CYCLE_1)
	s_and_b32 s90, s92, exec_lo
                                        ; implicit-def: $vgpr13
                                        ; implicit-def: $vgpr2_vgpr3
.LBB25_3495:                            ;   in Loop: Header=BB25_17 Depth=1
	s_and_not1_saveexec_b32 s91, s91
	s_cbranch_execz .LBB25_3509
; %bb.3496:                             ;   in Loop: Header=BB25_17 Depth=1
	s_mov_b32 s92, exec_lo
                                        ; implicit-def: $vgpr0
	v_cmpx_lt_i16_e32 26, v13
	s_xor_b32 s92, exec_lo, s92
	s_cbranch_execz .LBB25_3502
; %bb.3497:                             ;   in Loop: Header=BB25_17 Depth=1
	s_mov_b32 s93, exec_lo
                                        ; implicit-def: $vgpr0
	v_cmpx_lt_i16_e32 27, v13
	s_xor_b32 s93, exec_lo, s93
	s_cbranch_execz .LBB25_3499
; %bb.3498:                             ;   in Loop: Header=BB25_17 Depth=1
	flat_load_b32 v0, v[2:3]
                                        ; implicit-def: $vgpr2_vgpr3
	s_wait_loadcnt_dscnt 0x0
	v_cvt_f32_u32_e32 v0, v0
.LBB25_3499:                            ;   in Loop: Header=BB25_17 Depth=1
	s_wait_xcnt 0x0
	s_and_not1_saveexec_b32 s93, s93
	s_cbranch_execz .LBB25_3501
; %bb.3500:                             ;   in Loop: Header=BB25_17 Depth=1
	flat_load_u16 v0, v[2:3]
	s_wait_loadcnt_dscnt 0x0
	v_cvt_f32_u32_e32 v0, v0
.LBB25_3501:                            ;   in Loop: Header=BB25_17 Depth=1
	s_wait_xcnt 0x0
	s_or_b32 exec_lo, exec_lo, s93
                                        ; implicit-def: $vgpr2_vgpr3
.LBB25_3502:                            ;   in Loop: Header=BB25_17 Depth=1
	s_and_not1_saveexec_b32 s92, s92
	s_cbranch_execz .LBB25_3508
; %bb.3503:                             ;   in Loop: Header=BB25_17 Depth=1
	flat_load_u8 v2, v[2:3]
	s_mov_b32 s93, 0
	s_mov_b32 s94, exec_lo
	s_wait_loadcnt_dscnt 0x0
	v_cmpx_lt_i16_e32 0x7f, v2
	s_xor_b32 s94, exec_lo, s94
	s_cbranch_execnz .LBB25_3642
; %bb.3504:                             ;   in Loop: Header=BB25_17 Depth=1
	s_or_saveexec_b32 s94, s94
	v_mov_b32_e32 v0, 0x7f800001
	s_xor_b32 exec_lo, exec_lo, s94
	s_cbranch_execnz .LBB25_3645
.LBB25_3505:                            ;   in Loop: Header=BB25_17 Depth=1
	s_or_b32 exec_lo, exec_lo, s94
	s_and_saveexec_b32 s94, s93
	s_cbranch_execz .LBB25_3507
.LBB25_3506:                            ;   in Loop: Header=BB25_17 Depth=1
	v_and_b32_e32 v0, 0xffff, v2
	s_delay_alu instid0(VALU_DEP_1) | instskip(SKIP_1) | instid1(VALU_DEP_2)
	v_and_b32_e32 v3, 7, v0
	v_bfe_u32 v15, v0, 3, 4
	v_clz_i32_u32_e32 v13, v3
	s_delay_alu instid0(VALU_DEP_2) | instskip(NEXT) | instid1(VALU_DEP_2)
	v_cmp_eq_u32_e32 vcc_lo, 0, v15
	v_min_u32_e32 v13, 32, v13
	s_delay_alu instid0(VALU_DEP_1) | instskip(NEXT) | instid1(VALU_DEP_1)
	v_subrev_nc_u32_e32 v14, 28, v13
	v_dual_lshlrev_b32 v0, v14, v0 :: v_dual_sub_nc_u32 v13, 29, v13
	s_delay_alu instid0(VALU_DEP_1) | instskip(NEXT) | instid1(VALU_DEP_2)
	v_dual_lshlrev_b32 v2, 24, v2 :: v_dual_bitop2_b32 v0, 7, v0 bitop3:0x40
	v_cndmask_b32_e32 v13, v15, v13, vcc_lo
	s_delay_alu instid0(VALU_DEP_2) | instskip(NEXT) | instid1(VALU_DEP_3)
	v_cndmask_b32_e32 v0, v3, v0, vcc_lo
	v_and_b32_e32 v2, 0x80000000, v2
	s_delay_alu instid0(VALU_DEP_3) | instskip(NEXT) | instid1(VALU_DEP_3)
	v_lshl_add_u32 v3, v13, 23, 0x3b800000
	v_lshlrev_b32_e32 v0, 20, v0
	s_delay_alu instid0(VALU_DEP_1)
	v_or3_b32 v0, v2, v3, v0
.LBB25_3507:                            ;   in Loop: Header=BB25_17 Depth=1
	s_or_b32 exec_lo, exec_lo, s94
.LBB25_3508:                            ;   in Loop: Header=BB25_17 Depth=1
	s_delay_alu instid0(SALU_CYCLE_1) | instskip(NEXT) | instid1(SALU_CYCLE_1)
	s_or_b32 exec_lo, exec_lo, s92
	s_or_b32 s90, s90, exec_lo
.LBB25_3509:                            ;   in Loop: Header=BB25_17 Depth=1
	s_or_b32 exec_lo, exec_lo, s91
	s_delay_alu instid0(SALU_CYCLE_1)
	s_and_b32 s90, s90, exec_lo
                                        ; implicit-def: $vgpr13
                                        ; implicit-def: $vgpr2_vgpr3
.LBB25_3510:                            ;   in Loop: Header=BB25_17 Depth=1
	s_and_not1_saveexec_b32 s89, s89
	s_cbranch_execz .LBB25_3536
; %bb.3511:                             ;   in Loop: Header=BB25_17 Depth=1
	s_mov_b32 s92, s90
	s_mov_b32 s91, exec_lo
                                        ; implicit-def: $vgpr0
	v_cmpx_lt_i16_e32 22, v13
	s_xor_b32 s91, exec_lo, s91
	s_cbranch_execz .LBB25_3525
; %bb.3512:                             ;   in Loop: Header=BB25_17 Depth=1
	s_mov_b32 s92, exec_lo
                                        ; implicit-def: $vgpr0
	v_cmpx_lt_i16_e32 23, v13
	s_xor_b32 s92, exec_lo, s92
	s_cbranch_execz .LBB25_3522
; %bb.3513:                             ;   in Loop: Header=BB25_17 Depth=1
	s_mov_b32 s93, exec_lo
                                        ; implicit-def: $vgpr0
	v_cmpx_lt_i16_e32 24, v13
	s_xor_b32 s93, exec_lo, s93
	s_cbranch_execz .LBB25_3519
; %bb.3514:                             ;   in Loop: Header=BB25_17 Depth=1
	flat_load_u8 v2, v[2:3]
	s_mov_b32 s94, 0
	s_mov_b32 s95, exec_lo
	s_wait_loadcnt_dscnt 0x0
	v_cmpx_lt_i16_e32 0x7f, v2
	s_xor_b32 s95, exec_lo, s95
	s_cbranch_execnz .LBB25_3646
; %bb.3515:                             ;   in Loop: Header=BB25_17 Depth=1
	s_or_saveexec_b32 s95, s95
	v_mov_b32_e32 v0, 0x7f800001
	s_xor_b32 exec_lo, exec_lo, s95
	s_cbranch_execnz .LBB25_3649
.LBB25_3516:                            ;   in Loop: Header=BB25_17 Depth=1
	s_or_b32 exec_lo, exec_lo, s95
	s_and_saveexec_b32 s95, s94
	s_cbranch_execz .LBB25_3518
.LBB25_3517:                            ;   in Loop: Header=BB25_17 Depth=1
	v_and_b32_e32 v0, 0xffff, v2
	s_delay_alu instid0(VALU_DEP_1) | instskip(SKIP_1) | instid1(VALU_DEP_2)
	v_and_b32_e32 v3, 3, v0
	v_bfe_u32 v15, v0, 2, 5
	v_clz_i32_u32_e32 v13, v3
	s_delay_alu instid0(VALU_DEP_2) | instskip(NEXT) | instid1(VALU_DEP_2)
	v_cmp_eq_u32_e32 vcc_lo, 0, v15
	v_min_u32_e32 v13, 32, v13
	s_delay_alu instid0(VALU_DEP_1) | instskip(NEXT) | instid1(VALU_DEP_1)
	v_subrev_nc_u32_e32 v14, 29, v13
	v_dual_lshlrev_b32 v0, v14, v0 :: v_dual_sub_nc_u32 v13, 30, v13
	s_delay_alu instid0(VALU_DEP_1) | instskip(NEXT) | instid1(VALU_DEP_2)
	v_dual_lshlrev_b32 v2, 24, v2 :: v_dual_bitop2_b32 v0, 3, v0 bitop3:0x40
	v_cndmask_b32_e32 v13, v15, v13, vcc_lo
	s_delay_alu instid0(VALU_DEP_2) | instskip(NEXT) | instid1(VALU_DEP_3)
	v_cndmask_b32_e32 v0, v3, v0, vcc_lo
	v_and_b32_e32 v2, 0x80000000, v2
	s_delay_alu instid0(VALU_DEP_3) | instskip(NEXT) | instid1(VALU_DEP_3)
	v_lshl_add_u32 v3, v13, 23, 0x37800000
	v_lshlrev_b32_e32 v0, 21, v0
	s_delay_alu instid0(VALU_DEP_1)
	v_or3_b32 v0, v2, v3, v0
.LBB25_3518:                            ;   in Loop: Header=BB25_17 Depth=1
	s_or_b32 exec_lo, exec_lo, s95
                                        ; implicit-def: $vgpr2_vgpr3
.LBB25_3519:                            ;   in Loop: Header=BB25_17 Depth=1
	s_and_not1_saveexec_b32 s93, s93
	s_cbranch_execz .LBB25_3521
; %bb.3520:                             ;   in Loop: Header=BB25_17 Depth=1
	flat_load_u8 v0, v[2:3]
	s_wait_loadcnt_dscnt 0x0
	v_lshlrev_b32_e32 v0, 24, v0
	s_wait_xcnt 0x0
	s_delay_alu instid0(VALU_DEP_1) | instskip(NEXT) | instid1(VALU_DEP_1)
	v_and_b32_e32 v2, 0x7f000000, v0
	v_clz_i32_u32_e32 v3, v2
	v_add_nc_u32_e32 v14, 0x1000000, v2
	v_cmp_ne_u32_e32 vcc_lo, 0, v2
	s_delay_alu instid0(VALU_DEP_3) | instskip(NEXT) | instid1(VALU_DEP_1)
	v_min_u32_e32 v3, 32, v3
	v_sub_nc_u32_e64 v3, v3, 4 clamp
	s_delay_alu instid0(VALU_DEP_1) | instskip(NEXT) | instid1(VALU_DEP_1)
	v_dual_lshlrev_b32 v13, v3, v2 :: v_dual_lshlrev_b32 v3, 23, v3
	v_lshrrev_b32_e32 v13, 4, v13
	s_delay_alu instid0(VALU_DEP_1) | instskip(NEXT) | instid1(VALU_DEP_1)
	v_dual_sub_nc_u32 v3, v13, v3 :: v_dual_ashrrev_i32 v13, 8, v14
	v_add_nc_u32_e32 v3, 0x3c000000, v3
	s_delay_alu instid0(VALU_DEP_1) | instskip(NEXT) | instid1(VALU_DEP_1)
	v_and_or_b32 v3, 0x7f800000, v13, v3
	v_cndmask_b32_e32 v2, 0, v3, vcc_lo
	s_delay_alu instid0(VALU_DEP_1)
	v_and_or_b32 v0, 0x80000000, v0, v2
.LBB25_3521:                            ;   in Loop: Header=BB25_17 Depth=1
	s_or_b32 exec_lo, exec_lo, s93
                                        ; implicit-def: $vgpr2_vgpr3
.LBB25_3522:                            ;   in Loop: Header=BB25_17 Depth=1
	s_and_not1_saveexec_b32 s92, s92
	s_cbranch_execz .LBB25_3524
; %bb.3523:                             ;   in Loop: Header=BB25_17 Depth=1
	flat_load_u8 v0, v[2:3]
	s_wait_loadcnt_dscnt 0x0
	v_lshlrev_b32_e32 v2, 25, v0
	v_lshlrev_b16 v0, 8, v0
	s_delay_alu instid0(VALU_DEP_1) | instskip(SKIP_1) | instid1(VALU_DEP_2)
	v_and_or_b32 v13, 0x7f00, v0, 0.5
	v_bfe_i32 v0, v0, 0, 16
	v_dual_add_f32 v13, -0.5, v13 :: v_dual_lshrrev_b32 v3, 4, v2
	v_cmp_gt_u32_e32 vcc_lo, 0x8000000, v2
	s_delay_alu instid0(VALU_DEP_2) | instskip(NEXT) | instid1(VALU_DEP_1)
	v_or_b32_e32 v3, 0x70000000, v3
	v_mul_f32_e32 v3, 0x7800000, v3
	s_delay_alu instid0(VALU_DEP_1) | instskip(NEXT) | instid1(VALU_DEP_1)
	v_cndmask_b32_e32 v2, v3, v13, vcc_lo
	v_and_or_b32 v0, 0x80000000, v0, v2
.LBB25_3524:                            ;   in Loop: Header=BB25_17 Depth=1
	s_or_b32 exec_lo, exec_lo, s92
	s_delay_alu instid0(SALU_CYCLE_1)
	s_or_b32 s92, s90, exec_lo
                                        ; implicit-def: $vgpr13
                                        ; implicit-def: $vgpr2_vgpr3
.LBB25_3525:                            ;   in Loop: Header=BB25_17 Depth=1
	s_and_not1_saveexec_b32 s91, s91
	s_cbranch_execz .LBB25_3535
; %bb.3526:                             ;   in Loop: Header=BB25_17 Depth=1
	s_mov_b32 s93, s92
	s_mov_b32 s94, exec_lo
                                        ; implicit-def: $vgpr0
	v_cmpx_lt_i16_e32 14, v13
	s_xor_b32 s94, exec_lo, s94
	s_cbranch_execz .LBB25_3530
; %bb.3527:                             ;   in Loop: Header=BB25_17 Depth=1
	s_mov_b32 s93, s92
	s_mov_b32 s95, exec_lo
                                        ; implicit-def: $vgpr0
	v_cmpx_eq_u16_e32 15, v13
	s_cbranch_execz .LBB25_3529
; %bb.3528:                             ;   in Loop: Header=BB25_17 Depth=1
	flat_load_u16 v0, v[2:3]
	s_or_b32 s93, s92, exec_lo
	s_wait_loadcnt_dscnt 0x0
	v_lshlrev_b32_e32 v0, 16, v0
.LBB25_3529:                            ;   in Loop: Header=BB25_17 Depth=1
	s_wait_xcnt 0x0
	s_or_b32 exec_lo, exec_lo, s95
	s_delay_alu instid0(SALU_CYCLE_1) | instskip(SKIP_1) | instid1(SALU_CYCLE_1)
	s_and_not1_b32 s95, s92, exec_lo
	s_and_b32 s93, s93, exec_lo
                                        ; implicit-def: $vgpr13
                                        ; implicit-def: $vgpr2_vgpr3
	s_or_b32 s93, s95, s93
.LBB25_3530:                            ;   in Loop: Header=BB25_17 Depth=1
	s_and_not1_saveexec_b32 s94, s94
	s_cbranch_execz .LBB25_3534
; %bb.3531:                             ;   in Loop: Header=BB25_17 Depth=1
	s_mov_b32 s95, s93
	s_mov_b32 vcc_hi, exec_lo
                                        ; implicit-def: $vgpr0
	v_cmpx_eq_u16_e32 11, v13
	s_cbranch_execz .LBB25_3533
; %bb.3532:                             ;   in Loop: Header=BB25_17 Depth=1
	flat_load_u8 v0, v[2:3]
	s_or_b32 s95, s93, exec_lo
	s_wait_loadcnt_dscnt 0x0
	v_cmp_ne_u16_e32 vcc_lo, 0, v0
	v_cndmask_b32_e64 v0, 0, 1.0, vcc_lo
.LBB25_3533:                            ;   in Loop: Header=BB25_17 Depth=1
	s_wait_xcnt 0x0
	s_or_b32 exec_lo, exec_lo, vcc_hi
	s_delay_alu instid0(SALU_CYCLE_1) | instskip(SKIP_1) | instid1(SALU_CYCLE_1)
	s_and_not1_b32 s93, s93, exec_lo
	s_and_b32 s95, s95, exec_lo
	s_or_b32 s93, s93, s95
.LBB25_3534:                            ;   in Loop: Header=BB25_17 Depth=1
	s_or_b32 exec_lo, exec_lo, s94
	s_delay_alu instid0(SALU_CYCLE_1) | instskip(SKIP_1) | instid1(SALU_CYCLE_1)
	s_and_not1_b32 s92, s92, exec_lo
	s_and_b32 s93, s93, exec_lo
	s_or_b32 s92, s92, s93
.LBB25_3535:                            ;   in Loop: Header=BB25_17 Depth=1
	s_or_b32 exec_lo, exec_lo, s91
	s_delay_alu instid0(SALU_CYCLE_1) | instskip(SKIP_1) | instid1(SALU_CYCLE_1)
	s_and_not1_b32 s90, s90, exec_lo
	s_and_b32 s91, s92, exec_lo
	s_or_b32 s90, s90, s91
.LBB25_3536:                            ;   in Loop: Header=BB25_17 Depth=1
	s_or_b32 exec_lo, exec_lo, s89
	s_delay_alu instid0(SALU_CYCLE_1)
	s_and_b32 s89, s90, exec_lo
                                        ; implicit-def: $vgpr13
                                        ; implicit-def: $vgpr2_vgpr3
	s_and_not1_saveexec_b32 s88, s88
	s_cbranch_execz .LBB25_1788
.LBB25_3537:                            ;   in Loop: Header=BB25_17 Depth=1
	s_mov_b32 s90, exec_lo
                                        ; implicit-def: $vgpr0
	v_cmpx_lt_i16_e32 4, v13
	s_xor_b32 s90, exec_lo, s90
	s_cbranch_execz .LBB25_3559
; %bb.3538:                             ;   in Loop: Header=BB25_17 Depth=1
	s_mov_b32 s91, exec_lo
                                        ; implicit-def: $vgpr0
	v_cmpx_lt_i16_e32 7, v13
	s_xor_b32 s91, exec_lo, s91
	s_cbranch_execz .LBB25_3548
; %bb.3539:                             ;   in Loop: Header=BB25_17 Depth=1
	;; [unrolled: 6-line block ×4, first 2 shown]
	flat_load_b64 v[2:3], v[2:3]
	s_wait_loadcnt_dscnt 0x0
	v_cvt_f32_f64_e32 v0, v[2:3]
                                        ; implicit-def: $vgpr2_vgpr3
.LBB25_3542:                            ;   in Loop: Header=BB25_17 Depth=1
	s_wait_xcnt 0x0
	s_and_not1_saveexec_b32 s93, s93
	s_cbranch_execz .LBB25_3544
; %bb.3543:                             ;   in Loop: Header=BB25_17 Depth=1
	flat_load_b32 v0, v[2:3]
.LBB25_3544:                            ;   in Loop: Header=BB25_17 Depth=1
	s_wait_xcnt 0x0
	s_or_b32 exec_lo, exec_lo, s93
                                        ; implicit-def: $vgpr2_vgpr3
.LBB25_3545:                            ;   in Loop: Header=BB25_17 Depth=1
	s_and_not1_saveexec_b32 s92, s92
	s_cbranch_execz .LBB25_3547
; %bb.3546:                             ;   in Loop: Header=BB25_17 Depth=1
	s_wait_loadcnt_dscnt 0x0
	flat_load_b32 v0, v[2:3]
	s_wait_loadcnt_dscnt 0x0
	v_cvt_f32_f16_e32 v0, v0
.LBB25_3547:                            ;   in Loop: Header=BB25_17 Depth=1
	s_wait_xcnt 0x0
	s_or_b32 exec_lo, exec_lo, s92
                                        ; implicit-def: $vgpr2_vgpr3
                                        ; implicit-def: $vgpr13
.LBB25_3548:                            ;   in Loop: Header=BB25_17 Depth=1
	s_and_not1_saveexec_b32 s91, s91
	s_cbranch_execz .LBB25_3558
; %bb.3549:                             ;   in Loop: Header=BB25_17 Depth=1
	s_mov_b32 s92, exec_lo
                                        ; implicit-def: $vgpr0
	v_cmpx_lt_i16_e32 5, v13
	s_xor_b32 s92, exec_lo, s92
	s_cbranch_execz .LBB25_3555
; %bb.3550:                             ;   in Loop: Header=BB25_17 Depth=1
	s_mov_b32 s93, exec_lo
                                        ; implicit-def: $vgpr0
	v_cmpx_lt_i16_e32 6, v13
	s_xor_b32 s93, exec_lo, s93
	s_cbranch_execz .LBB25_3552
; %bb.3551:                             ;   in Loop: Header=BB25_17 Depth=1
	flat_load_b64 v[2:3], v[2:3]
	s_wait_loadcnt_dscnt 0x0
	v_cvt_f32_f64_e32 v0, v[2:3]
                                        ; implicit-def: $vgpr2_vgpr3
.LBB25_3552:                            ;   in Loop: Header=BB25_17 Depth=1
	s_wait_xcnt 0x0
	s_and_not1_saveexec_b32 s93, s93
	s_cbranch_execz .LBB25_3554
; %bb.3553:                             ;   in Loop: Header=BB25_17 Depth=1
	s_wait_loadcnt_dscnt 0x0
	flat_load_b32 v0, v[2:3]
.LBB25_3554:                            ;   in Loop: Header=BB25_17 Depth=1
	s_wait_xcnt 0x0
	s_or_b32 exec_lo, exec_lo, s93
                                        ; implicit-def: $vgpr2_vgpr3
.LBB25_3555:                            ;   in Loop: Header=BB25_17 Depth=1
	s_and_not1_saveexec_b32 s92, s92
	s_cbranch_execz .LBB25_3557
; %bb.3556:                             ;   in Loop: Header=BB25_17 Depth=1
	s_wait_loadcnt_dscnt 0x0
	flat_load_u16 v0, v[2:3]
	s_wait_loadcnt_dscnt 0x0
	v_cvt_f32_f16_e32 v0, v0
.LBB25_3557:                            ;   in Loop: Header=BB25_17 Depth=1
	s_wait_xcnt 0x0
	s_or_b32 exec_lo, exec_lo, s92
.LBB25_3558:                            ;   in Loop: Header=BB25_17 Depth=1
	s_delay_alu instid0(SALU_CYCLE_1)
	s_or_b32 exec_lo, exec_lo, s91
                                        ; implicit-def: $vgpr13
                                        ; implicit-def: $vgpr2_vgpr3
.LBB25_3559:                            ;   in Loop: Header=BB25_17 Depth=1
	s_and_not1_saveexec_b32 s90, s90
	s_cbranch_execz .LBB25_3577
; %bb.3560:                             ;   in Loop: Header=BB25_17 Depth=1
	s_mov_b32 s91, exec_lo
                                        ; implicit-def: $vgpr0
	v_cmpx_lt_i16_e32 1, v13
	s_xor_b32 s91, exec_lo, s91
	s_cbranch_execz .LBB25_3570
; %bb.3561:                             ;   in Loop: Header=BB25_17 Depth=1
	s_mov_b32 s92, exec_lo
                                        ; implicit-def: $vgpr0
	v_cmpx_lt_i16_e32 2, v13
	s_xor_b32 s92, exec_lo, s92
	;; [unrolled: 6-line block ×3, first 2 shown]
	s_cbranch_execz .LBB25_3564
; %bb.3563:                             ;   in Loop: Header=BB25_17 Depth=1
	flat_load_b64 v[2:3], v[2:3]
	s_wait_loadcnt_dscnt 0x0
	v_xor_b32_e32 v0, v2, v3
	v_cls_i32_e32 v13, v3
	s_delay_alu instid0(VALU_DEP_2) | instskip(NEXT) | instid1(VALU_DEP_1)
	v_ashrrev_i32_e32 v0, 31, v0
	v_add_nc_u32_e32 v0, 32, v0
	s_delay_alu instid0(VALU_DEP_1) | instskip(SKIP_1) | instid1(VALU_DEP_1)
	v_add_min_u32_e64 v0, v13, -1, v0
	s_wait_xcnt 0x0
	v_lshlrev_b64_e32 v[2:3], v0, v[2:3]
	v_sub_nc_u32_e32 v0, 32, v0
	s_delay_alu instid0(VALU_DEP_2) | instskip(NEXT) | instid1(VALU_DEP_1)
	v_min_u32_e32 v2, 1, v2
	v_or_b32_e32 v2, v3, v2
	s_delay_alu instid0(VALU_DEP_1) | instskip(NEXT) | instid1(VALU_DEP_1)
	v_cvt_f32_i32_e32 v2, v2
	v_ldexp_f32 v0, v2, v0
                                        ; implicit-def: $vgpr2_vgpr3
.LBB25_3564:                            ;   in Loop: Header=BB25_17 Depth=1
	s_and_not1_saveexec_b32 s93, s93
	s_cbranch_execz .LBB25_3566
; %bb.3565:                             ;   in Loop: Header=BB25_17 Depth=1
	s_wait_loadcnt_dscnt 0x0
	flat_load_b32 v0, v[2:3]
	s_wait_loadcnt_dscnt 0x0
	v_cvt_f32_i32_e32 v0, v0
.LBB25_3566:                            ;   in Loop: Header=BB25_17 Depth=1
	s_wait_xcnt 0x0
	s_or_b32 exec_lo, exec_lo, s93
                                        ; implicit-def: $vgpr2_vgpr3
.LBB25_3567:                            ;   in Loop: Header=BB25_17 Depth=1
	s_and_not1_saveexec_b32 s92, s92
	s_cbranch_execz .LBB25_3569
; %bb.3568:                             ;   in Loop: Header=BB25_17 Depth=1
	s_wait_loadcnt_dscnt 0x0
	flat_load_i16 v0, v[2:3]
	s_wait_loadcnt_dscnt 0x0
	v_cvt_f32_i32_e32 v0, v0
.LBB25_3569:                            ;   in Loop: Header=BB25_17 Depth=1
	s_wait_xcnt 0x0
	s_or_b32 exec_lo, exec_lo, s92
                                        ; implicit-def: $vgpr2_vgpr3
                                        ; implicit-def: $vgpr13
.LBB25_3570:                            ;   in Loop: Header=BB25_17 Depth=1
	s_and_not1_saveexec_b32 s91, s91
	s_cbranch_execz .LBB25_3576
; %bb.3571:                             ;   in Loop: Header=BB25_17 Depth=1
	s_mov_b32 s92, exec_lo
                                        ; implicit-def: $vgpr0
	v_cmpx_lt_i16_e32 0, v13
	s_xor_b32 s92, exec_lo, s92
	s_cbranch_execz .LBB25_3573
; %bb.3572:                             ;   in Loop: Header=BB25_17 Depth=1
	s_wait_loadcnt_dscnt 0x0
	flat_load_i8 v0, v[2:3]
                                        ; implicit-def: $vgpr2_vgpr3
	s_wait_loadcnt_dscnt 0x0
	v_cvt_f32_i32_e32 v0, v0
.LBB25_3573:                            ;   in Loop: Header=BB25_17 Depth=1
	s_wait_xcnt 0x0
	s_and_not1_saveexec_b32 s92, s92
	s_cbranch_execz .LBB25_3575
; %bb.3574:                             ;   in Loop: Header=BB25_17 Depth=1
	s_wait_loadcnt_dscnt 0x0
	flat_load_u8 v0, v[2:3]
	s_wait_loadcnt_dscnt 0x0
	v_cvt_f32_ubyte0_e32 v0, v0
.LBB25_3575:                            ;   in Loop: Header=BB25_17 Depth=1
	s_wait_xcnt 0x0
	s_or_b32 exec_lo, exec_lo, s92
.LBB25_3576:                            ;   in Loop: Header=BB25_17 Depth=1
	s_delay_alu instid0(SALU_CYCLE_1)
	s_or_b32 exec_lo, exec_lo, s91
.LBB25_3577:                            ;   in Loop: Header=BB25_17 Depth=1
	s_delay_alu instid0(SALU_CYCLE_1) | instskip(NEXT) | instid1(SALU_CYCLE_1)
	s_or_b32 exec_lo, exec_lo, s90
	s_or_b32 s89, s89, exec_lo
	s_or_b32 exec_lo, exec_lo, s88
	s_mov_b32 s90, 0
	s_and_saveexec_b32 s88, s89
	s_cbranch_execnz .LBB25_1789
	s_branch .LBB25_1790
.LBB25_3578:                            ;   in Loop: Header=BB25_17 Depth=1
	s_mov_b32 s63, -1
	s_mov_b32 s73, exec_lo
	v_cmpx_eq_u16_e32 0x80, v2
; %bb.3579:                             ;   in Loop: Header=BB25_17 Depth=1
	s_xor_b32 s63, exec_lo, -1
; %bb.3580:                             ;   in Loop: Header=BB25_17 Depth=1
	s_or_b32 exec_lo, exec_lo, s73
	s_delay_alu instid0(SALU_CYCLE_1)
	s_and_b32 s63, s63, exec_lo
	s_or_saveexec_b32 s72, s72
	v_mov_b32_e32 v0, 0x7f800001
	s_xor_b32 exec_lo, exec_lo, s72
	s_cbranch_execz .LBB25_2936
.LBB25_3581:                            ;   in Loop: Header=BB25_17 Depth=1
	v_cmp_ne_u16_e32 vcc_lo, 0, v2
	v_mov_b32_e32 v0, 0
	s_and_not1_b32 s63, s63, exec_lo
	s_and_b32 s73, vcc_lo, exec_lo
	s_delay_alu instid0(SALU_CYCLE_1)
	s_or_b32 s63, s63, s73
	s_or_b32 exec_lo, exec_lo, s72
	s_and_saveexec_b32 s72, s63
	s_cbranch_execnz .LBB25_2937
	s_branch .LBB25_2938
.LBB25_3582:                            ;   in Loop: Header=BB25_17 Depth=1
	s_mov_b32 s73, -1
	s_mov_b32 s75, exec_lo
	v_cmpx_eq_u16_e32 0x80, v2
; %bb.3583:                             ;   in Loop: Header=BB25_17 Depth=1
	s_xor_b32 s73, exec_lo, -1
; %bb.3584:                             ;   in Loop: Header=BB25_17 Depth=1
	s_or_b32 exec_lo, exec_lo, s75
	s_delay_alu instid0(SALU_CYCLE_1)
	s_and_b32 s73, s73, exec_lo
	s_or_saveexec_b32 s74, s74
	v_mov_b32_e32 v0, 0x7f800001
	s_xor_b32 exec_lo, exec_lo, s74
	s_cbranch_execz .LBB25_3041
.LBB25_3585:                            ;   in Loop: Header=BB25_17 Depth=1
	v_cmp_ne_u16_e32 vcc_lo, 0, v2
	v_mov_b32_e32 v0, 0
	s_and_not1_b32 s73, s73, exec_lo
	s_and_b32 s75, vcc_lo, exec_lo
	s_delay_alu instid0(SALU_CYCLE_1)
	s_or_b32 s73, s73, s75
	s_or_b32 exec_lo, exec_lo, s74
	s_and_saveexec_b32 s74, s73
	s_cbranch_execnz .LBB25_3042
	s_branch .LBB25_3043
.LBB25_3586:                            ;   in Loop: Header=BB25_17 Depth=1
	s_mov_b32 s75, -1
	s_mov_b32 s77, exec_lo
	v_cmpx_eq_u16_e32 0x80, v2
; %bb.3587:                             ;   in Loop: Header=BB25_17 Depth=1
	s_xor_b32 s75, exec_lo, -1
; %bb.3588:                             ;   in Loop: Header=BB25_17 Depth=1
	s_or_b32 exec_lo, exec_lo, s77
	s_delay_alu instid0(SALU_CYCLE_1)
	s_and_b32 s75, s75, exec_lo
	s_or_saveexec_b32 s76, s76
	v_mov_b32_e32 v0, 0x7f800001
	s_xor_b32 exec_lo, exec_lo, s76
	s_cbranch_execz .LBB25_1389
.LBB25_3589:                            ;   in Loop: Header=BB25_17 Depth=1
	v_cmp_ne_u16_e32 vcc_lo, 0, v2
	v_mov_b32_e32 v0, 0
	s_and_not1_b32 s75, s75, exec_lo
	s_and_b32 s77, vcc_lo, exec_lo
	s_delay_alu instid0(SALU_CYCLE_1)
	s_or_b32 s75, s75, s77
	s_or_b32 exec_lo, exec_lo, s76
	s_and_saveexec_b32 s76, s75
	s_cbranch_execnz .LBB25_1390
	s_branch .LBB25_1391
.LBB25_3590:                            ;   in Loop: Header=BB25_17 Depth=1
	s_mov_b32 s77, -1
	s_mov_b32 s79, exec_lo
	v_cmpx_eq_u16_e32 0x80, v2
; %bb.3591:                             ;   in Loop: Header=BB25_17 Depth=1
	s_xor_b32 s77, exec_lo, -1
; %bb.3592:                             ;   in Loop: Header=BB25_17 Depth=1
	s_or_b32 exec_lo, exec_lo, s79
	s_delay_alu instid0(SALU_CYCLE_1)
	s_and_b32 s77, s77, exec_lo
	s_or_saveexec_b32 s78, s78
	v_mov_b32_e32 v0, 0x7f800001
	s_xor_b32 exec_lo, exec_lo, s78
	s_cbranch_execz .LBB25_1489
.LBB25_3593:                            ;   in Loop: Header=BB25_17 Depth=1
	v_cmp_ne_u16_e32 vcc_lo, 0, v2
	v_mov_b32_e32 v0, 0
	s_and_not1_b32 s77, s77, exec_lo
	s_and_b32 s79, vcc_lo, exec_lo
	s_delay_alu instid0(SALU_CYCLE_1)
	s_or_b32 s77, s77, s79
	s_or_b32 exec_lo, exec_lo, s78
	s_and_saveexec_b32 s78, s77
	s_cbranch_execnz .LBB25_1490
	s_branch .LBB25_1491
.LBB25_3594:                            ;   in Loop: Header=BB25_17 Depth=1
	s_mov_b32 s74, -1
	s_mov_b32 s76, exec_lo
	v_cmpx_eq_u16_e32 0x80, v2
; %bb.3595:                             ;   in Loop: Header=BB25_17 Depth=1
	s_xor_b32 s74, exec_lo, -1
; %bb.3596:                             ;   in Loop: Header=BB25_17 Depth=1
	s_or_b32 exec_lo, exec_lo, s76
	s_delay_alu instid0(SALU_CYCLE_1)
	s_and_b32 s74, s74, exec_lo
	s_or_saveexec_b32 s75, s75
	v_mov_b32_e32 v0, 0x7f800001
	s_xor_b32 exec_lo, exec_lo, s75
	s_cbranch_execz .LBB25_3052
.LBB25_3597:                            ;   in Loop: Header=BB25_17 Depth=1
	v_cmp_ne_u16_e32 vcc_lo, 0, v2
	v_mov_b32_e32 v0, 0
	s_and_not1_b32 s74, s74, exec_lo
	s_and_b32 s76, vcc_lo, exec_lo
	s_delay_alu instid0(SALU_CYCLE_1)
	s_or_b32 s74, s74, s76
	s_or_b32 exec_lo, exec_lo, s75
	s_and_saveexec_b32 s75, s74
	s_cbranch_execnz .LBB25_3053
	s_branch .LBB25_3054
.LBB25_3598:                            ;   in Loop: Header=BB25_17 Depth=1
	s_mov_b32 s76, -1
	s_mov_b32 s78, exec_lo
	v_cmpx_eq_u16_e32 0x80, v2
; %bb.3599:                             ;   in Loop: Header=BB25_17 Depth=1
	s_xor_b32 s76, exec_lo, -1
; %bb.3600:                             ;   in Loop: Header=BB25_17 Depth=1
	s_or_b32 exec_lo, exec_lo, s78
	s_delay_alu instid0(SALU_CYCLE_1)
	s_and_b32 s76, s76, exec_lo
	s_or_saveexec_b32 s77, s77
	v_mov_b32_e32 v0, 0x7f800001
	s_xor_b32 exec_lo, exec_lo, s77
	s_cbranch_execz .LBB25_3157
.LBB25_3601:                            ;   in Loop: Header=BB25_17 Depth=1
	v_cmp_ne_u16_e32 vcc_lo, 0, v2
	v_mov_b32_e32 v0, 0
	s_and_not1_b32 s76, s76, exec_lo
	s_and_b32 s78, vcc_lo, exec_lo
	s_delay_alu instid0(SALU_CYCLE_1)
	s_or_b32 s76, s76, s78
	s_or_b32 exec_lo, exec_lo, s77
	s_and_saveexec_b32 s77, s76
	s_cbranch_execnz .LBB25_3158
	s_branch .LBB25_3159
.LBB25_3602:                            ;   in Loop: Header=BB25_17 Depth=1
	s_mov_b32 s78, -1
	s_mov_b32 s88, exec_lo
	v_cmpx_eq_u16_e32 0x80, v2
; %bb.3603:                             ;   in Loop: Header=BB25_17 Depth=1
	s_xor_b32 s78, exec_lo, -1
; %bb.3604:                             ;   in Loop: Header=BB25_17 Depth=1
	s_or_b32 exec_lo, exec_lo, s88
	s_delay_alu instid0(SALU_CYCLE_1)
	s_and_b32 s78, s78, exec_lo
	s_or_saveexec_b32 s79, s79
	v_mov_b32_e32 v0, 0x7f800001
	s_xor_b32 exec_lo, exec_lo, s79
	s_cbranch_execz .LBB25_1500
.LBB25_3605:                            ;   in Loop: Header=BB25_17 Depth=1
	v_cmp_ne_u16_e32 vcc_lo, 0, v2
	v_mov_b32_e32 v0, 0
	s_and_not1_b32 s78, s78, exec_lo
	s_and_b32 s88, vcc_lo, exec_lo
	s_delay_alu instid0(SALU_CYCLE_1)
	s_or_b32 s78, s78, s88
	s_or_b32 exec_lo, exec_lo, s79
	s_and_saveexec_b32 s79, s78
	s_cbranch_execnz .LBB25_1501
	s_branch .LBB25_1502
.LBB25_3606:                            ;   in Loop: Header=BB25_17 Depth=1
	s_mov_b32 s88, -1
	s_mov_b32 s90, exec_lo
	v_cmpx_eq_u16_e32 0x80, v2
; %bb.3607:                             ;   in Loop: Header=BB25_17 Depth=1
	s_xor_b32 s88, exec_lo, -1
; %bb.3608:                             ;   in Loop: Header=BB25_17 Depth=1
	s_or_b32 exec_lo, exec_lo, s90
	s_delay_alu instid0(SALU_CYCLE_1)
	s_and_b32 s88, s88, exec_lo
	s_or_saveexec_b32 s89, s89
	v_mov_b32_e32 v0, 0x7f800001
	s_xor_b32 exec_lo, exec_lo, s89
	s_cbranch_execz .LBB25_1600
.LBB25_3609:                            ;   in Loop: Header=BB25_17 Depth=1
	v_cmp_ne_u16_e32 vcc_lo, 0, v2
	v_mov_b32_e32 v0, 0
	s_and_not1_b32 s88, s88, exec_lo
	s_and_b32 s90, vcc_lo, exec_lo
	s_delay_alu instid0(SALU_CYCLE_1)
	s_or_b32 s88, s88, s90
	s_or_b32 exec_lo, exec_lo, s89
	s_and_saveexec_b32 s89, s88
	s_cbranch_execnz .LBB25_1601
	s_branch .LBB25_1602
.LBB25_3610:                            ;   in Loop: Header=BB25_17 Depth=1
	s_mov_b32 s77, -1
	s_mov_b32 s79, exec_lo
	v_cmpx_eq_u16_e32 0x80, v2
; %bb.3611:                             ;   in Loop: Header=BB25_17 Depth=1
	s_xor_b32 s77, exec_lo, -1
; %bb.3612:                             ;   in Loop: Header=BB25_17 Depth=1
	s_or_b32 exec_lo, exec_lo, s79
	s_delay_alu instid0(SALU_CYCLE_1)
	s_and_b32 s77, s77, exec_lo
	s_or_saveexec_b32 s78, s78
	v_mov_b32_e32 v0, 0x7f800001
	s_xor_b32 exec_lo, exec_lo, s78
	s_cbranch_execz .LBB25_3168
.LBB25_3613:                            ;   in Loop: Header=BB25_17 Depth=1
	v_cmp_ne_u16_e32 vcc_lo, 0, v2
	v_mov_b32_e32 v0, 0
	s_and_not1_b32 s77, s77, exec_lo
	s_and_b32 s79, vcc_lo, exec_lo
	s_delay_alu instid0(SALU_CYCLE_1)
	s_or_b32 s77, s77, s79
	s_or_b32 exec_lo, exec_lo, s78
	s_and_saveexec_b32 s78, s77
	s_cbranch_execnz .LBB25_3169
	s_branch .LBB25_3170
.LBB25_3614:                            ;   in Loop: Header=BB25_17 Depth=1
	s_mov_b32 s79, -1
	s_mov_b32 s89, exec_lo
	v_cmpx_eq_u16_e32 0x80, v2
; %bb.3615:                             ;   in Loop: Header=BB25_17 Depth=1
	s_xor_b32 s79, exec_lo, -1
; %bb.3616:                             ;   in Loop: Header=BB25_17 Depth=1
	s_or_b32 exec_lo, exec_lo, s89
	s_delay_alu instid0(SALU_CYCLE_1)
	s_and_b32 s79, s79, exec_lo
	s_or_saveexec_b32 s88, s88
	v_mov_b32_e32 v0, 0x7f800001
	s_xor_b32 exec_lo, exec_lo, s88
	s_cbranch_execz .LBB25_3273
.LBB25_3617:                            ;   in Loop: Header=BB25_17 Depth=1
	v_cmp_ne_u16_e32 vcc_lo, 0, v2
	v_mov_b32_e32 v0, 0
	s_and_not1_b32 s79, s79, exec_lo
	s_and_b32 s89, vcc_lo, exec_lo
	s_delay_alu instid0(SALU_CYCLE_1)
	s_or_b32 s79, s79, s89
	s_or_b32 exec_lo, exec_lo, s88
	s_and_saveexec_b32 s88, s79
	s_cbranch_execnz .LBB25_3274
	s_branch .LBB25_3275
.LBB25_3618:                            ;   in Loop: Header=BB25_17 Depth=1
	s_mov_b32 s89, -1
	s_mov_b32 s91, exec_lo
	v_cmpx_eq_u16_e32 0x80, v2
; %bb.3619:                             ;   in Loop: Header=BB25_17 Depth=1
	s_xor_b32 s89, exec_lo, -1
; %bb.3620:                             ;   in Loop: Header=BB25_17 Depth=1
	s_or_b32 exec_lo, exec_lo, s91
	s_delay_alu instid0(SALU_CYCLE_1)
	s_and_b32 s89, s89, exec_lo
	s_or_saveexec_b32 s90, s90
	v_mov_b32_e32 v0, 0x7f800001
	s_xor_b32 exec_lo, exec_lo, s90
	s_cbranch_execz .LBB25_1611
.LBB25_3621:                            ;   in Loop: Header=BB25_17 Depth=1
	v_cmp_ne_u16_e32 vcc_lo, 0, v2
	v_mov_b32_e32 v0, 0
	s_and_not1_b32 s89, s89, exec_lo
	s_and_b32 s91, vcc_lo, exec_lo
	s_delay_alu instid0(SALU_CYCLE_1)
	s_or_b32 s89, s89, s91
	s_or_b32 exec_lo, exec_lo, s90
	s_and_saveexec_b32 s90, s89
	s_cbranch_execnz .LBB25_1612
	s_branch .LBB25_1613
.LBB25_3622:                            ;   in Loop: Header=BB25_17 Depth=1
	s_mov_b32 s91, -1
	s_mov_b32 s93, exec_lo
	v_cmpx_eq_u16_e32 0x80, v2
; %bb.3623:                             ;   in Loop: Header=BB25_17 Depth=1
	s_xor_b32 s91, exec_lo, -1
; %bb.3624:                             ;   in Loop: Header=BB25_17 Depth=1
	s_or_b32 exec_lo, exec_lo, s93
	s_delay_alu instid0(SALU_CYCLE_1)
	s_and_b32 s91, s91, exec_lo
	s_or_saveexec_b32 s92, s92
	v_mov_b32_e32 v0, 0x7f800001
	s_xor_b32 exec_lo, exec_lo, s92
	s_cbranch_execz .LBB25_1711
.LBB25_3625:                            ;   in Loop: Header=BB25_17 Depth=1
	v_cmp_ne_u16_e32 vcc_lo, 0, v2
	v_mov_b32_e32 v0, 0
	s_and_not1_b32 s91, s91, exec_lo
	s_and_b32 s93, vcc_lo, exec_lo
	s_delay_alu instid0(SALU_CYCLE_1)
	s_or_b32 s91, s91, s93
	s_or_b32 exec_lo, exec_lo, s92
	s_and_saveexec_b32 s92, s91
	s_cbranch_execnz .LBB25_1712
	s_branch .LBB25_1713
.LBB25_3626:                            ;   in Loop: Header=BB25_17 Depth=1
	s_mov_b32 s88, -1
	s_mov_b32 s90, exec_lo
	v_cmpx_eq_u16_e32 0x80, v2
; %bb.3627:                             ;   in Loop: Header=BB25_17 Depth=1
	s_xor_b32 s88, exec_lo, -1
; %bb.3628:                             ;   in Loop: Header=BB25_17 Depth=1
	s_or_b32 exec_lo, exec_lo, s90
	s_delay_alu instid0(SALU_CYCLE_1)
	s_and_b32 s88, s88, exec_lo
	s_or_saveexec_b32 s89, s89
	v_mov_b32_e32 v0, 0x7f800001
	s_xor_b32 exec_lo, exec_lo, s89
	s_cbranch_execz .LBB25_3284
.LBB25_3629:                            ;   in Loop: Header=BB25_17 Depth=1
	v_cmp_ne_u16_e32 vcc_lo, 0, v2
	v_mov_b32_e32 v0, 0
	s_and_not1_b32 s88, s88, exec_lo
	s_and_b32 s90, vcc_lo, exec_lo
	s_delay_alu instid0(SALU_CYCLE_1)
	s_or_b32 s88, s88, s90
	s_or_b32 exec_lo, exec_lo, s89
	s_and_saveexec_b32 s89, s88
	s_cbranch_execnz .LBB25_3285
	s_branch .LBB25_3286
.LBB25_3630:                            ;   in Loop: Header=BB25_17 Depth=1
	s_mov_b32 s90, -1
	s_mov_b32 s92, exec_lo
	v_cmpx_eq_u16_e32 0x80, v2
; %bb.3631:                             ;   in Loop: Header=BB25_17 Depth=1
	s_xor_b32 s90, exec_lo, -1
; %bb.3632:                             ;   in Loop: Header=BB25_17 Depth=1
	s_or_b32 exec_lo, exec_lo, s92
	s_delay_alu instid0(SALU_CYCLE_1)
	s_and_b32 s90, s90, exec_lo
	s_or_saveexec_b32 s91, s91
	v_mov_b32_e32 v0, 0x7f800001
	s_xor_b32 exec_lo, exec_lo, s91
	s_cbranch_execz .LBB25_3389
.LBB25_3633:                            ;   in Loop: Header=BB25_17 Depth=1
	v_cmp_ne_u16_e32 vcc_lo, 0, v2
	v_mov_b32_e32 v0, 0
	s_and_not1_b32 s90, s90, exec_lo
	s_and_b32 s92, vcc_lo, exec_lo
	s_delay_alu instid0(SALU_CYCLE_1)
	s_or_b32 s90, s90, s92
	s_or_b32 exec_lo, exec_lo, s91
	s_and_saveexec_b32 s91, s90
	s_cbranch_execnz .LBB25_3390
	s_branch .LBB25_3391
.LBB25_3634:                            ;   in Loop: Header=BB25_17 Depth=1
	s_mov_b32 s92, -1
	s_mov_b32 s94, exec_lo
	v_cmpx_eq_u16_e32 0x80, v2
; %bb.3635:                             ;   in Loop: Header=BB25_17 Depth=1
	s_xor_b32 s92, exec_lo, -1
; %bb.3636:                             ;   in Loop: Header=BB25_17 Depth=1
	s_or_b32 exec_lo, exec_lo, s94
	s_delay_alu instid0(SALU_CYCLE_1)
	s_and_b32 s92, s92, exec_lo
	s_or_saveexec_b32 s93, s93
	v_mov_b32_e32 v0, 0x7f800001
	s_xor_b32 exec_lo, exec_lo, s93
	s_cbranch_execz .LBB25_1722
.LBB25_3637:                            ;   in Loop: Header=BB25_17 Depth=1
	v_cmp_ne_u16_e32 vcc_lo, 0, v2
	v_mov_b32_e32 v0, 0
	s_and_not1_b32 s92, s92, exec_lo
	s_and_b32 s94, vcc_lo, exec_lo
	s_delay_alu instid0(SALU_CYCLE_1)
	s_or_b32 s92, s92, s94
	s_or_b32 exec_lo, exec_lo, s93
	s_and_saveexec_b32 s93, s92
	s_cbranch_execnz .LBB25_1723
	s_branch .LBB25_1724
.LBB25_3638:                            ;   in Loop: Header=BB25_17 Depth=1
	s_mov_b32 s91, -1
	s_mov_b32 s93, exec_lo
	v_cmpx_eq_u16_e32 0x80, v2
; %bb.3639:                             ;   in Loop: Header=BB25_17 Depth=1
	s_xor_b32 s91, exec_lo, -1
; %bb.3640:                             ;   in Loop: Header=BB25_17 Depth=1
	s_or_b32 exec_lo, exec_lo, s93
	s_delay_alu instid0(SALU_CYCLE_1)
	s_and_b32 s91, s91, exec_lo
	s_or_saveexec_b32 s92, s92
	v_mov_b32_e32 v0, 0x7f800001
	s_xor_b32 exec_lo, exec_lo, s92
	s_cbranch_execz .LBB25_3400
.LBB25_3641:                            ;   in Loop: Header=BB25_17 Depth=1
	v_cmp_ne_u16_e32 vcc_lo, 0, v2
	v_mov_b32_e32 v0, 0
	s_and_not1_b32 s91, s91, exec_lo
	s_and_b32 s93, vcc_lo, exec_lo
	s_delay_alu instid0(SALU_CYCLE_1)
	s_or_b32 s91, s91, s93
	s_or_b32 exec_lo, exec_lo, s92
	s_and_saveexec_b32 s92, s91
	s_cbranch_execnz .LBB25_3401
	s_branch .LBB25_3402
.LBB25_3642:                            ;   in Loop: Header=BB25_17 Depth=1
	s_mov_b32 s93, -1
	s_mov_b32 s95, exec_lo
	v_cmpx_eq_u16_e32 0x80, v2
; %bb.3643:                             ;   in Loop: Header=BB25_17 Depth=1
	s_xor_b32 s93, exec_lo, -1
; %bb.3644:                             ;   in Loop: Header=BB25_17 Depth=1
	s_or_b32 exec_lo, exec_lo, s95
	s_delay_alu instid0(SALU_CYCLE_1)
	s_and_b32 s93, s93, exec_lo
	s_or_saveexec_b32 s94, s94
	v_mov_b32_e32 v0, 0x7f800001
	s_xor_b32 exec_lo, exec_lo, s94
	s_cbranch_execz .LBB25_3505
.LBB25_3645:                            ;   in Loop: Header=BB25_17 Depth=1
	v_cmp_ne_u16_e32 vcc_lo, 0, v2
	v_mov_b32_e32 v0, 0
	s_and_not1_b32 s93, s93, exec_lo
	s_and_b32 s95, vcc_lo, exec_lo
	s_delay_alu instid0(SALU_CYCLE_1)
	s_or_b32 s93, s93, s95
	s_or_b32 exec_lo, exec_lo, s94
	s_and_saveexec_b32 s94, s93
	s_cbranch_execnz .LBB25_3506
	s_branch .LBB25_3507
.LBB25_3646:                            ;   in Loop: Header=BB25_17 Depth=1
	s_mov_b32 s94, -1
	s_mov_b32 vcc_hi, exec_lo
	v_cmpx_eq_u16_e32 0x80, v2
; %bb.3647:                             ;   in Loop: Header=BB25_17 Depth=1
	s_xor_b32 s94, exec_lo, -1
; %bb.3648:                             ;   in Loop: Header=BB25_17 Depth=1
	s_or_b32 exec_lo, exec_lo, vcc_hi
	s_delay_alu instid0(SALU_CYCLE_1)
	s_and_b32 s94, s94, exec_lo
	s_or_saveexec_b32 s95, s95
	v_mov_b32_e32 v0, 0x7f800001
	s_xor_b32 exec_lo, exec_lo, s95
	s_cbranch_execz .LBB25_3516
.LBB25_3649:                            ;   in Loop: Header=BB25_17 Depth=1
	v_cmp_ne_u16_e32 vcc_lo, 0, v2
	v_mov_b32_e32 v0, 0
	s_and_not1_b32 s94, s94, exec_lo
	s_and_b32 vcc_lo, vcc_lo, exec_lo
	s_delay_alu instid0(SALU_CYCLE_1)
	s_or_b32 s94, s94, vcc_lo
	s_or_b32 exec_lo, exec_lo, s95
	s_and_saveexec_b32 s95, s94
	s_cbranch_execnz .LBB25_3517
	s_branch .LBB25_3518
.LBB25_3650:
	s_or_b32 exec_lo, exec_lo, s0
	s_xor_b32 s1, s3, -1
	s_xor_b32 s2, s2, -1
	s_mov_b32 s0, 0
	s_and_saveexec_b32 s3, s2
	s_delay_alu instid0(SALU_CYCLE_1)
	s_xor_b32 s61, exec_lo, s3
	s_cbranch_execnz .LBB25_3655
; %bb.3651:
	s_and_not1_saveexec_b32 s1, s61
	s_cbranch_execnz .LBB25_7877
.LBB25_3652:
	s_or_b32 exec_lo, exec_lo, s1
	s_and_saveexec_b32 s1, s0
.LBB25_3653:
	; divergent unreachable
.LBB25_3654:
	s_delay_alu instid0(SALU_CYCLE_1)
	s_or_b32 exec_lo, exec_lo, s1
	scratch_load_b32 v42, off, s33          ; 4-byte Folded Reload
	v_readlane_b32 s30, v40, 12
	v_readlane_b32 s31, v40, 13
	;; [unrolled: 1-line block ×14, first 2 shown]
	s_mov_b32 s32, s33
	v_readlane_b32 s0, v40, 14
	s_wait_xcnt 0x0
	s_or_saveexec_b32 s1, -1
	scratch_load_b32 v40, off, s33 offset:272 ; 4-byte Folded Reload
	s_wait_xcnt 0x0
	s_mov_b32 exec_lo, s1
	s_mov_b32 s33, s0
	s_wait_loadcnt_dscnt 0x0
	s_set_pc_i64 s[30:31]
.LBB25_3655:
	s_and_saveexec_b32 s2, s1
	s_delay_alu instid0(SALU_CYCLE_1)
	s_xor_b32 s62, exec_lo, s2
	s_cbranch_execz .LBB25_7875
; %bb.3656:
	scratch_load_u8 v87, off, s33 offset:4
	v_cmp_lt_i32_e64 s57, v209, v211
	s_get_pc_i64 s[58:59]
	s_add_nc_u64 s[58:59], s[58:59], _ZN3c104guts5applyIRN12_GLOBAL__N_110CalcIgammaIfEERSt5tupleIJffEEEEDaOT_OT0_@rel64+4
                                        ; implicit-def: $vgpr208
	s_wait_xcnt 0x0
	s_and_saveexec_b32 s56, s57
	s_cbranch_execz .LBB25_3658
; %bb.3657:
	scratch_load_b64 v[2:3], off, s33 offset:16
	s_wait_loadcnt_dscnt 0x0
	v_dual_mov_b32 v0, v87 :: v_dual_mov_b32 v1, v2
	v_mov_b32_e32 v2, v3
	s_swap_pc_i64 s[30:31], s[58:59]
	s_delay_alu instid0(VALU_DEP_2)
	v_mov_b32_e32 v208, v0
.LBB25_3658:
	s_wait_xcnt 0x0
	s_or_b32 exec_lo, exec_lo, s56
	v_add_nc_u32_e32 v97, 0x200, v209
                                        ; implicit-def: $vgpr198
	s_delay_alu instid0(VALU_DEP_1)
	v_cmp_lt_i32_e64 s56, v97, v211
	s_and_saveexec_b32 s63, s56
	s_cbranch_execz .LBB25_3660
; %bb.3659:
	scratch_load_b64 v[2:3], off, s33 offset:24
	s_wait_loadcnt_dscnt 0x0
	v_dual_mov_b32 v0, v87 :: v_dual_mov_b32 v1, v2
	v_mov_b32_e32 v2, v3
	s_swap_pc_i64 s[30:31], s[58:59]
	s_delay_alu instid0(VALU_DEP_2)
	v_mov_b32_e32 v198, v0
.LBB25_3660:
	s_wait_xcnt 0x0
	s_or_b32 exec_lo, exec_lo, s63
	s_wait_loadcnt_dscnt 0x100
	v_or_b32_e32 v0, 0x400, v209
	s_mov_b32 s63, exec_lo
                                        ; implicit-def: $vgpr196
	s_delay_alu instid0(VALU_DEP_1)
	v_cmpx_lt_i32_e64 v0, v211
	s_cbranch_execz .LBB25_3662
; %bb.3661:
	scratch_load_b64 v[2:3], off, s33 offset:32
	s_wait_loadcnt 0x0
	v_dual_mov_b32 v0, v87 :: v_dual_mov_b32 v1, v2
	v_mov_b32_e32 v2, v3
	s_swap_pc_i64 s[30:31], s[58:59]
	s_delay_alu instid0(VALU_DEP_2)
	v_mov_b32_e32 v196, v0
.LBB25_3662:
	s_wait_xcnt 0x0
	s_or_b32 exec_lo, exec_lo, s63
	v_add_nc_u32_e32 v0, 0x600, v209
	s_mov_b32 s63, exec_lo
                                        ; implicit-def: $vgpr194
	s_delay_alu instid0(VALU_DEP_1)
	v_cmpx_lt_i32_e64 v0, v211
	s_cbranch_execz .LBB25_3664
; %bb.3663:
	scratch_load_b64 v[2:3], off, s33 offset:40
	s_wait_loadcnt 0x0
	v_dual_mov_b32 v0, v87 :: v_dual_mov_b32 v1, v2
	v_mov_b32_e32 v2, v3
	s_swap_pc_i64 s[30:31], s[58:59]
	s_delay_alu instid0(VALU_DEP_2)
	v_mov_b32_e32 v194, v0
.LBB25_3664:
	s_wait_xcnt 0x0
	s_or_b32 exec_lo, exec_lo, s63
	v_or_b32_e32 v0, 0x800, v209
	s_mov_b32 s63, exec_lo
                                        ; implicit-def: $vgpr192
	s_delay_alu instid0(VALU_DEP_1)
	v_cmpx_lt_i32_e64 v0, v211
	s_cbranch_execz .LBB25_3666
; %bb.3665:
	scratch_load_b64 v[2:3], off, s33 offset:48
	s_wait_loadcnt 0x0
	v_dual_mov_b32 v0, v87 :: v_dual_mov_b32 v1, v2
	v_mov_b32_e32 v2, v3
	s_swap_pc_i64 s[30:31], s[58:59]
	s_delay_alu instid0(VALU_DEP_2)
	v_mov_b32_e32 v192, v0
.LBB25_3666:
	s_wait_xcnt 0x0
	s_or_b32 exec_lo, exec_lo, s63
	v_add_nc_u32_e32 v0, 0xa00, v209
	s_mov_b32 s63, exec_lo
                                        ; implicit-def: $vgpr182
	s_delay_alu instid0(VALU_DEP_1)
	v_cmpx_lt_i32_e64 v0, v211
	s_cbranch_execz .LBB25_3668
; %bb.3667:
	scratch_load_b64 v[2:3], off, s33 offset:56
	s_wait_loadcnt 0x0
	v_dual_mov_b32 v0, v87 :: v_dual_mov_b32 v1, v2
	v_mov_b32_e32 v2, v3
	s_swap_pc_i64 s[30:31], s[58:59]
	s_delay_alu instid0(VALU_DEP_2)
	v_mov_b32_e32 v182, v0
.LBB25_3668:
	s_wait_xcnt 0x0
	s_or_b32 exec_lo, exec_lo, s63
	v_or_b32_e32 v0, 0xc00, v209
	s_mov_b32 s63, exec_lo
                                        ; implicit-def: $vgpr180
	s_delay_alu instid0(VALU_DEP_1)
	v_cmpx_lt_i32_e64 v0, v211
	s_cbranch_execz .LBB25_3670
; %bb.3669:
	scratch_load_b64 v[2:3], off, s33 offset:64
	s_wait_loadcnt 0x0
	v_dual_mov_b32 v0, v87 :: v_dual_mov_b32 v1, v2
	v_mov_b32_e32 v2, v3
	s_swap_pc_i64 s[30:31], s[58:59]
	s_delay_alu instid0(VALU_DEP_2)
	v_mov_b32_e32 v180, v0
.LBB25_3670:
	s_wait_xcnt 0x0
	s_or_b32 exec_lo, exec_lo, s63
	v_add_nc_u32_e32 v0, 0xe00, v209
	s_mov_b32 s63, exec_lo
                                        ; implicit-def: $vgpr178
	s_delay_alu instid0(VALU_DEP_1)
	v_cmpx_lt_i32_e64 v0, v211
	s_cbranch_execz .LBB25_3672
; %bb.3671:
	scratch_load_b64 v[2:3], off, s33 offset:72
	s_wait_loadcnt 0x0
	v_dual_mov_b32 v0, v87 :: v_dual_mov_b32 v1, v2
	v_mov_b32_e32 v2, v3
	s_swap_pc_i64 s[30:31], s[58:59]
	s_delay_alu instid0(VALU_DEP_2)
	v_mov_b32_e32 v178, v0
.LBB25_3672:
	s_wait_xcnt 0x0
	s_or_b32 exec_lo, exec_lo, s63
	v_or_b32_e32 v0, 0x1000, v209
	s_mov_b32 s63, exec_lo
                                        ; implicit-def: $vgpr176
	s_delay_alu instid0(VALU_DEP_1)
	v_cmpx_lt_i32_e64 v0, v211
	s_cbranch_execz .LBB25_3674
; %bb.3673:
	scratch_load_b64 v[2:3], off, s33 offset:80
	s_wait_loadcnt 0x0
	v_dual_mov_b32 v0, v87 :: v_dual_mov_b32 v1, v2
	v_mov_b32_e32 v2, v3
	s_swap_pc_i64 s[30:31], s[58:59]
	s_delay_alu instid0(VALU_DEP_2)
	v_mov_b32_e32 v176, v0
.LBB25_3674:
	s_wait_xcnt 0x0
	s_or_b32 exec_lo, exec_lo, s63
	v_add_nc_u32_e32 v0, 0x1200, v209
	s_mov_b32 s63, exec_lo
                                        ; implicit-def: $vgpr166
	s_delay_alu instid0(VALU_DEP_1)
	v_cmpx_lt_i32_e64 v0, v211
	s_cbranch_execz .LBB25_3676
; %bb.3675:
	scratch_load_b64 v[2:3], off, s33 offset:88
	s_wait_loadcnt 0x0
	v_dual_mov_b32 v0, v87 :: v_dual_mov_b32 v1, v2
	v_mov_b32_e32 v2, v3
	s_swap_pc_i64 s[30:31], s[58:59]
	s_delay_alu instid0(VALU_DEP_2)
	v_mov_b32_e32 v166, v0
.LBB25_3676:
	s_wait_xcnt 0x0
	s_or_b32 exec_lo, exec_lo, s63
	v_or_b32_e32 v0, 0x1400, v209
	s_mov_b32 s63, exec_lo
                                        ; implicit-def: $vgpr164
	s_delay_alu instid0(VALU_DEP_1)
	v_cmpx_lt_i32_e64 v0, v211
	s_cbranch_execz .LBB25_3678
; %bb.3677:
	scratch_load_b64 v[2:3], off, s33 offset:96
	s_wait_loadcnt 0x0
	v_dual_mov_b32 v0, v87 :: v_dual_mov_b32 v1, v2
	v_mov_b32_e32 v2, v3
	s_swap_pc_i64 s[30:31], s[58:59]
	s_delay_alu instid0(VALU_DEP_2)
	v_mov_b32_e32 v164, v0
.LBB25_3678:
	s_wait_xcnt 0x0
	s_or_b32 exec_lo, exec_lo, s63
	v_add_nc_u32_e32 v0, 0x1600, v209
	s_mov_b32 s63, exec_lo
                                        ; implicit-def: $vgpr162
	s_delay_alu instid0(VALU_DEP_1)
	v_cmpx_lt_i32_e64 v0, v211
	s_cbranch_execz .LBB25_3680
; %bb.3679:
	scratch_load_b64 v[2:3], off, s33 offset:104
	s_wait_loadcnt 0x0
	v_dual_mov_b32 v0, v87 :: v_dual_mov_b32 v1, v2
	v_mov_b32_e32 v2, v3
	s_swap_pc_i64 s[30:31], s[58:59]
	s_delay_alu instid0(VALU_DEP_2)
	v_mov_b32_e32 v162, v0
.LBB25_3680:
	s_wait_xcnt 0x0
	s_or_b32 exec_lo, exec_lo, s63
	v_or_b32_e32 v0, 0x1800, v209
	s_mov_b32 s63, exec_lo
                                        ; implicit-def: $vgpr160
	s_delay_alu instid0(VALU_DEP_1)
	v_cmpx_lt_i32_e64 v0, v211
	s_cbranch_execz .LBB25_3682
; %bb.3681:
	scratch_load_b64 v[2:3], off, s33 offset:112
	s_wait_loadcnt 0x0
	v_dual_mov_b32 v0, v87 :: v_dual_mov_b32 v1, v2
	v_mov_b32_e32 v2, v3
	s_swap_pc_i64 s[30:31], s[58:59]
	s_delay_alu instid0(VALU_DEP_2)
	v_mov_b32_e32 v160, v0
.LBB25_3682:
	s_wait_xcnt 0x0
	s_or_b32 exec_lo, exec_lo, s63
	v_add_nc_u32_e32 v0, 0x1a00, v209
	s_mov_b32 s63, exec_lo
                                        ; implicit-def: $vgpr150
	s_delay_alu instid0(VALU_DEP_1)
	v_cmpx_lt_i32_e64 v0, v211
	s_cbranch_execz .LBB25_3684
; %bb.3683:
	scratch_load_b64 v[2:3], off, s33 offset:120
	s_wait_loadcnt 0x0
	v_dual_mov_b32 v0, v87 :: v_dual_mov_b32 v1, v2
	v_mov_b32_e32 v2, v3
	s_swap_pc_i64 s[30:31], s[58:59]
	s_delay_alu instid0(VALU_DEP_2)
	v_mov_b32_e32 v150, v0
.LBB25_3684:
	s_wait_xcnt 0x0
	s_or_b32 exec_lo, exec_lo, s63
	v_or_b32_e32 v0, 0x1c00, v209
	s_mov_b32 s63, exec_lo
                                        ; implicit-def: $vgpr148
	s_delay_alu instid0(VALU_DEP_1)
	v_cmpx_lt_i32_e64 v0, v211
	s_cbranch_execz .LBB25_3686
; %bb.3685:
	scratch_load_b64 v[2:3], off, s33 offset:128
	s_wait_loadcnt 0x0
	v_dual_mov_b32 v0, v87 :: v_dual_mov_b32 v1, v2
	v_mov_b32_e32 v2, v3
	s_swap_pc_i64 s[30:31], s[58:59]
	s_delay_alu instid0(VALU_DEP_2)
	v_mov_b32_e32 v148, v0
.LBB25_3686:
	s_wait_xcnt 0x0
	s_or_b32 exec_lo, exec_lo, s63
	v_add_nc_u32_e32 v0, 0x1e00, v209
	s_mov_b32 s63, exec_lo
                                        ; implicit-def: $vgpr146
	s_delay_alu instid0(VALU_DEP_1)
	v_cmpx_lt_i32_e64 v0, v211
	s_cbranch_execz .LBB25_3688
; %bb.3687:
	scratch_load_b64 v[2:3], off, s33 offset:136
	s_wait_loadcnt 0x0
	v_dual_mov_b32 v0, v87 :: v_dual_mov_b32 v1, v2
	v_mov_b32_e32 v2, v3
	s_swap_pc_i64 s[30:31], s[58:59]
	s_delay_alu instid0(VALU_DEP_2)
	v_mov_b32_e32 v146, v0
.LBB25_3688:
	s_wait_xcnt 0x0
	s_or_b32 exec_lo, exec_lo, s63
	v_or_b32_e32 v0, 0x2000, v209
	s_mov_b32 s63, exec_lo
                                        ; implicit-def: $vgpr144
	s_delay_alu instid0(VALU_DEP_1)
	v_cmpx_lt_i32_e64 v0, v211
	s_cbranch_execz .LBB25_3690
; %bb.3689:
	scratch_load_b64 v[2:3], off, s33 offset:144
	s_wait_loadcnt 0x0
	v_dual_mov_b32 v0, v87 :: v_dual_mov_b32 v1, v2
	v_mov_b32_e32 v2, v3
	s_swap_pc_i64 s[30:31], s[58:59]
	s_delay_alu instid0(VALU_DEP_2)
	v_mov_b32_e32 v144, v0
.LBB25_3690:
	s_wait_xcnt 0x0
	s_or_b32 exec_lo, exec_lo, s63
	v_add_nc_u32_e32 v0, 0x2200, v209
	s_mov_b32 s63, exec_lo
                                        ; implicit-def: $vgpr134
	s_delay_alu instid0(VALU_DEP_1)
	v_cmpx_lt_i32_e64 v0, v211
	s_cbranch_execz .LBB25_3692
; %bb.3691:
	scratch_load_b64 v[2:3], off, s33 offset:152
	s_wait_loadcnt 0x0
	v_dual_mov_b32 v0, v87 :: v_dual_mov_b32 v1, v2
	v_mov_b32_e32 v2, v3
	s_swap_pc_i64 s[30:31], s[58:59]
	s_delay_alu instid0(VALU_DEP_2)
	v_mov_b32_e32 v134, v0
.LBB25_3692:
	s_wait_xcnt 0x0
	s_or_b32 exec_lo, exec_lo, s63
	v_or_b32_e32 v0, 0x2400, v209
	s_mov_b32 s63, exec_lo
                                        ; implicit-def: $vgpr132
	s_delay_alu instid0(VALU_DEP_1)
	v_cmpx_lt_i32_e64 v0, v211
	s_cbranch_execz .LBB25_3694
; %bb.3693:
	scratch_load_b64 v[2:3], off, s33 offset:160
	s_wait_loadcnt 0x0
	v_dual_mov_b32 v0, v87 :: v_dual_mov_b32 v1, v2
	v_mov_b32_e32 v2, v3
	s_swap_pc_i64 s[30:31], s[58:59]
	s_delay_alu instid0(VALU_DEP_2)
	v_mov_b32_e32 v132, v0
.LBB25_3694:
	s_wait_xcnt 0x0
	s_or_b32 exec_lo, exec_lo, s63
	v_add_nc_u32_e32 v0, 0x2600, v209
	s_mov_b32 s63, exec_lo
                                        ; implicit-def: $vgpr130
	s_delay_alu instid0(VALU_DEP_1)
	v_cmpx_lt_i32_e64 v0, v211
	s_cbranch_execz .LBB25_3696
; %bb.3695:
	scratch_load_b64 v[2:3], off, s33 offset:168
	s_wait_loadcnt 0x0
	v_dual_mov_b32 v0, v87 :: v_dual_mov_b32 v1, v2
	v_mov_b32_e32 v2, v3
	s_swap_pc_i64 s[30:31], s[58:59]
	s_delay_alu instid0(VALU_DEP_2)
	v_mov_b32_e32 v130, v0
.LBB25_3696:
	s_wait_xcnt 0x0
	s_or_b32 exec_lo, exec_lo, s63
	v_or_b32_e32 v0, 0x2800, v209
	s_mov_b32 s63, exec_lo
                                        ; implicit-def: $vgpr128
	s_delay_alu instid0(VALU_DEP_1)
	v_cmpx_lt_i32_e64 v0, v211
	s_cbranch_execz .LBB25_3698
; %bb.3697:
	scratch_load_b64 v[2:3], off, s33 offset:176
	s_wait_loadcnt 0x0
	v_dual_mov_b32 v0, v87 :: v_dual_mov_b32 v1, v2
	v_mov_b32_e32 v2, v3
	s_swap_pc_i64 s[30:31], s[58:59]
	s_delay_alu instid0(VALU_DEP_2)
	v_mov_b32_e32 v128, v0
.LBB25_3698:
	s_wait_xcnt 0x0
	s_or_b32 exec_lo, exec_lo, s63
	v_add_nc_u32_e32 v0, 0x2a00, v209
	s_mov_b32 s63, exec_lo
                                        ; implicit-def: $vgpr118
	s_delay_alu instid0(VALU_DEP_1)
	v_cmpx_lt_i32_e64 v0, v211
	s_cbranch_execz .LBB25_3700
; %bb.3699:
	scratch_load_b64 v[2:3], off, s33 offset:184
	s_wait_loadcnt 0x0
	v_dual_mov_b32 v0, v87 :: v_dual_mov_b32 v1, v2
	v_mov_b32_e32 v2, v3
	s_swap_pc_i64 s[30:31], s[58:59]
	s_delay_alu instid0(VALU_DEP_2)
	v_mov_b32_e32 v118, v0
.LBB25_3700:
	s_wait_xcnt 0x0
	s_or_b32 exec_lo, exec_lo, s63
	v_or_b32_e32 v0, 0x2c00, v209
	s_mov_b32 s63, exec_lo
                                        ; implicit-def: $vgpr116
	s_delay_alu instid0(VALU_DEP_1)
	v_cmpx_lt_i32_e64 v0, v211
	s_cbranch_execz .LBB25_3702
; %bb.3701:
	scratch_load_b64 v[2:3], off, s33 offset:192
	s_wait_loadcnt 0x0
	v_dual_mov_b32 v0, v87 :: v_dual_mov_b32 v1, v2
	v_mov_b32_e32 v2, v3
	s_swap_pc_i64 s[30:31], s[58:59]
	s_delay_alu instid0(VALU_DEP_2)
	v_mov_b32_e32 v116, v0
.LBB25_3702:
	s_wait_xcnt 0x0
	s_or_b32 exec_lo, exec_lo, s63
	v_add_nc_u32_e32 v0, 0x2e00, v209
	s_mov_b32 s63, exec_lo
                                        ; implicit-def: $vgpr114
	s_delay_alu instid0(VALU_DEP_1)
	v_cmpx_lt_i32_e64 v0, v211
	s_cbranch_execz .LBB25_3704
; %bb.3703:
	scratch_load_b64 v[2:3], off, s33 offset:200
	s_wait_loadcnt 0x0
	v_dual_mov_b32 v0, v87 :: v_dual_mov_b32 v1, v2
	v_mov_b32_e32 v2, v3
	s_swap_pc_i64 s[30:31], s[58:59]
	s_delay_alu instid0(VALU_DEP_2)
	v_mov_b32_e32 v114, v0
.LBB25_3704:
	s_wait_xcnt 0x0
	s_or_b32 exec_lo, exec_lo, s63
	v_or_b32_e32 v0, 0x3000, v209
	s_mov_b32 s63, exec_lo
                                        ; implicit-def: $vgpr112
	s_delay_alu instid0(VALU_DEP_1)
	v_cmpx_lt_i32_e64 v0, v211
	s_cbranch_execz .LBB25_3706
; %bb.3705:
	scratch_load_b64 v[2:3], off, s33 offset:208
	s_wait_loadcnt 0x0
	v_dual_mov_b32 v0, v87 :: v_dual_mov_b32 v1, v2
	v_mov_b32_e32 v2, v3
	s_swap_pc_i64 s[30:31], s[58:59]
	s_delay_alu instid0(VALU_DEP_2)
	v_mov_b32_e32 v112, v0
.LBB25_3706:
	s_wait_xcnt 0x0
	s_or_b32 exec_lo, exec_lo, s63
	v_add_nc_u32_e32 v0, 0x3200, v209
	s_mov_b32 s63, exec_lo
                                        ; implicit-def: $vgpr102
	s_delay_alu instid0(VALU_DEP_1)
	v_cmpx_lt_i32_e64 v0, v211
	s_cbranch_execz .LBB25_3708
; %bb.3707:
	scratch_load_b64 v[2:3], off, s33 offset:216
	s_wait_loadcnt 0x0
	v_dual_mov_b32 v0, v87 :: v_dual_mov_b32 v1, v2
	v_mov_b32_e32 v2, v3
	s_swap_pc_i64 s[30:31], s[58:59]
	s_delay_alu instid0(VALU_DEP_2)
	v_mov_b32_e32 v102, v0
.LBB25_3708:
	s_wait_xcnt 0x0
	s_or_b32 exec_lo, exec_lo, s63
	v_or_b32_e32 v0, 0x3400, v209
	s_mov_b32 s63, exec_lo
                                        ; implicit-def: $vgpr100
	s_delay_alu instid0(VALU_DEP_1)
	v_cmpx_lt_i32_e64 v0, v211
	s_cbranch_execz .LBB25_3710
; %bb.3709:
	scratch_load_b64 v[2:3], off, s33 offset:224
	s_wait_loadcnt 0x0
	v_dual_mov_b32 v0, v87 :: v_dual_mov_b32 v1, v2
	v_mov_b32_e32 v2, v3
	s_swap_pc_i64 s[30:31], s[58:59]
	s_delay_alu instid0(VALU_DEP_2)
	v_mov_b32_e32 v100, v0
.LBB25_3710:
	s_wait_xcnt 0x0
	s_or_b32 exec_lo, exec_lo, s63
	v_add_nc_u32_e32 v0, 0x3600, v209
	s_mov_b32 s63, exec_lo
                                        ; implicit-def: $vgpr98
	s_delay_alu instid0(VALU_DEP_1)
	v_cmpx_lt_i32_e64 v0, v211
	s_cbranch_execz .LBB25_3712
; %bb.3711:
	scratch_load_b64 v[2:3], off, s33 offset:232
	s_wait_loadcnt 0x0
	v_dual_mov_b32 v0, v87 :: v_dual_mov_b32 v1, v2
	v_mov_b32_e32 v2, v3
	s_swap_pc_i64 s[30:31], s[58:59]
	s_delay_alu instid0(VALU_DEP_2)
	v_mov_b32_e32 v98, v0
.LBB25_3712:
	s_wait_xcnt 0x0
	s_or_b32 exec_lo, exec_lo, s63
	v_or_b32_e32 v0, 0x3800, v209
	s_mov_b32 s63, exec_lo
                                        ; implicit-def: $vgpr96
	s_delay_alu instid0(VALU_DEP_1)
	v_cmpx_lt_i32_e64 v0, v211
	s_cbranch_execz .LBB25_3714
; %bb.3713:
	scratch_load_b64 v[2:3], off, s33 offset:240
	s_wait_loadcnt 0x0
	v_dual_mov_b32 v0, v87 :: v_dual_mov_b32 v1, v2
	v_mov_b32_e32 v2, v3
	s_swap_pc_i64 s[30:31], s[58:59]
	s_delay_alu instid0(VALU_DEP_2)
	v_mov_b32_e32 v96, v0
.LBB25_3714:
	s_wait_xcnt 0x0
	s_or_b32 exec_lo, exec_lo, s63
	v_add_nc_u32_e32 v0, 0x3a00, v209
	s_mov_b32 s63, exec_lo
                                        ; implicit-def: $vgpr86
	s_delay_alu instid0(VALU_DEP_1)
	v_cmpx_lt_i32_e64 v0, v211
	s_cbranch_execz .LBB25_3716
; %bb.3715:
	scratch_load_b64 v[2:3], off, s33 offset:248
	s_wait_loadcnt 0x0
	v_dual_mov_b32 v0, v87 :: v_dual_mov_b32 v1, v2
	v_mov_b32_e32 v2, v3
	s_swap_pc_i64 s[30:31], s[58:59]
	s_delay_alu instid0(VALU_DEP_2)
	v_mov_b32_e32 v86, v0
.LBB25_3716:
	s_wait_xcnt 0x0
	s_or_b32 exec_lo, exec_lo, s63
	v_or_b32_e32 v0, 0x3c00, v209
	s_mov_b32 s63, exec_lo
                                        ; implicit-def: $vgpr84
	s_delay_alu instid0(VALU_DEP_1)
	v_cmpx_lt_i32_e64 v0, v211
	s_cbranch_execz .LBB25_3718
; %bb.3717:
	scratch_load_b64 v[2:3], off, s33 offset:256
	s_wait_loadcnt 0x0
	v_dual_mov_b32 v0, v87 :: v_dual_mov_b32 v1, v2
	v_mov_b32_e32 v2, v3
	s_swap_pc_i64 s[30:31], s[58:59]
	s_delay_alu instid0(VALU_DEP_2)
	v_mov_b32_e32 v84, v0
.LBB25_3718:
	s_wait_xcnt 0x0
	s_or_b32 exec_lo, exec_lo, s63
	v_add_nc_u32_e32 v0, 0x3e00, v209
	s_delay_alu instid0(VALU_DEP_1)
	v_cmp_lt_i32_e32 vcc_lo, v0, v211
                                        ; implicit-def: $vgpr0
	s_and_saveexec_b32 s63, vcc_lo
	s_cbranch_execz .LBB25_3720
; %bb.3719:
	scratch_load_b64 v[2:3], off, s33 offset:264
	s_wait_loadcnt 0x0
	v_dual_mov_b32 v0, v87 :: v_dual_mov_b32 v1, v2
	v_mov_b32_e32 v2, v3
	s_swap_pc_i64 s[30:31], s[58:59]
.LBB25_3720:
	s_wait_xcnt 0x0
	s_or_b32 exec_lo, exec_lo, s63
	s_mov_b32 s5, -1
	s_mov_b32 s3, 0
	s_mov_b32 s1, 0
	;; [unrolled: 1-line block ×3, first 2 shown]
	s_and_saveexec_b32 s0, s57
	s_delay_alu instid0(SALU_CYCLE_1)
	s_xor_b32 s2, exec_lo, s0
	s_cbranch_execz .LBB25_3846
; %bb.3721:
	v_dual_mov_b32 v3, 0 :: v_dual_bitop2_b32 v1, s60, v209 bitop3:0x54
	s_mov_b32 s0, 0
	s_mov_b32 s4, 0
	s_mov_b32 s1, exec_lo
	s_delay_alu instid0(VALU_DEP_1) | instskip(SKIP_1) | instid1(VALU_DEP_2)
	v_mul_lo_u32 v2, v1, v210
	v_and_b32_e32 v1, 0xff, v85
	v_add_nc_u64_e32 v[2:3], v[212:213], v[2:3]
	s_delay_alu instid0(VALU_DEP_2)
	v_cmpx_lt_i16_e32 10, v1
	s_xor_b32 s1, exec_lo, s1
	s_cbranch_execz .LBB25_3803
; %bb.3722:
	s_mov_b32 s5, 0
	s_mov_b32 s6, exec_lo
	v_cmpx_lt_i16_e32 25, v1
	s_xor_b32 s6, exec_lo, s6
	s_cbranch_execz .LBB25_3758
; %bb.3723:
	s_mov_b32 s7, 0
	s_mov_b32 s4, exec_lo
	v_cmpx_lt_i16_e32 28, v1
	s_xor_b32 s4, exec_lo, s4
	s_cbranch_execz .LBB25_3741
; %bb.3724:
	s_mov_b32 s9, 0
	s_mov_b32 s8, 0
	s_mov_b32 s5, exec_lo
	v_cmpx_lt_i16_e32 43, v1
	s_xor_b32 s5, exec_lo, s5
	s_cbranch_execz .LBB25_3736
; %bb.3725:
	s_mov_b32 s0, exec_lo
	v_cmpx_lt_i16_e32 45, v1
	s_xor_b32 s0, exec_lo, s0
	s_cbranch_execz .LBB25_3729
; %bb.3726:
	s_mov_b32 s9, -1
	s_mov_b32 s10, 0
	s_mov_b32 s8, exec_lo
	v_cmpx_eq_u16_e32 46, v1
	s_cbranch_execz .LBB25_3728
; %bb.3727:
	v_bfe_u32 v1, v208, 16, 1
	v_cmp_o_f32_e32 vcc_lo, v208, v208
	s_mov_b32 s7, exec_lo
	s_and_b32 s10, s56, exec_lo
	s_xor_b32 s9, exec_lo, -1
	v_add3_u32 v1, v208, v1, 0x7fff
	s_delay_alu instid0(VALU_DEP_1) | instskip(NEXT) | instid1(VALU_DEP_1)
	v_lshrrev_b32_e32 v1, 16, v1
	v_cndmask_b32_e32 v1, 0x7fc0, v1, vcc_lo
	flat_store_b32 v[2:3], v1
.LBB25_3728:
	s_wait_xcnt 0x0
	s_or_b32 exec_lo, exec_lo, s8
	s_delay_alu instid0(SALU_CYCLE_1)
	s_and_b32 s8, s10, exec_lo
	s_and_b32 s9, s9, exec_lo
	;; [unrolled: 1-line block ×3, first 2 shown]
                                        ; implicit-def: $vgpr1
                                        ; implicit-def: $vgpr2_vgpr3
                                        ; implicit-def: $vgpr208
.LBB25_3729:
	s_and_not1_saveexec_b32 s10, s0
	s_cbranch_execz .LBB25_3735
; %bb.3730:
	s_mov_b32 s12, -1
	s_mov_b32 s0, s7
	s_mov_b32 s13, s8
	s_mov_b32 s11, exec_lo
	v_cmpx_eq_u16_e32 44, v1
	s_cbranch_execz .LBB25_3734
; %bb.3731:
	v_bfe_u32 v4, v208, 23, 8
	v_mov_b32_e32 v1, 0xff
	s_mov_b32 s12, exec_lo
	s_delay_alu instid0(VALU_DEP_2)
	v_cmpx_ne_u32_e32 0xff, v4
	s_cbranch_execz .LBB25_3733
; %bb.3732:
	v_and_b32_e32 v1, 0x400000, v208
	v_and_or_b32 v4, 0x3fffff, v208, v4
	s_delay_alu instid0(VALU_DEP_2) | instskip(NEXT) | instid1(VALU_DEP_2)
	v_cmp_ne_u32_e32 vcc_lo, 0, v1
	v_cmp_ne_u32_e64 s0, 0, v4
	v_lshrrev_b32_e32 v1, 23, v208
	s_and_b32 s0, vcc_lo, s0
	s_delay_alu instid0(SALU_CYCLE_1) | instskip(NEXT) | instid1(VALU_DEP_1)
	v_cndmask_b32_e64 v4, 0, 1, s0
	v_add_nc_u32_e32 v1, v1, v4
.LBB25_3733:
	s_or_b32 exec_lo, exec_lo, s12
	s_delay_alu instid0(SALU_CYCLE_1)
	s_and_not1_b32 s0, s8, exec_lo
	s_and_b32 s12, s56, exec_lo
	flat_store_b8 v[2:3], v1
	s_or_b32 s13, s0, s12
	s_xor_b32 s12, exec_lo, -1
	s_or_b32 s0, s7, exec_lo
.LBB25_3734:
	s_wait_xcnt 0x0
	s_or_b32 exec_lo, exec_lo, s11
	s_delay_alu instid0(SALU_CYCLE_1)
	s_and_not1_b32 s8, s8, exec_lo
	s_and_b32 s11, s13, exec_lo
	s_and_not1_b32 s9, s9, exec_lo
	s_or_b32 s8, s8, s11
	s_and_b32 s11, s12, exec_lo
	s_and_not1_b32 s7, s7, exec_lo
	s_and_b32 s0, s0, exec_lo
	s_or_b32 s9, s9, s11
	s_or_b32 s7, s7, s0
.LBB25_3735:
	s_or_b32 exec_lo, exec_lo, s10
	s_delay_alu instid0(SALU_CYCLE_1)
	s_and_b32 s8, s8, exec_lo
	s_and_b32 s9, s9, exec_lo
	;; [unrolled: 1-line block ×3, first 2 shown]
                                        ; implicit-def: $vgpr1
                                        ; implicit-def: $vgpr208
                                        ; implicit-def: $vgpr2_vgpr3
.LBB25_3736:
	s_and_not1_saveexec_b32 s5, s5
	s_cbranch_execz .LBB25_3740
; %bb.3737:
	s_mov_b32 s11, -1
	s_mov_b32 s10, s0
	s_mov_b32 s12, s8
	s_mov_b32 s7, exec_lo
	v_cmpx_eq_u16_e32 29, v1
	s_cbranch_execz .LBB25_3739
; %bb.3738:
	v_trunc_f32_e32 v1, v208
	s_and_not1_b32 s10, s8, exec_lo
	s_and_b32 s11, s56, exec_lo
	s_delay_alu instid0(SALU_CYCLE_1) | instskip(NEXT) | instid1(VALU_DEP_1)
	s_or_b32 s12, s10, s11
	v_mul_f32_e32 v4, 0x2f800000, v1
	s_xor_b32 s11, exec_lo, -1
	s_or_b32 s10, s0, exec_lo
	s_delay_alu instid0(VALU_DEP_1) | instskip(NEXT) | instid1(VALU_DEP_1)
	v_floor_f32_e32 v4, v4
	v_fmamk_f32 v1, v4, 0xcf800000, v1
	v_cvt_u32_f32_e32 v5, v4
	s_delay_alu instid0(VALU_DEP_2)
	v_cvt_u32_f32_e32 v4, v1
	flat_store_b64 v[2:3], v[4:5]
.LBB25_3739:
	s_wait_xcnt 0x0
	s_or_b32 exec_lo, exec_lo, s7
	s_delay_alu instid0(SALU_CYCLE_1)
	s_and_not1_b32 s7, s8, exec_lo
	s_and_b32 s8, s12, exec_lo
	s_and_not1_b32 s0, s0, exec_lo
	s_or_b32 s8, s7, s8
	s_and_not1_b32 s7, s9, exec_lo
	s_and_b32 s9, s11, exec_lo
	s_and_b32 s10, s10, exec_lo
	s_or_b32 s9, s7, s9
	s_or_b32 s0, s0, s10
.LBB25_3740:
	s_or_b32 exec_lo, exec_lo, s5
	s_delay_alu instid0(SALU_CYCLE_1)
	s_and_b32 s7, s8, exec_lo
	s_and_b32 s5, s9, exec_lo
	;; [unrolled: 1-line block ×3, first 2 shown]
                                        ; implicit-def: $vgpr2_vgpr3
                                        ; implicit-def: $vgpr1
                                        ; implicit-def: $vgpr208
.LBB25_3741:
	s_and_not1_saveexec_b32 s4, s4
	s_cbranch_execz .LBB25_3757
; %bb.3742:
	s_mov_b32 s8, exec_lo
	v_cmpx_lt_i16_e32 26, v1
	s_xor_b32 s8, exec_lo, s8
	s_cbranch_execz .LBB25_3748
; %bb.3743:
	v_cmp_lt_i16_e32 vcc_lo, 27, v1
	v_cvt_u32_f32_e32 v1, v208
	s_and_saveexec_b32 s9, vcc_lo
	s_delay_alu instid0(SALU_CYCLE_1)
	s_xor_b32 s9, exec_lo, s9
	s_cbranch_execz .LBB25_3745
; %bb.3744:
	flat_store_b32 v[2:3], v1
                                        ; implicit-def: $vgpr2_vgpr3
                                        ; implicit-def: $vgpr1
.LBB25_3745:
	s_wait_xcnt 0x0
	s_and_not1_saveexec_b32 s9, s9
	s_cbranch_execz .LBB25_3747
; %bb.3746:
	flat_store_b16 v[2:3], v1
.LBB25_3747:
	s_wait_xcnt 0x0
	s_or_b32 exec_lo, exec_lo, s9
                                        ; implicit-def: $vgpr2_vgpr3
                                        ; implicit-def: $vgpr208
.LBB25_3748:
	s_and_not1_saveexec_b32 s8, s8
	s_cbranch_execz .LBB25_3756
; %bb.3749:
	v_and_b32_e32 v1, 0x7fffffff, v208
	v_mov_b32_e32 v4, 0x80
	s_mov_b32 s9, exec_lo
	s_delay_alu instid0(VALU_DEP_2)
	v_cmpx_gt_u32_e32 0x43800000, v1
	s_cbranch_execz .LBB25_3755
; %bb.3750:
	v_cmp_lt_u32_e32 vcc_lo, 0x3bffffff, v1
	s_mov_b32 s10, 0
                                        ; implicit-def: $vgpr1
	s_and_saveexec_b32 s11, vcc_lo
	s_delay_alu instid0(SALU_CYCLE_1)
	s_xor_b32 s11, exec_lo, s11
	s_cbranch_execnz .LBB25_7879
; %bb.3751:
	s_and_not1_saveexec_b32 s11, s11
	s_cbranch_execnz .LBB25_7880
.LBB25_3752:
	s_or_b32 exec_lo, exec_lo, s11
	v_mov_b32_e32 v4, 0
	s_and_saveexec_b32 s11, s10
.LBB25_3753:
	v_lshrrev_b32_e32 v4, 24, v208
	s_delay_alu instid0(VALU_DEP_1)
	v_and_or_b32 v4, 0x80, v4, v1
.LBB25_3754:
	s_or_b32 exec_lo, exec_lo, s11
.LBB25_3755:
	s_delay_alu instid0(SALU_CYCLE_1)
	s_or_b32 exec_lo, exec_lo, s9
	flat_store_b8 v[2:3], v4
.LBB25_3756:
	s_wait_xcnt 0x0
	s_or_b32 exec_lo, exec_lo, s8
	s_delay_alu instid0(SALU_CYCLE_1)
	s_and_not1_b32 s7, s7, exec_lo
	s_and_b32 s8, s56, exec_lo
	s_or_b32 s0, s0, exec_lo
	s_or_b32 s7, s7, s8
.LBB25_3757:
	s_or_b32 exec_lo, exec_lo, s4
	s_delay_alu instid0(SALU_CYCLE_1)
	s_and_b32 s4, s7, exec_lo
	s_and_b32 s5, s5, exec_lo
	;; [unrolled: 1-line block ×3, first 2 shown]
                                        ; implicit-def: $vgpr1
                                        ; implicit-def: $vgpr208
                                        ; implicit-def: $vgpr2_vgpr3
.LBB25_3758:
	s_and_not1_saveexec_b32 s6, s6
	s_cbranch_execz .LBB25_3802
; %bb.3759:
	s_mov_b32 s8, s0
	s_mov_b32 s9, s4
	s_mov_b32 s7, exec_lo
	v_cmpx_lt_i16_e32 22, v1
	s_xor_b32 s7, exec_lo, s7
	s_cbranch_execz .LBB25_3791
; %bb.3760:
	s_mov_b32 s8, exec_lo
	v_cmpx_lt_i16_e32 23, v1
	s_xor_b32 s8, exec_lo, s8
	s_cbranch_execz .LBB25_3780
; %bb.3761:
	;; [unrolled: 5-line block ×3, first 2 shown]
	v_and_b32_e32 v1, 0x7fffffff, v208
	v_mov_b32_e32 v4, 0x80
	s_mov_b32 s10, exec_lo
	s_delay_alu instid0(VALU_DEP_2)
	v_cmpx_gt_u32_e32 0x47800000, v1
	s_cbranch_execz .LBB25_3768
; %bb.3763:
	v_cmp_lt_u32_e32 vcc_lo, 0x37ffffff, v1
	s_mov_b32 s11, 0
                                        ; implicit-def: $vgpr1
	s_and_saveexec_b32 s12, vcc_lo
	s_delay_alu instid0(SALU_CYCLE_1)
	s_xor_b32 s12, exec_lo, s12
	s_cbranch_execnz .LBB25_7881
; %bb.3764:
	s_and_not1_saveexec_b32 s12, s12
	s_cbranch_execnz .LBB25_7882
.LBB25_3765:
	s_or_b32 exec_lo, exec_lo, s12
	v_mov_b32_e32 v4, 0
	s_and_saveexec_b32 s12, s11
.LBB25_3766:
	v_lshrrev_b32_e32 v4, 24, v208
	s_delay_alu instid0(VALU_DEP_1)
	v_and_or_b32 v4, 0x80, v4, v1
.LBB25_3767:
	s_or_b32 exec_lo, exec_lo, s12
.LBB25_3768:
	s_delay_alu instid0(SALU_CYCLE_1)
	s_or_b32 exec_lo, exec_lo, s10
	flat_store_b8 v[2:3], v4
                                        ; implicit-def: $vgpr208
                                        ; implicit-def: $vgpr2_vgpr3
.LBB25_3769:
	s_wait_xcnt 0x0
	s_and_not1_saveexec_b32 s9, s9
	s_cbranch_execz .LBB25_3779
; %bb.3770:
	v_and_b32_e32 v4, 0x7fffffff, v208
	s_mov_b32 s10, exec_lo
                                        ; implicit-def: $vgpr1
	s_delay_alu instid0(VALU_DEP_1)
	v_cmpx_gt_u32_e32 0x43f00000, v4
	s_xor_b32 s10, exec_lo, s10
	s_cbranch_execz .LBB25_3776
; %bb.3771:
	s_mov_b32 s11, exec_lo
                                        ; implicit-def: $vgpr1
	v_cmpx_lt_u32_e32 0x3c7fffff, v4
	s_xor_b32 s11, exec_lo, s11
; %bb.3772:
	v_bfe_u32 v1, v208, 20, 1
	s_delay_alu instid0(VALU_DEP_1) | instskip(NEXT) | instid1(VALU_DEP_1)
	v_add3_u32 v1, v208, v1, 0x407ffff
	v_and_b32_e32 v4, 0xff00000, v1
	v_lshrrev_b32_e32 v1, 20, v1
	s_delay_alu instid0(VALU_DEP_2) | instskip(NEXT) | instid1(VALU_DEP_2)
	v_cmp_ne_u32_e32 vcc_lo, 0x7f00000, v4
	v_cndmask_b32_e32 v1, 0x7e, v1, vcc_lo
; %bb.3773:
	s_and_not1_saveexec_b32 s11, s11
; %bb.3774:
	v_add_f32_e64 v1, 0x46800000, |v208|
; %bb.3775:
	s_or_b32 exec_lo, exec_lo, s11
                                        ; implicit-def: $vgpr4
.LBB25_3776:
	s_and_not1_saveexec_b32 s10, s10
; %bb.3777:
	v_mov_b32_e32 v1, 0x7f
	v_cmp_lt_u32_e32 vcc_lo, 0x7f800000, v4
	s_delay_alu instid0(VALU_DEP_2)
	v_cndmask_b32_e32 v1, 0x7e, v1, vcc_lo
; %bb.3778:
	s_or_b32 exec_lo, exec_lo, s10
	v_lshrrev_b32_e32 v4, 24, v208
	s_delay_alu instid0(VALU_DEP_1)
	v_and_or_b32 v1, 0x80, v4, v1
	flat_store_b8 v[2:3], v1
.LBB25_3779:
	s_wait_xcnt 0x0
	s_or_b32 exec_lo, exec_lo, s9
                                        ; implicit-def: $vgpr208
                                        ; implicit-def: $vgpr2_vgpr3
.LBB25_3780:
	s_and_not1_saveexec_b32 s8, s8
	s_cbranch_execz .LBB25_3790
; %bb.3781:
	v_and_b32_e32 v4, 0x7fffffff, v208
	s_mov_b32 s9, exec_lo
                                        ; implicit-def: $vgpr1
	s_delay_alu instid0(VALU_DEP_1)
	v_cmpx_gt_u32_e32 0x47800000, v4
	s_xor_b32 s9, exec_lo, s9
	s_cbranch_execz .LBB25_3787
; %bb.3782:
	s_mov_b32 s10, exec_lo
                                        ; implicit-def: $vgpr1
	v_cmpx_lt_u32_e32 0x387fffff, v4
	s_xor_b32 s10, exec_lo, s10
; %bb.3783:
	v_bfe_u32 v1, v208, 21, 1
	s_delay_alu instid0(VALU_DEP_1) | instskip(NEXT) | instid1(VALU_DEP_1)
	v_add3_u32 v1, v208, v1, 0x80fffff
	v_lshrrev_b32_e32 v1, 21, v1
; %bb.3784:
	s_and_not1_saveexec_b32 s10, s10
; %bb.3785:
	v_add_f32_e64 v1, 0x43000000, |v208|
; %bb.3786:
	s_or_b32 exec_lo, exec_lo, s10
                                        ; implicit-def: $vgpr4
.LBB25_3787:
	s_and_not1_saveexec_b32 s9, s9
; %bb.3788:
	v_mov_b32_e32 v1, 0x7f
	v_cmp_lt_u32_e32 vcc_lo, 0x7f800000, v4
	s_delay_alu instid0(VALU_DEP_2)
	v_cndmask_b32_e32 v1, 0x7c, v1, vcc_lo
; %bb.3789:
	s_or_b32 exec_lo, exec_lo, s9
	v_lshrrev_b32_e32 v4, 24, v208
	s_delay_alu instid0(VALU_DEP_1)
	v_and_or_b32 v1, 0x80, v4, v1
	flat_store_b8 v[2:3], v1
.LBB25_3790:
	s_wait_xcnt 0x0
	s_or_b32 exec_lo, exec_lo, s8
	s_delay_alu instid0(SALU_CYCLE_1) | instskip(SKIP_1) | instid1(SALU_CYCLE_1)
	s_and_not1_b32 s8, s4, exec_lo
	s_and_b32 s9, s56, exec_lo
                                        ; implicit-def: $vgpr1
                                        ; implicit-def: $vgpr208
                                        ; implicit-def: $vgpr2_vgpr3
	s_or_b32 s9, s8, s9
	s_or_b32 s8, s0, exec_lo
.LBB25_3791:
	s_or_saveexec_b32 s7, s7
	s_mov_b32 s10, s5
	s_xor_b32 exec_lo, exec_lo, s7
	s_cbranch_execz .LBB25_3801
; %bb.3792:
	s_mov_b32 s11, s8
	s_mov_b32 s12, s5
	;; [unrolled: 1-line block ×3, first 2 shown]
	s_mov_b32 s13, exec_lo
	v_cmpx_lt_i16_e32 14, v1
	s_xor_b32 s13, exec_lo, s13
	s_cbranch_execz .LBB25_3796
; %bb.3793:
	s_mov_b32 s12, -1
	s_mov_b32 s11, s8
	s_mov_b32 s14, s9
	s_mov_b32 s10, exec_lo
	v_cmpx_eq_u16_e32 15, v1
	s_cbranch_execz .LBB25_3795
; %bb.3794:
	v_bfe_u32 v1, v208, 16, 1
	v_cmp_o_f32_e32 vcc_lo, v208, v208
	s_and_not1_b32 s11, s9, exec_lo
	s_and_b32 s12, s56, exec_lo
	s_delay_alu instid0(SALU_CYCLE_1) | instskip(SKIP_3) | instid1(VALU_DEP_1)
	s_or_b32 s14, s11, s12
	v_add3_u32 v1, v208, v1, 0x7fff
	s_xor_b32 s12, exec_lo, -1
	s_or_b32 s11, s8, exec_lo
	v_lshrrev_b32_e32 v1, 16, v1
	s_delay_alu instid0(VALU_DEP_1)
	v_cndmask_b32_e32 v1, 0x7fc0, v1, vcc_lo
	flat_store_b16 v[2:3], v1
.LBB25_3795:
	s_wait_xcnt 0x0
	s_or_b32 exec_lo, exec_lo, s10
	s_delay_alu instid0(SALU_CYCLE_1)
	s_and_not1_b32 s10, s9, exec_lo
	s_and_b32 s14, s14, exec_lo
	s_and_b32 s12, s12, exec_lo
	s_or_b32 s10, s10, s14
	s_and_not1_b32 s14, s5, exec_lo
	s_and_not1_b32 s15, s8, exec_lo
	s_and_b32 s11, s11, exec_lo
	s_or_b32 s12, s14, s12
	s_or_b32 s11, s15, s11
                                        ; implicit-def: $vgpr1
                                        ; implicit-def: $vgpr208
                                        ; implicit-def: $vgpr2_vgpr3
.LBB25_3796:
	s_and_not1_saveexec_b32 s13, s13
	s_cbranch_execz .LBB25_3800
; %bb.3797:
	s_mov_b32 s15, -1
	s_mov_b32 s14, s11
	s_mov_b32 s17, s10
	s_mov_b32 s16, exec_lo
	v_cmpx_eq_u16_e32 11, v1
	s_cbranch_execz .LBB25_3799
; %bb.3798:
	v_cmp_neq_f32_e32 vcc_lo, 0, v208
	s_and_not1_b32 s14, s10, exec_lo
	s_and_b32 s15, s56, exec_lo
	s_delay_alu instid0(SALU_CYCLE_1)
	s_or_b32 s17, s14, s15
	v_cndmask_b32_e64 v1, 0, 1, vcc_lo
	s_xor_b32 s15, exec_lo, -1
	s_or_b32 s14, s11, exec_lo
	flat_store_b8 v[2:3], v1
.LBB25_3799:
	s_wait_xcnt 0x0
	s_or_b32 exec_lo, exec_lo, s16
	s_delay_alu instid0(SALU_CYCLE_1)
	s_and_not1_b32 s10, s10, exec_lo
	s_and_b32 s16, s17, exec_lo
	s_and_not1_b32 s12, s12, exec_lo
	s_and_b32 s15, s15, exec_lo
	;; [unrolled: 2-line block ×3, first 2 shown]
	s_or_b32 s10, s10, s16
	s_or_b32 s12, s12, s15
	;; [unrolled: 1-line block ×3, first 2 shown]
.LBB25_3800:
	s_or_b32 exec_lo, exec_lo, s13
	s_delay_alu instid0(SALU_CYCLE_1)
	s_and_not1_b32 s9, s9, exec_lo
	s_and_b32 s10, s10, exec_lo
	s_and_b32 s12, s12, exec_lo
	s_or_b32 s9, s9, s10
	s_and_not1_b32 s10, s5, exec_lo
	s_and_not1_b32 s8, s8, exec_lo
	s_and_b32 s11, s11, exec_lo
	s_or_b32 s10, s10, s12
	s_or_b32 s8, s8, s11
.LBB25_3801:
	s_or_b32 exec_lo, exec_lo, s7
	s_delay_alu instid0(SALU_CYCLE_1)
	s_and_not1_b32 s4, s4, exec_lo
	s_and_b32 s7, s9, exec_lo
	s_and_not1_b32 s5, s5, exec_lo
	s_or_b32 s4, s4, s7
	s_and_b32 s7, s10, exec_lo
	s_and_not1_b32 s0, s0, exec_lo
	s_and_b32 s8, s8, exec_lo
	s_or_b32 s5, s5, s7
	s_or_b32 s0, s0, s8
.LBB25_3802:
	s_or_b32 exec_lo, exec_lo, s6
	s_delay_alu instid0(SALU_CYCLE_1)
	s_and_b32 s6, s4, exec_lo
	s_and_b32 s4, s5, exec_lo
	;; [unrolled: 1-line block ×3, first 2 shown]
                                        ; implicit-def: $vgpr1
                                        ; implicit-def: $vgpr208
                                        ; implicit-def: $vgpr2_vgpr3
.LBB25_3803:
	s_and_not1_saveexec_b32 s1, s1
	s_cbranch_execz .LBB25_3845
; %bb.3804:
	s_mov_b32 s5, exec_lo
	v_cmpx_lt_i16_e32 4, v1
	s_xor_b32 s5, exec_lo, s5
	s_cbranch_execz .LBB25_3826
; %bb.3805:
	s_mov_b32 s7, exec_lo
	v_cmpx_lt_i16_e32 7, v1
	s_xor_b32 s7, exec_lo, s7
	;; [unrolled: 5-line block ×4, first 2 shown]
	s_cbranch_execz .LBB25_3809
; %bb.3808:
	v_cvt_f64_f32_e32 v[4:5], v208
	v_mov_b32_e32 v6, 0
                                        ; implicit-def: $vgpr208
	s_delay_alu instid0(VALU_DEP_1)
	v_mov_b32_e32 v7, v6
	flat_store_b128 v[2:3], v[4:7]
                                        ; implicit-def: $vgpr2_vgpr3
.LBB25_3809:
	s_wait_xcnt 0x0
	s_and_not1_saveexec_b32 s9, s9
	s_cbranch_execz .LBB25_3811
; %bb.3810:
	v_mov_b32_e32 v209, 0
	flat_store_b64 v[2:3], v[208:209]
.LBB25_3811:
	s_wait_xcnt 0x0
	s_or_b32 exec_lo, exec_lo, s9
                                        ; implicit-def: $vgpr208
                                        ; implicit-def: $vgpr2_vgpr3
.LBB25_3812:
	s_and_not1_saveexec_b32 s8, s8
	s_cbranch_execz .LBB25_3814
; %bb.3813:
	v_cvt_f16_f32_e64 v1, v208
	s_delay_alu instid0(VALU_DEP_1)
	v_and_b32_e32 v1, 0xffff, v1
	flat_store_b32 v[2:3], v1
.LBB25_3814:
	s_wait_xcnt 0x0
	s_or_b32 exec_lo, exec_lo, s8
                                        ; implicit-def: $vgpr208
                                        ; implicit-def: $vgpr2_vgpr3
                                        ; implicit-def: $vgpr1
.LBB25_3815:
	s_and_not1_saveexec_b32 s7, s7
	s_cbranch_execz .LBB25_3825
; %bb.3816:
	s_mov_b32 s8, exec_lo
	v_cmpx_lt_i16_e32 5, v1
	s_xor_b32 s8, exec_lo, s8
	s_cbranch_execz .LBB25_3822
; %bb.3817:
	s_mov_b32 s9, exec_lo
	v_cmpx_lt_i16_e32 6, v1
	s_xor_b32 s9, exec_lo, s9
	s_cbranch_execz .LBB25_3819
; %bb.3818:
	v_cvt_f64_f32_e32 v[4:5], v208
                                        ; implicit-def: $vgpr208
	flat_store_b64 v[2:3], v[4:5]
                                        ; implicit-def: $vgpr2_vgpr3
.LBB25_3819:
	s_wait_xcnt 0x0
	s_and_not1_saveexec_b32 s9, s9
	s_cbranch_execz .LBB25_3821
; %bb.3820:
	flat_store_b32 v[2:3], v208
.LBB25_3821:
	s_wait_xcnt 0x0
	s_or_b32 exec_lo, exec_lo, s9
                                        ; implicit-def: $vgpr208
                                        ; implicit-def: $vgpr2_vgpr3
.LBB25_3822:
	s_and_not1_saveexec_b32 s8, s8
	s_cbranch_execz .LBB25_3824
; %bb.3823:
	v_cvt_f16_f32_e64 v1, v208
	flat_store_b16 v[2:3], v1
.LBB25_3824:
	s_wait_xcnt 0x0
	s_or_b32 exec_lo, exec_lo, s8
.LBB25_3825:
	s_delay_alu instid0(SALU_CYCLE_1)
	s_or_b32 exec_lo, exec_lo, s7
                                        ; implicit-def: $vgpr1
                                        ; implicit-def: $vgpr208
                                        ; implicit-def: $vgpr2_vgpr3
.LBB25_3826:
	s_and_not1_saveexec_b32 s5, s5
	s_cbranch_execz .LBB25_3844
; %bb.3827:
	s_mov_b32 s7, exec_lo
	v_cmpx_lt_i16_e32 1, v1
	s_xor_b32 s7, exec_lo, s7
	s_cbranch_execz .LBB25_3837
; %bb.3828:
	s_mov_b32 s8, exec_lo
	v_cmpx_lt_i16_e32 2, v1
	s_xor_b32 s8, exec_lo, s8
	;; [unrolled: 5-line block ×3, first 2 shown]
	s_cbranch_execz .LBB25_3831
; %bb.3830:
	v_trunc_f32_e32 v1, v208
                                        ; implicit-def: $vgpr208
	s_delay_alu instid0(VALU_DEP_1) | instskip(NEXT) | instid1(VALU_DEP_1)
	v_mul_f32_e64 v4, 0x2f800000, |v1|
	v_floor_f32_e32 v5, v4
	v_ashrrev_i32_e32 v4, 31, v1
	s_delay_alu instid0(VALU_DEP_2) | instskip(SKIP_1) | instid1(VALU_DEP_3)
	v_fma_f32 v6, 0xcf800000, v5, |v1|
	v_cvt_u32_f32_e32 v1, v5
	v_mov_b32_e32 v5, v4
	s_delay_alu instid0(VALU_DEP_3) | instskip(NEXT) | instid1(VALU_DEP_3)
	v_cvt_u32_f32_e32 v6, v6
	v_xor_b32_e32 v7, v1, v4
	s_delay_alu instid0(VALU_DEP_2) | instskip(NEXT) | instid1(VALU_DEP_1)
	v_xor_b32_e32 v6, v6, v4
	v_sub_nc_u64_e32 v[4:5], v[6:7], v[4:5]
	flat_store_b64 v[2:3], v[4:5]
                                        ; implicit-def: $vgpr2_vgpr3
.LBB25_3831:
	s_wait_xcnt 0x0
	s_and_not1_saveexec_b32 s9, s9
	s_cbranch_execz .LBB25_3833
; %bb.3832:
	v_cvt_i32_f32_e32 v1, v208
	flat_store_b32 v[2:3], v1
.LBB25_3833:
	s_wait_xcnt 0x0
	s_or_b32 exec_lo, exec_lo, s9
                                        ; implicit-def: $vgpr208
                                        ; implicit-def: $vgpr2_vgpr3
.LBB25_3834:
	s_and_not1_saveexec_b32 s8, s8
	s_cbranch_execz .LBB25_3836
; %bb.3835:
	v_cvt_i32_f32_e32 v1, v208
	flat_store_b16 v[2:3], v1
.LBB25_3836:
	s_wait_xcnt 0x0
	s_or_b32 exec_lo, exec_lo, s8
                                        ; implicit-def: $vgpr208
                                        ; implicit-def: $vgpr2_vgpr3
                                        ; implicit-def: $vgpr1
.LBB25_3837:
	s_and_not1_saveexec_b32 s7, s7
	s_cbranch_execz .LBB25_3843
; %bb.3838:
	s_mov_b32 s8, exec_lo
	v_cmpx_lt_i16_e32 0, v1
	s_xor_b32 s8, exec_lo, s8
	s_cbranch_execz .LBB25_3840
; %bb.3839:
	v_cvt_i32_f32_e32 v1, v208
                                        ; implicit-def: $vgpr208
	flat_store_b8 v[2:3], v1
                                        ; implicit-def: $vgpr2_vgpr3
.LBB25_3840:
	s_wait_xcnt 0x0
	s_and_not1_saveexec_b32 s8, s8
	s_cbranch_execz .LBB25_3842
; %bb.3841:
	v_trunc_f32_e32 v1, v208
	s_delay_alu instid0(VALU_DEP_1) | instskip(NEXT) | instid1(VALU_DEP_1)
	v_mul_f32_e64 v4, 0x2f800000, |v1|
	v_floor_f32_e32 v4, v4
	s_delay_alu instid0(VALU_DEP_1) | instskip(SKIP_1) | instid1(VALU_DEP_2)
	v_fma_f32 v4, 0xcf800000, v4, |v1|
	v_ashrrev_i32_e32 v1, 31, v1
	v_cvt_u32_f32_e32 v4, v4
	s_delay_alu instid0(VALU_DEP_1) | instskip(NEXT) | instid1(VALU_DEP_1)
	v_xor_b32_e32 v4, v4, v1
	v_sub_nc_u32_e32 v1, v4, v1
	flat_store_b8 v[2:3], v1
.LBB25_3842:
	s_wait_xcnt 0x0
	s_or_b32 exec_lo, exec_lo, s8
.LBB25_3843:
	s_delay_alu instid0(SALU_CYCLE_1)
	s_or_b32 exec_lo, exec_lo, s7
.LBB25_3844:
	s_delay_alu instid0(SALU_CYCLE_1) | instskip(NEXT) | instid1(SALU_CYCLE_1)
	s_or_b32 exec_lo, exec_lo, s5
	s_and_not1_b32 s5, s6, exec_lo
	s_and_b32 s6, s56, exec_lo
	s_or_b32 s0, s0, exec_lo
	s_or_b32 s6, s5, s6
.LBB25_3845:
	s_or_b32 exec_lo, exec_lo, s1
	v_mov_b32_e32 v209, v97
	s_and_b32 s6, s6, exec_lo
	s_and_b32 s1, s4, exec_lo
	s_or_not1_b32 s5, s0, exec_lo
.LBB25_3846:
	s_or_b32 exec_lo, exec_lo, s2
	s_mov_b32 s4, 0
	s_mov_b32 s0, 0
                                        ; implicit-def: $vgpr4
                                        ; implicit-def: $vgpr2_vgpr3
	s_and_saveexec_b32 s2, s5
	s_cbranch_execnz .LBB25_3850
; %bb.3847:
	s_or_b32 exec_lo, exec_lo, s2
	s_mov_b32 s2, 0
	s_and_saveexec_b32 s5, s1
	s_cbranch_execnz .LBB25_7831
.LBB25_3848:
	s_or_b32 exec_lo, exec_lo, s5
	s_and_saveexec_b32 s1, s3
	s_delay_alu instid0(SALU_CYCLE_1)
	s_xor_b32 s1, exec_lo, s1
	s_cbranch_execnz .LBB25_7832
.LBB25_3849:
	s_or_b32 exec_lo, exec_lo, s1
	s_and_saveexec_b32 s1, s4
	s_cbranch_execnz .LBB25_7833
	s_branch .LBB25_7874
.LBB25_3850:
	s_mov_b32 s7, -1
	s_mov_b32 s5, 0
	s_mov_b32 s3, s1
	s_and_saveexec_b32 s4, s6
	s_cbranch_execz .LBB25_3978
; %bb.3851:
	v_dual_add_nc_u32 v1, s60, v209 :: v_dual_mov_b32 v3, 0
	s_mov_b32 s6, s1
	s_mov_b32 s3, exec_lo
	s_delay_alu instid0(VALU_DEP_1) | instskip(SKIP_1) | instid1(VALU_DEP_2)
	v_mul_lo_u32 v2, v1, v210
	v_and_b32_e32 v1, 0xff, v85
	v_add_nc_u64_e32 v[2:3], v[212:213], v[2:3]
	s_delay_alu instid0(VALU_DEP_2)
	v_cmpx_lt_i16_e32 10, v1
	s_xor_b32 s3, exec_lo, s3
	s_cbranch_execz .LBB25_3933
; %bb.3852:
	s_mov_b32 s6, s1
	s_mov_b32 s7, exec_lo
	v_cmpx_lt_i16_e32 25, v1
	s_xor_b32 s7, exec_lo, s7
	s_cbranch_execz .LBB25_3888
; %bb.3853:
	s_mov_b32 s8, s1
	s_mov_b32 s6, exec_lo
	;; [unrolled: 6-line block ×3, first 2 shown]
	v_cmpx_lt_i16_e32 43, v1
	s_xor_b32 s8, exec_lo, s8
	s_cbranch_execz .LBB25_3866
; %bb.3855:
	s_mov_b32 s9, 0
	s_mov_b32 s10, s1
	s_mov_b32 s0, exec_lo
	v_cmpx_lt_i16_e32 45, v1
	s_xor_b32 s0, exec_lo, s0
	s_cbranch_execz .LBB25_3859
; %bb.3856:
	s_mov_b32 s11, -1
	s_mov_b32 s10, exec_lo
	v_cmpx_eq_u16_e32 46, v1
	s_cbranch_execz .LBB25_3858
; %bb.3857:
	v_bfe_u32 v1, v198, 16, 1
	v_cmp_o_f32_e32 vcc_lo, v198, v198
	s_mov_b32 s9, exec_lo
	s_xor_b32 s11, exec_lo, -1
	s_delay_alu instid0(VALU_DEP_2) | instskip(NEXT) | instid1(VALU_DEP_1)
	v_add3_u32 v1, v198, v1, 0x7fff
	v_lshrrev_b32_e32 v1, 16, v1
	s_delay_alu instid0(VALU_DEP_1)
	v_cndmask_b32_e32 v1, 0x7fc0, v1, vcc_lo
	flat_store_b32 v[2:3], v1
.LBB25_3858:
	s_wait_xcnt 0x0
	s_or_b32 exec_lo, exec_lo, s10
	s_delay_alu instid0(SALU_CYCLE_1)
	s_and_not1_b32 s10, s1, exec_lo
	s_and_b32 s11, s11, exec_lo
	s_and_b32 s9, s9, exec_lo
	s_or_b32 s10, s10, s11
                                        ; implicit-def: $vgpr1
                                        ; implicit-def: $vgpr2_vgpr3
                                        ; implicit-def: $vgpr198
.LBB25_3859:
	s_and_not1_saveexec_b32 s11, s0
	s_cbranch_execz .LBB25_3865
; %bb.3860:
	s_mov_b32 s13, -1
	s_mov_b32 s0, s9
	s_mov_b32 s12, exec_lo
	v_cmpx_eq_u16_e32 44, v1
	s_cbranch_execz .LBB25_3864
; %bb.3861:
	v_bfe_u32 v4, v198, 23, 8
	v_mov_b32_e32 v1, 0xff
	s_mov_b32 s13, exec_lo
	s_delay_alu instid0(VALU_DEP_2)
	v_cmpx_ne_u32_e32 0xff, v4
	s_cbranch_execz .LBB25_3863
; %bb.3862:
	v_and_b32_e32 v1, 0x400000, v198
	v_and_or_b32 v4, 0x3fffff, v198, v4
	s_delay_alu instid0(VALU_DEP_2) | instskip(NEXT) | instid1(VALU_DEP_2)
	v_cmp_ne_u32_e32 vcc_lo, 0, v1
	v_cmp_ne_u32_e64 s0, 0, v4
	v_lshrrev_b32_e32 v1, 23, v198
	s_and_b32 s0, vcc_lo, s0
	s_delay_alu instid0(SALU_CYCLE_1) | instskip(NEXT) | instid1(VALU_DEP_1)
	v_cndmask_b32_e64 v4, 0, 1, s0
	v_add_nc_u32_e32 v1, v1, v4
.LBB25_3863:
	s_or_b32 exec_lo, exec_lo, s13
	s_delay_alu instid0(SALU_CYCLE_1)
	s_xor_b32 s13, exec_lo, -1
	s_or_b32 s0, s9, exec_lo
	flat_store_b8 v[2:3], v1
.LBB25_3864:
	s_wait_xcnt 0x0
	s_or_b32 exec_lo, exec_lo, s12
	s_delay_alu instid0(SALU_CYCLE_1)
	s_and_not1_b32 s10, s10, exec_lo
	s_and_b32 s12, s13, exec_lo
	s_and_not1_b32 s9, s9, exec_lo
	s_and_b32 s0, s0, exec_lo
	s_or_b32 s10, s10, s12
	s_or_b32 s9, s9, s0
.LBB25_3865:
	s_or_b32 exec_lo, exec_lo, s11
	s_delay_alu instid0(SALU_CYCLE_1) | instskip(SKIP_1) | instid1(SALU_CYCLE_1)
	s_and_not1_b32 s0, s1, exec_lo
	s_and_b32 s10, s10, exec_lo
                                        ; implicit-def: $vgpr1
                                        ; implicit-def: $vgpr198
                                        ; implicit-def: $vgpr2_vgpr3
	s_or_b32 s10, s0, s10
	s_and_b32 s0, s9, exec_lo
.LBB25_3866:
	s_and_not1_saveexec_b32 s8, s8
	s_cbranch_execz .LBB25_3870
; %bb.3867:
	s_mov_b32 s12, -1
	s_mov_b32 s11, s0
	s_mov_b32 s9, exec_lo
	v_cmpx_eq_u16_e32 29, v1
	s_cbranch_execz .LBB25_3869
; %bb.3868:
	v_trunc_f32_e32 v1, v198
	s_xor_b32 s12, exec_lo, -1
	s_or_b32 s11, s0, exec_lo
	s_delay_alu instid0(VALU_DEP_1) | instskip(NEXT) | instid1(VALU_DEP_1)
	v_mul_f32_e32 v4, 0x2f800000, v1
	v_floor_f32_e32 v4, v4
	s_delay_alu instid0(VALU_DEP_1) | instskip(SKIP_1) | instid1(VALU_DEP_2)
	v_fmamk_f32 v1, v4, 0xcf800000, v1
	v_cvt_u32_f32_e32 v5, v4
	v_cvt_u32_f32_e32 v4, v1
	flat_store_b64 v[2:3], v[4:5]
.LBB25_3869:
	s_wait_xcnt 0x0
	s_or_b32 exec_lo, exec_lo, s9
	s_delay_alu instid0(SALU_CYCLE_1)
	s_and_not1_b32 s9, s10, exec_lo
	s_and_b32 s10, s12, exec_lo
	s_and_not1_b32 s0, s0, exec_lo
	s_and_b32 s11, s11, exec_lo
	s_or_b32 s10, s9, s10
	s_or_b32 s0, s0, s11
.LBB25_3870:
	s_or_b32 exec_lo, exec_lo, s8
	s_delay_alu instid0(SALU_CYCLE_1)
	s_and_not1_b32 s8, s1, exec_lo
	s_and_b32 s9, s10, exec_lo
	s_and_b32 s0, s0, exec_lo
	s_or_b32 s8, s8, s9
                                        ; implicit-def: $vgpr2_vgpr3
                                        ; implicit-def: $vgpr1
                                        ; implicit-def: $vgpr198
.LBB25_3871:
	s_and_not1_saveexec_b32 s6, s6
	s_cbranch_execz .LBB25_3887
; %bb.3872:
	s_mov_b32 s9, exec_lo
	v_cmpx_lt_i16_e32 26, v1
	s_xor_b32 s9, exec_lo, s9
	s_cbranch_execz .LBB25_3878
; %bb.3873:
	v_cmp_lt_i16_e32 vcc_lo, 27, v1
	v_cvt_u32_f32_e32 v1, v198
	s_and_saveexec_b32 s10, vcc_lo
	s_delay_alu instid0(SALU_CYCLE_1)
	s_xor_b32 s10, exec_lo, s10
	s_cbranch_execz .LBB25_3875
; %bb.3874:
	flat_store_b32 v[2:3], v1
                                        ; implicit-def: $vgpr2_vgpr3
                                        ; implicit-def: $vgpr1
.LBB25_3875:
	s_wait_xcnt 0x0
	s_and_not1_saveexec_b32 s10, s10
	s_cbranch_execz .LBB25_3877
; %bb.3876:
	flat_store_b16 v[2:3], v1
.LBB25_3877:
	s_wait_xcnt 0x0
	s_or_b32 exec_lo, exec_lo, s10
                                        ; implicit-def: $vgpr2_vgpr3
                                        ; implicit-def: $vgpr198
.LBB25_3878:
	s_and_not1_saveexec_b32 s9, s9
	s_cbranch_execz .LBB25_3886
; %bb.3879:
	v_and_b32_e32 v1, 0x7fffffff, v198
	v_mov_b32_e32 v4, 0x80
	s_mov_b32 s10, exec_lo
	s_delay_alu instid0(VALU_DEP_2)
	v_cmpx_gt_u32_e32 0x43800000, v1
	s_cbranch_execz .LBB25_3885
; %bb.3880:
	v_cmp_lt_u32_e32 vcc_lo, 0x3bffffff, v1
	s_mov_b32 s11, 0
                                        ; implicit-def: $vgpr1
	s_and_saveexec_b32 s12, vcc_lo
	s_delay_alu instid0(SALU_CYCLE_1)
	s_xor_b32 s12, exec_lo, s12
	s_cbranch_execnz .LBB25_7883
; %bb.3881:
	s_and_not1_saveexec_b32 s12, s12
	s_cbranch_execnz .LBB25_7884
.LBB25_3882:
	s_or_b32 exec_lo, exec_lo, s12
	v_mov_b32_e32 v4, 0
	s_and_saveexec_b32 s12, s11
.LBB25_3883:
	v_lshrrev_b32_e32 v4, 24, v198
	s_delay_alu instid0(VALU_DEP_1)
	v_and_or_b32 v4, 0x80, v4, v1
.LBB25_3884:
	s_or_b32 exec_lo, exec_lo, s12
.LBB25_3885:
	s_delay_alu instid0(SALU_CYCLE_1)
	s_or_b32 exec_lo, exec_lo, s10
	flat_store_b8 v[2:3], v4
.LBB25_3886:
	s_wait_xcnt 0x0
	s_or_b32 exec_lo, exec_lo, s9
	s_delay_alu instid0(SALU_CYCLE_1)
	s_or_b32 s0, s0, exec_lo
.LBB25_3887:
	s_or_b32 exec_lo, exec_lo, s6
	s_delay_alu instid0(SALU_CYCLE_1)
	s_and_not1_b32 s6, s1, exec_lo
	s_and_b32 s8, s8, exec_lo
	s_and_b32 s0, s0, exec_lo
	s_or_b32 s6, s6, s8
                                        ; implicit-def: $vgpr1
                                        ; implicit-def: $vgpr198
                                        ; implicit-def: $vgpr2_vgpr3
.LBB25_3888:
	s_and_not1_saveexec_b32 s7, s7
	s_cbranch_execz .LBB25_3932
; %bb.3889:
	s_mov_b32 s9, s0
	s_mov_b32 s8, exec_lo
	v_cmpx_lt_i16_e32 22, v1
	s_xor_b32 s8, exec_lo, s8
	s_cbranch_execz .LBB25_3921
; %bb.3890:
	s_mov_b32 s9, exec_lo
	v_cmpx_lt_i16_e32 23, v1
	s_xor_b32 s9, exec_lo, s9
	s_cbranch_execz .LBB25_3910
; %bb.3891:
	;; [unrolled: 5-line block ×3, first 2 shown]
	v_and_b32_e32 v1, 0x7fffffff, v198
	v_mov_b32_e32 v4, 0x80
	s_mov_b32 s11, exec_lo
	s_delay_alu instid0(VALU_DEP_2)
	v_cmpx_gt_u32_e32 0x47800000, v1
	s_cbranch_execz .LBB25_3898
; %bb.3893:
	v_cmp_lt_u32_e32 vcc_lo, 0x37ffffff, v1
	s_mov_b32 s12, 0
                                        ; implicit-def: $vgpr1
	s_and_saveexec_b32 s13, vcc_lo
	s_delay_alu instid0(SALU_CYCLE_1)
	s_xor_b32 s13, exec_lo, s13
	s_cbranch_execnz .LBB25_7885
; %bb.3894:
	s_and_not1_saveexec_b32 s13, s13
	s_cbranch_execnz .LBB25_7886
.LBB25_3895:
	s_or_b32 exec_lo, exec_lo, s13
	v_mov_b32_e32 v4, 0
	s_and_saveexec_b32 s13, s12
.LBB25_3896:
	v_lshrrev_b32_e32 v4, 24, v198
	s_delay_alu instid0(VALU_DEP_1)
	v_and_or_b32 v4, 0x80, v4, v1
.LBB25_3897:
	s_or_b32 exec_lo, exec_lo, s13
.LBB25_3898:
	s_delay_alu instid0(SALU_CYCLE_1)
	s_or_b32 exec_lo, exec_lo, s11
	flat_store_b8 v[2:3], v4
                                        ; implicit-def: $vgpr198
                                        ; implicit-def: $vgpr2_vgpr3
.LBB25_3899:
	s_wait_xcnt 0x0
	s_and_not1_saveexec_b32 s10, s10
	s_cbranch_execz .LBB25_3909
; %bb.3900:
	v_and_b32_e32 v4, 0x7fffffff, v198
	s_mov_b32 s11, exec_lo
                                        ; implicit-def: $vgpr1
	s_delay_alu instid0(VALU_DEP_1)
	v_cmpx_gt_u32_e32 0x43f00000, v4
	s_xor_b32 s11, exec_lo, s11
	s_cbranch_execz .LBB25_3906
; %bb.3901:
	s_mov_b32 s12, exec_lo
                                        ; implicit-def: $vgpr1
	v_cmpx_lt_u32_e32 0x3c7fffff, v4
	s_xor_b32 s12, exec_lo, s12
; %bb.3902:
	v_bfe_u32 v1, v198, 20, 1
	s_delay_alu instid0(VALU_DEP_1) | instskip(NEXT) | instid1(VALU_DEP_1)
	v_add3_u32 v1, v198, v1, 0x407ffff
	v_and_b32_e32 v4, 0xff00000, v1
	v_lshrrev_b32_e32 v1, 20, v1
	s_delay_alu instid0(VALU_DEP_2) | instskip(NEXT) | instid1(VALU_DEP_2)
	v_cmp_ne_u32_e32 vcc_lo, 0x7f00000, v4
	v_cndmask_b32_e32 v1, 0x7e, v1, vcc_lo
; %bb.3903:
	s_and_not1_saveexec_b32 s12, s12
; %bb.3904:
	v_add_f32_e64 v1, 0x46800000, |v198|
; %bb.3905:
	s_or_b32 exec_lo, exec_lo, s12
                                        ; implicit-def: $vgpr4
.LBB25_3906:
	s_and_not1_saveexec_b32 s11, s11
; %bb.3907:
	v_mov_b32_e32 v1, 0x7f
	v_cmp_lt_u32_e32 vcc_lo, 0x7f800000, v4
	s_delay_alu instid0(VALU_DEP_2)
	v_cndmask_b32_e32 v1, 0x7e, v1, vcc_lo
; %bb.3908:
	s_or_b32 exec_lo, exec_lo, s11
	v_lshrrev_b32_e32 v4, 24, v198
	s_delay_alu instid0(VALU_DEP_1)
	v_and_or_b32 v1, 0x80, v4, v1
	flat_store_b8 v[2:3], v1
.LBB25_3909:
	s_wait_xcnt 0x0
	s_or_b32 exec_lo, exec_lo, s10
                                        ; implicit-def: $vgpr198
                                        ; implicit-def: $vgpr2_vgpr3
.LBB25_3910:
	s_and_not1_saveexec_b32 s9, s9
	s_cbranch_execz .LBB25_3920
; %bb.3911:
	v_and_b32_e32 v4, 0x7fffffff, v198
	s_mov_b32 s10, exec_lo
                                        ; implicit-def: $vgpr1
	s_delay_alu instid0(VALU_DEP_1)
	v_cmpx_gt_u32_e32 0x47800000, v4
	s_xor_b32 s10, exec_lo, s10
	s_cbranch_execz .LBB25_3917
; %bb.3912:
	s_mov_b32 s11, exec_lo
                                        ; implicit-def: $vgpr1
	v_cmpx_lt_u32_e32 0x387fffff, v4
	s_xor_b32 s11, exec_lo, s11
; %bb.3913:
	v_bfe_u32 v1, v198, 21, 1
	s_delay_alu instid0(VALU_DEP_1) | instskip(NEXT) | instid1(VALU_DEP_1)
	v_add3_u32 v1, v198, v1, 0x80fffff
	v_lshrrev_b32_e32 v1, 21, v1
; %bb.3914:
	s_and_not1_saveexec_b32 s11, s11
; %bb.3915:
	v_add_f32_e64 v1, 0x43000000, |v198|
; %bb.3916:
	s_or_b32 exec_lo, exec_lo, s11
                                        ; implicit-def: $vgpr4
.LBB25_3917:
	s_and_not1_saveexec_b32 s10, s10
; %bb.3918:
	v_mov_b32_e32 v1, 0x7f
	v_cmp_lt_u32_e32 vcc_lo, 0x7f800000, v4
	s_delay_alu instid0(VALU_DEP_2)
	v_cndmask_b32_e32 v1, 0x7c, v1, vcc_lo
; %bb.3919:
	s_or_b32 exec_lo, exec_lo, s10
	v_lshrrev_b32_e32 v4, 24, v198
	s_delay_alu instid0(VALU_DEP_1)
	v_and_or_b32 v1, 0x80, v4, v1
	flat_store_b8 v[2:3], v1
.LBB25_3920:
	s_wait_xcnt 0x0
	s_or_b32 exec_lo, exec_lo, s9
	s_delay_alu instid0(SALU_CYCLE_1)
	s_or_b32 s9, s0, exec_lo
                                        ; implicit-def: $vgpr1
                                        ; implicit-def: $vgpr198
                                        ; implicit-def: $vgpr2_vgpr3
.LBB25_3921:
	s_or_saveexec_b32 s8, s8
	s_mov_b32 s10, s6
	s_xor_b32 exec_lo, exec_lo, s8
	s_cbranch_execz .LBB25_3931
; %bb.3922:
	s_mov_b32 s10, s9
	s_mov_b32 s11, s6
	s_mov_b32 s12, exec_lo
	v_cmpx_lt_i16_e32 14, v1
	s_xor_b32 s12, exec_lo, s12
	s_cbranch_execz .LBB25_3926
; %bb.3923:
	s_mov_b32 s13, -1
	s_mov_b32 s10, s9
	s_mov_b32 s11, exec_lo
	v_cmpx_eq_u16_e32 15, v1
	s_cbranch_execz .LBB25_3925
; %bb.3924:
	v_bfe_u32 v1, v198, 16, 1
	v_cmp_o_f32_e32 vcc_lo, v198, v198
	s_xor_b32 s13, exec_lo, -1
	s_or_b32 s10, s9, exec_lo
	s_delay_alu instid0(VALU_DEP_2) | instskip(NEXT) | instid1(VALU_DEP_1)
	v_add3_u32 v1, v198, v1, 0x7fff
	v_lshrrev_b32_e32 v1, 16, v1
	s_delay_alu instid0(VALU_DEP_1)
	v_cndmask_b32_e32 v1, 0x7fc0, v1, vcc_lo
	flat_store_b16 v[2:3], v1
.LBB25_3925:
	s_wait_xcnt 0x0
	s_or_b32 exec_lo, exec_lo, s11
	s_delay_alu instid0(SALU_CYCLE_1)
	s_and_not1_b32 s11, s6, exec_lo
	s_and_b32 s13, s13, exec_lo
	s_and_not1_b32 s14, s9, exec_lo
	s_and_b32 s10, s10, exec_lo
	s_or_b32 s11, s11, s13
	s_or_b32 s10, s14, s10
                                        ; implicit-def: $vgpr1
                                        ; implicit-def: $vgpr198
                                        ; implicit-def: $vgpr2_vgpr3
.LBB25_3926:
	s_and_not1_saveexec_b32 s12, s12
	s_cbranch_execz .LBB25_3930
; %bb.3927:
	s_mov_b32 s14, -1
	s_mov_b32 s13, s10
	s_mov_b32 s15, exec_lo
	v_cmpx_eq_u16_e32 11, v1
	s_cbranch_execz .LBB25_3929
; %bb.3928:
	v_cmp_neq_f32_e32 vcc_lo, 0, v198
	s_xor_b32 s14, exec_lo, -1
	s_or_b32 s13, s10, exec_lo
	v_cndmask_b32_e64 v1, 0, 1, vcc_lo
	flat_store_b8 v[2:3], v1
.LBB25_3929:
	s_wait_xcnt 0x0
	s_or_b32 exec_lo, exec_lo, s15
	s_delay_alu instid0(SALU_CYCLE_1)
	s_and_not1_b32 s11, s11, exec_lo
	s_and_b32 s14, s14, exec_lo
	s_and_not1_b32 s10, s10, exec_lo
	s_and_b32 s13, s13, exec_lo
	s_or_b32 s11, s11, s14
	s_or_b32 s10, s10, s13
.LBB25_3930:
	s_or_b32 exec_lo, exec_lo, s12
	s_delay_alu instid0(SALU_CYCLE_1)
	s_and_not1_b32 s12, s6, exec_lo
	s_and_b32 s11, s11, exec_lo
	s_and_not1_b32 s9, s9, exec_lo
	s_and_b32 s13, s10, exec_lo
	s_or_b32 s10, s12, s11
	s_or_b32 s9, s9, s13
.LBB25_3931:
	s_or_b32 exec_lo, exec_lo, s8
	s_delay_alu instid0(SALU_CYCLE_1)
	s_and_not1_b32 s6, s6, exec_lo
	s_and_b32 s8, s10, exec_lo
	s_and_not1_b32 s0, s0, exec_lo
	s_and_b32 s9, s9, exec_lo
	s_or_b32 s6, s6, s8
	s_or_b32 s0, s0, s9
.LBB25_3932:
	s_or_b32 exec_lo, exec_lo, s7
	s_delay_alu instid0(SALU_CYCLE_1)
	s_and_not1_b32 s7, s1, exec_lo
	s_and_b32 s6, s6, exec_lo
	s_and_b32 s0, s0, exec_lo
	s_or_b32 s6, s7, s6
                                        ; implicit-def: $vgpr1
                                        ; implicit-def: $vgpr198
                                        ; implicit-def: $vgpr2_vgpr3
.LBB25_3933:
	s_and_not1_saveexec_b32 s3, s3
	s_cbranch_execz .LBB25_3975
; %bb.3934:
	s_mov_b32 s7, exec_lo
	v_cmpx_lt_i16_e32 4, v1
	s_xor_b32 s7, exec_lo, s7
	s_cbranch_execz .LBB25_3956
; %bb.3935:
	s_mov_b32 s8, exec_lo
	v_cmpx_lt_i16_e32 7, v1
	s_xor_b32 s8, exec_lo, s8
	;; [unrolled: 5-line block ×4, first 2 shown]
	s_cbranch_execz .LBB25_3939
; %bb.3938:
	v_cvt_f64_f32_e32 v[4:5], v198
	v_mov_b32_e32 v6, 0
                                        ; implicit-def: $vgpr198
	s_delay_alu instid0(VALU_DEP_1)
	v_mov_b32_e32 v7, v6
	flat_store_b128 v[2:3], v[4:7]
                                        ; implicit-def: $vgpr2_vgpr3
.LBB25_3939:
	s_wait_xcnt 0x0
	s_and_not1_saveexec_b32 s10, s10
	s_cbranch_execz .LBB25_3941
; %bb.3940:
	v_mov_b32_e32 v199, 0
	flat_store_b64 v[2:3], v[198:199]
.LBB25_3941:
	s_wait_xcnt 0x0
	s_or_b32 exec_lo, exec_lo, s10
                                        ; implicit-def: $vgpr198
                                        ; implicit-def: $vgpr2_vgpr3
.LBB25_3942:
	s_and_not1_saveexec_b32 s9, s9
	s_cbranch_execz .LBB25_3944
; %bb.3943:
	v_cvt_f16_f32_e64 v1, v198
	s_delay_alu instid0(VALU_DEP_1)
	v_and_b32_e32 v1, 0xffff, v1
	flat_store_b32 v[2:3], v1
.LBB25_3944:
	s_wait_xcnt 0x0
	s_or_b32 exec_lo, exec_lo, s9
                                        ; implicit-def: $vgpr198
                                        ; implicit-def: $vgpr2_vgpr3
                                        ; implicit-def: $vgpr1
.LBB25_3945:
	s_and_not1_saveexec_b32 s8, s8
	s_cbranch_execz .LBB25_3955
; %bb.3946:
	s_mov_b32 s9, exec_lo
	v_cmpx_lt_i16_e32 5, v1
	s_xor_b32 s9, exec_lo, s9
	s_cbranch_execz .LBB25_3952
; %bb.3947:
	s_mov_b32 s10, exec_lo
	v_cmpx_lt_i16_e32 6, v1
	s_xor_b32 s10, exec_lo, s10
	s_cbranch_execz .LBB25_3949
; %bb.3948:
	v_cvt_f64_f32_e32 v[4:5], v198
                                        ; implicit-def: $vgpr198
	flat_store_b64 v[2:3], v[4:5]
                                        ; implicit-def: $vgpr2_vgpr3
.LBB25_3949:
	s_wait_xcnt 0x0
	s_and_not1_saveexec_b32 s10, s10
	s_cbranch_execz .LBB25_3951
; %bb.3950:
	flat_store_b32 v[2:3], v198
.LBB25_3951:
	s_wait_xcnt 0x0
	s_or_b32 exec_lo, exec_lo, s10
                                        ; implicit-def: $vgpr198
                                        ; implicit-def: $vgpr2_vgpr3
.LBB25_3952:
	s_and_not1_saveexec_b32 s9, s9
	s_cbranch_execz .LBB25_3954
; %bb.3953:
	v_cvt_f16_f32_e64 v1, v198
	flat_store_b16 v[2:3], v1
.LBB25_3954:
	s_wait_xcnt 0x0
	s_or_b32 exec_lo, exec_lo, s9
.LBB25_3955:
	s_delay_alu instid0(SALU_CYCLE_1)
	s_or_b32 exec_lo, exec_lo, s8
                                        ; implicit-def: $vgpr1
                                        ; implicit-def: $vgpr198
                                        ; implicit-def: $vgpr2_vgpr3
.LBB25_3956:
	s_and_not1_saveexec_b32 s7, s7
	s_cbranch_execz .LBB25_3974
; %bb.3957:
	s_mov_b32 s8, exec_lo
	v_cmpx_lt_i16_e32 1, v1
	s_xor_b32 s8, exec_lo, s8
	s_cbranch_execz .LBB25_3967
; %bb.3958:
	s_mov_b32 s9, exec_lo
	v_cmpx_lt_i16_e32 2, v1
	s_xor_b32 s9, exec_lo, s9
	;; [unrolled: 5-line block ×3, first 2 shown]
	s_cbranch_execz .LBB25_3961
; %bb.3960:
	v_trunc_f32_e32 v1, v198
                                        ; implicit-def: $vgpr198
	s_delay_alu instid0(VALU_DEP_1) | instskip(NEXT) | instid1(VALU_DEP_1)
	v_mul_f32_e64 v4, 0x2f800000, |v1|
	v_floor_f32_e32 v5, v4
	v_ashrrev_i32_e32 v4, 31, v1
	s_delay_alu instid0(VALU_DEP_2) | instskip(SKIP_1) | instid1(VALU_DEP_3)
	v_fma_f32 v6, 0xcf800000, v5, |v1|
	v_cvt_u32_f32_e32 v1, v5
	v_mov_b32_e32 v5, v4
	s_delay_alu instid0(VALU_DEP_3) | instskip(NEXT) | instid1(VALU_DEP_3)
	v_cvt_u32_f32_e32 v6, v6
	v_xor_b32_e32 v7, v1, v4
	s_delay_alu instid0(VALU_DEP_2) | instskip(NEXT) | instid1(VALU_DEP_1)
	v_xor_b32_e32 v6, v6, v4
	v_sub_nc_u64_e32 v[4:5], v[6:7], v[4:5]
	flat_store_b64 v[2:3], v[4:5]
                                        ; implicit-def: $vgpr2_vgpr3
.LBB25_3961:
	s_wait_xcnt 0x0
	s_and_not1_saveexec_b32 s10, s10
	s_cbranch_execz .LBB25_3963
; %bb.3962:
	v_cvt_i32_f32_e32 v1, v198
	flat_store_b32 v[2:3], v1
.LBB25_3963:
	s_wait_xcnt 0x0
	s_or_b32 exec_lo, exec_lo, s10
                                        ; implicit-def: $vgpr198
                                        ; implicit-def: $vgpr2_vgpr3
.LBB25_3964:
	s_and_not1_saveexec_b32 s9, s9
	s_cbranch_execz .LBB25_3966
; %bb.3965:
	v_cvt_i32_f32_e32 v1, v198
	flat_store_b16 v[2:3], v1
.LBB25_3966:
	s_wait_xcnt 0x0
	s_or_b32 exec_lo, exec_lo, s9
                                        ; implicit-def: $vgpr198
                                        ; implicit-def: $vgpr2_vgpr3
                                        ; implicit-def: $vgpr1
.LBB25_3967:
	s_and_not1_saveexec_b32 s8, s8
	s_cbranch_execz .LBB25_3973
; %bb.3968:
	s_mov_b32 s9, exec_lo
	v_cmpx_lt_i16_e32 0, v1
	s_xor_b32 s9, exec_lo, s9
	s_cbranch_execz .LBB25_3970
; %bb.3969:
	v_cvt_i32_f32_e32 v1, v198
                                        ; implicit-def: $vgpr198
	flat_store_b8 v[2:3], v1
                                        ; implicit-def: $vgpr2_vgpr3
.LBB25_3970:
	s_wait_xcnt 0x0
	s_and_not1_saveexec_b32 s9, s9
	s_cbranch_execz .LBB25_3972
; %bb.3971:
	v_trunc_f32_e32 v1, v198
	s_delay_alu instid0(VALU_DEP_1) | instskip(NEXT) | instid1(VALU_DEP_1)
	v_mul_f32_e64 v4, 0x2f800000, |v1|
	v_floor_f32_e32 v4, v4
	s_delay_alu instid0(VALU_DEP_1) | instskip(SKIP_1) | instid1(VALU_DEP_2)
	v_fma_f32 v4, 0xcf800000, v4, |v1|
	v_ashrrev_i32_e32 v1, 31, v1
	v_cvt_u32_f32_e32 v4, v4
	s_delay_alu instid0(VALU_DEP_1) | instskip(NEXT) | instid1(VALU_DEP_1)
	v_xor_b32_e32 v4, v4, v1
	v_sub_nc_u32_e32 v1, v4, v1
	flat_store_b8 v[2:3], v1
.LBB25_3972:
	s_wait_xcnt 0x0
	s_or_b32 exec_lo, exec_lo, s9
.LBB25_3973:
	s_delay_alu instid0(SALU_CYCLE_1)
	s_or_b32 exec_lo, exec_lo, s8
.LBB25_3974:
	s_delay_alu instid0(SALU_CYCLE_1) | instskip(NEXT) | instid1(SALU_CYCLE_1)
	s_or_b32 exec_lo, exec_lo, s7
	s_or_b32 s0, s0, exec_lo
.LBB25_3975:
	s_or_b32 exec_lo, exec_lo, s3
	s_mov_b32 s7, 0
	s_mov_b32 s3, 0
	s_and_saveexec_b32 s8, s0
; %bb.3976:
	v_add_nc_u32_e32 v209, 0x200, v209
	s_mov_b32 s7, exec_lo
	s_delay_alu instid0(VALU_DEP_1)
	v_cmp_lt_i32_e32 vcc_lo, v209, v211
	s_and_b32 s3, vcc_lo, exec_lo
; %bb.3977:
	s_or_b32 exec_lo, exec_lo, s8
	s_delay_alu instid0(SALU_CYCLE_1)
	s_and_not1_b32 s8, s1, exec_lo
	s_and_b32 s6, s6, exec_lo
	s_and_b32 s0, s3, exec_lo
	s_or_b32 s3, s8, s6
	s_or_not1_b32 s7, s7, exec_lo
.LBB25_3978:
	s_or_b32 exec_lo, exec_lo, s4
	s_mov_b32 s6, 0
	s_mov_b32 s8, 0
                                        ; implicit-def: $vgpr4
                                        ; implicit-def: $vgpr2_vgpr3
	s_and_saveexec_b32 s4, s7
	s_cbranch_execz .LBB25_7830
; %bb.3979:
	s_mov_b32 s9, -1
	s_mov_b32 s7, 0
	s_mov_b32 s5, s3
	;; [unrolled: 1-line block ×3, first 2 shown]
	s_and_saveexec_b32 s6, s0
	s_cbranch_execz .LBB25_4107
; %bb.3980:
	v_dual_add_nc_u32 v1, s60, v209 :: v_dual_mov_b32 v3, 0
	s_mov_b32 s0, 0
	s_mov_b32 s8, s3
	s_mov_b32 s5, exec_lo
	s_delay_alu instid0(VALU_DEP_1) | instskip(SKIP_1) | instid1(VALU_DEP_2)
	v_mul_lo_u32 v2, v1, v210
	v_and_b32_e32 v1, 0xff, v85
	v_add_nc_u64_e32 v[2:3], v[212:213], v[2:3]
	s_delay_alu instid0(VALU_DEP_2)
	v_cmpx_lt_i16_e32 10, v1
	s_xor_b32 s5, exec_lo, s5
	s_cbranch_execz .LBB25_4062
; %bb.3981:
	s_mov_b32 s8, s3
	s_mov_b32 s9, exec_lo
	v_cmpx_lt_i16_e32 25, v1
	s_xor_b32 s9, exec_lo, s9
	s_cbranch_execz .LBB25_4017
; %bb.3982:
	s_mov_b32 s10, s3
	s_mov_b32 s8, exec_lo
	;; [unrolled: 6-line block ×3, first 2 shown]
	v_cmpx_lt_i16_e32 43, v1
	s_xor_b32 s10, exec_lo, s10
	s_cbranch_execz .LBB25_3995
; %bb.3984:
	s_mov_b32 s11, 0
	s_mov_b32 s12, s3
	s_mov_b32 s0, exec_lo
	v_cmpx_lt_i16_e32 45, v1
	s_xor_b32 s0, exec_lo, s0
	s_cbranch_execz .LBB25_3988
; %bb.3985:
	s_mov_b32 s13, -1
	s_mov_b32 s12, exec_lo
	v_cmpx_eq_u16_e32 46, v1
	s_cbranch_execz .LBB25_3987
; %bb.3986:
	v_bfe_u32 v1, v196, 16, 1
	v_cmp_o_f32_e32 vcc_lo, v196, v196
	s_mov_b32 s11, exec_lo
	s_xor_b32 s13, exec_lo, -1
	s_delay_alu instid0(VALU_DEP_2) | instskip(NEXT) | instid1(VALU_DEP_1)
	v_add3_u32 v1, v196, v1, 0x7fff
	v_lshrrev_b32_e32 v1, 16, v1
	s_delay_alu instid0(VALU_DEP_1)
	v_cndmask_b32_e32 v1, 0x7fc0, v1, vcc_lo
	flat_store_b32 v[2:3], v1
.LBB25_3987:
	s_wait_xcnt 0x0
	s_or_b32 exec_lo, exec_lo, s12
	s_delay_alu instid0(SALU_CYCLE_1)
	s_and_not1_b32 s12, s3, exec_lo
	s_and_b32 s13, s13, exec_lo
	s_and_b32 s11, s11, exec_lo
	s_or_b32 s12, s12, s13
                                        ; implicit-def: $vgpr1
                                        ; implicit-def: $vgpr2_vgpr3
                                        ; implicit-def: $vgpr196
.LBB25_3988:
	s_and_not1_saveexec_b32 s13, s0
	s_cbranch_execz .LBB25_3994
; %bb.3989:
	s_mov_b32 s15, -1
	s_mov_b32 s0, s11
	s_mov_b32 s14, exec_lo
	v_cmpx_eq_u16_e32 44, v1
	s_cbranch_execz .LBB25_3993
; %bb.3990:
	v_bfe_u32 v4, v196, 23, 8
	v_mov_b32_e32 v1, 0xff
	s_mov_b32 s15, exec_lo
	s_delay_alu instid0(VALU_DEP_2)
	v_cmpx_ne_u32_e32 0xff, v4
	s_cbranch_execz .LBB25_3992
; %bb.3991:
	v_and_b32_e32 v1, 0x400000, v196
	v_and_or_b32 v4, 0x3fffff, v196, v4
	s_delay_alu instid0(VALU_DEP_2) | instskip(NEXT) | instid1(VALU_DEP_2)
	v_cmp_ne_u32_e32 vcc_lo, 0, v1
	v_cmp_ne_u32_e64 s0, 0, v4
	v_lshrrev_b32_e32 v1, 23, v196
	s_and_b32 s0, vcc_lo, s0
	s_delay_alu instid0(SALU_CYCLE_1) | instskip(NEXT) | instid1(VALU_DEP_1)
	v_cndmask_b32_e64 v4, 0, 1, s0
	v_add_nc_u32_e32 v1, v1, v4
.LBB25_3992:
	s_or_b32 exec_lo, exec_lo, s15
	s_delay_alu instid0(SALU_CYCLE_1)
	s_xor_b32 s15, exec_lo, -1
	s_or_b32 s0, s11, exec_lo
	flat_store_b8 v[2:3], v1
.LBB25_3993:
	s_wait_xcnt 0x0
	s_or_b32 exec_lo, exec_lo, s14
	s_delay_alu instid0(SALU_CYCLE_1)
	s_and_not1_b32 s12, s12, exec_lo
	s_and_b32 s14, s15, exec_lo
	s_and_not1_b32 s11, s11, exec_lo
	s_and_b32 s0, s0, exec_lo
	s_or_b32 s12, s12, s14
	s_or_b32 s11, s11, s0
.LBB25_3994:
	s_or_b32 exec_lo, exec_lo, s13
	s_delay_alu instid0(SALU_CYCLE_1) | instskip(SKIP_1) | instid1(SALU_CYCLE_1)
	s_and_not1_b32 s0, s3, exec_lo
	s_and_b32 s12, s12, exec_lo
                                        ; implicit-def: $vgpr1
                                        ; implicit-def: $vgpr196
                                        ; implicit-def: $vgpr2_vgpr3
	s_or_b32 s12, s0, s12
	s_and_b32 s0, s11, exec_lo
.LBB25_3995:
	s_and_not1_saveexec_b32 s10, s10
	s_cbranch_execz .LBB25_3999
; %bb.3996:
	s_mov_b32 s14, -1
	s_mov_b32 s13, s0
	s_mov_b32 s11, exec_lo
	v_cmpx_eq_u16_e32 29, v1
	s_cbranch_execz .LBB25_3998
; %bb.3997:
	v_trunc_f32_e32 v1, v196
	s_xor_b32 s14, exec_lo, -1
	s_or_b32 s13, s0, exec_lo
	s_delay_alu instid0(VALU_DEP_1) | instskip(NEXT) | instid1(VALU_DEP_1)
	v_mul_f32_e32 v4, 0x2f800000, v1
	v_floor_f32_e32 v4, v4
	s_delay_alu instid0(VALU_DEP_1) | instskip(SKIP_1) | instid1(VALU_DEP_2)
	v_fmamk_f32 v1, v4, 0xcf800000, v1
	v_cvt_u32_f32_e32 v5, v4
	v_cvt_u32_f32_e32 v4, v1
	flat_store_b64 v[2:3], v[4:5]
.LBB25_3998:
	s_wait_xcnt 0x0
	s_or_b32 exec_lo, exec_lo, s11
	s_delay_alu instid0(SALU_CYCLE_1)
	s_and_not1_b32 s11, s12, exec_lo
	s_and_b32 s12, s14, exec_lo
	s_and_not1_b32 s0, s0, exec_lo
	s_and_b32 s13, s13, exec_lo
	s_or_b32 s12, s11, s12
	s_or_b32 s0, s0, s13
.LBB25_3999:
	s_or_b32 exec_lo, exec_lo, s10
	s_delay_alu instid0(SALU_CYCLE_1)
	s_and_not1_b32 s10, s3, exec_lo
	s_and_b32 s11, s12, exec_lo
	s_and_b32 s0, s0, exec_lo
	s_or_b32 s10, s10, s11
                                        ; implicit-def: $vgpr2_vgpr3
                                        ; implicit-def: $vgpr1
                                        ; implicit-def: $vgpr196
.LBB25_4000:
	s_and_not1_saveexec_b32 s8, s8
	s_cbranch_execz .LBB25_4016
; %bb.4001:
	s_mov_b32 s11, exec_lo
	v_cmpx_lt_i16_e32 26, v1
	s_xor_b32 s11, exec_lo, s11
	s_cbranch_execz .LBB25_4007
; %bb.4002:
	v_cmp_lt_i16_e32 vcc_lo, 27, v1
	v_cvt_u32_f32_e32 v1, v196
	s_and_saveexec_b32 s12, vcc_lo
	s_delay_alu instid0(SALU_CYCLE_1)
	s_xor_b32 s12, exec_lo, s12
	s_cbranch_execz .LBB25_4004
; %bb.4003:
	flat_store_b32 v[2:3], v1
                                        ; implicit-def: $vgpr2_vgpr3
                                        ; implicit-def: $vgpr1
.LBB25_4004:
	s_wait_xcnt 0x0
	s_and_not1_saveexec_b32 s12, s12
	s_cbranch_execz .LBB25_4006
; %bb.4005:
	flat_store_b16 v[2:3], v1
.LBB25_4006:
	s_wait_xcnt 0x0
	s_or_b32 exec_lo, exec_lo, s12
                                        ; implicit-def: $vgpr2_vgpr3
                                        ; implicit-def: $vgpr196
.LBB25_4007:
	s_and_not1_saveexec_b32 s11, s11
	s_cbranch_execz .LBB25_4015
; %bb.4008:
	v_and_b32_e32 v1, 0x7fffffff, v196
	v_mov_b32_e32 v4, 0x80
	s_mov_b32 s12, exec_lo
	s_delay_alu instid0(VALU_DEP_2)
	v_cmpx_gt_u32_e32 0x43800000, v1
	s_cbranch_execz .LBB25_4014
; %bb.4009:
	v_cmp_lt_u32_e32 vcc_lo, 0x3bffffff, v1
	s_mov_b32 s13, 0
                                        ; implicit-def: $vgpr1
	s_and_saveexec_b32 s14, vcc_lo
	s_delay_alu instid0(SALU_CYCLE_1)
	s_xor_b32 s14, exec_lo, s14
	s_cbranch_execnz .LBB25_7887
; %bb.4010:
	s_and_not1_saveexec_b32 s14, s14
	s_cbranch_execnz .LBB25_7888
.LBB25_4011:
	s_or_b32 exec_lo, exec_lo, s14
	v_mov_b32_e32 v4, 0
	s_and_saveexec_b32 s14, s13
.LBB25_4012:
	v_lshrrev_b32_e32 v4, 24, v196
	s_delay_alu instid0(VALU_DEP_1)
	v_and_or_b32 v4, 0x80, v4, v1
.LBB25_4013:
	s_or_b32 exec_lo, exec_lo, s14
.LBB25_4014:
	s_delay_alu instid0(SALU_CYCLE_1)
	s_or_b32 exec_lo, exec_lo, s12
	flat_store_b8 v[2:3], v4
.LBB25_4015:
	s_wait_xcnt 0x0
	s_or_b32 exec_lo, exec_lo, s11
	s_delay_alu instid0(SALU_CYCLE_1)
	s_or_b32 s0, s0, exec_lo
.LBB25_4016:
	s_or_b32 exec_lo, exec_lo, s8
	s_delay_alu instid0(SALU_CYCLE_1)
	s_and_not1_b32 s8, s3, exec_lo
	s_and_b32 s10, s10, exec_lo
	s_and_b32 s0, s0, exec_lo
	s_or_b32 s8, s8, s10
                                        ; implicit-def: $vgpr1
                                        ; implicit-def: $vgpr196
                                        ; implicit-def: $vgpr2_vgpr3
.LBB25_4017:
	s_and_not1_saveexec_b32 s9, s9
	s_cbranch_execz .LBB25_4061
; %bb.4018:
	s_mov_b32 s11, s0
	s_mov_b32 s10, exec_lo
	v_cmpx_lt_i16_e32 22, v1
	s_xor_b32 s10, exec_lo, s10
	s_cbranch_execz .LBB25_4050
; %bb.4019:
	s_mov_b32 s11, exec_lo
	v_cmpx_lt_i16_e32 23, v1
	s_xor_b32 s11, exec_lo, s11
	s_cbranch_execz .LBB25_4039
; %bb.4020:
	;; [unrolled: 5-line block ×3, first 2 shown]
	v_and_b32_e32 v1, 0x7fffffff, v196
	v_mov_b32_e32 v4, 0x80
	s_mov_b32 s13, exec_lo
	s_delay_alu instid0(VALU_DEP_2)
	v_cmpx_gt_u32_e32 0x47800000, v1
	s_cbranch_execz .LBB25_4027
; %bb.4022:
	v_cmp_lt_u32_e32 vcc_lo, 0x37ffffff, v1
	s_mov_b32 s14, 0
                                        ; implicit-def: $vgpr1
	s_and_saveexec_b32 s15, vcc_lo
	s_delay_alu instid0(SALU_CYCLE_1)
	s_xor_b32 s15, exec_lo, s15
	s_cbranch_execnz .LBB25_7889
; %bb.4023:
	s_and_not1_saveexec_b32 s15, s15
	s_cbranch_execnz .LBB25_7890
.LBB25_4024:
	s_or_b32 exec_lo, exec_lo, s15
	v_mov_b32_e32 v4, 0
	s_and_saveexec_b32 s15, s14
.LBB25_4025:
	v_lshrrev_b32_e32 v4, 24, v196
	s_delay_alu instid0(VALU_DEP_1)
	v_and_or_b32 v4, 0x80, v4, v1
.LBB25_4026:
	s_or_b32 exec_lo, exec_lo, s15
.LBB25_4027:
	s_delay_alu instid0(SALU_CYCLE_1)
	s_or_b32 exec_lo, exec_lo, s13
	flat_store_b8 v[2:3], v4
                                        ; implicit-def: $vgpr196
                                        ; implicit-def: $vgpr2_vgpr3
.LBB25_4028:
	s_wait_xcnt 0x0
	s_and_not1_saveexec_b32 s12, s12
	s_cbranch_execz .LBB25_4038
; %bb.4029:
	v_and_b32_e32 v4, 0x7fffffff, v196
	s_mov_b32 s13, exec_lo
                                        ; implicit-def: $vgpr1
	s_delay_alu instid0(VALU_DEP_1)
	v_cmpx_gt_u32_e32 0x43f00000, v4
	s_xor_b32 s13, exec_lo, s13
	s_cbranch_execz .LBB25_4035
; %bb.4030:
	s_mov_b32 s14, exec_lo
                                        ; implicit-def: $vgpr1
	v_cmpx_lt_u32_e32 0x3c7fffff, v4
	s_xor_b32 s14, exec_lo, s14
; %bb.4031:
	v_bfe_u32 v1, v196, 20, 1
	s_delay_alu instid0(VALU_DEP_1) | instskip(NEXT) | instid1(VALU_DEP_1)
	v_add3_u32 v1, v196, v1, 0x407ffff
	v_and_b32_e32 v4, 0xff00000, v1
	v_lshrrev_b32_e32 v1, 20, v1
	s_delay_alu instid0(VALU_DEP_2) | instskip(NEXT) | instid1(VALU_DEP_2)
	v_cmp_ne_u32_e32 vcc_lo, 0x7f00000, v4
	v_cndmask_b32_e32 v1, 0x7e, v1, vcc_lo
; %bb.4032:
	s_and_not1_saveexec_b32 s14, s14
; %bb.4033:
	v_add_f32_e64 v1, 0x46800000, |v196|
; %bb.4034:
	s_or_b32 exec_lo, exec_lo, s14
                                        ; implicit-def: $vgpr4
.LBB25_4035:
	s_and_not1_saveexec_b32 s13, s13
; %bb.4036:
	v_mov_b32_e32 v1, 0x7f
	v_cmp_lt_u32_e32 vcc_lo, 0x7f800000, v4
	s_delay_alu instid0(VALU_DEP_2)
	v_cndmask_b32_e32 v1, 0x7e, v1, vcc_lo
; %bb.4037:
	s_or_b32 exec_lo, exec_lo, s13
	v_lshrrev_b32_e32 v4, 24, v196
	s_delay_alu instid0(VALU_DEP_1)
	v_and_or_b32 v1, 0x80, v4, v1
	flat_store_b8 v[2:3], v1
.LBB25_4038:
	s_wait_xcnt 0x0
	s_or_b32 exec_lo, exec_lo, s12
                                        ; implicit-def: $vgpr196
                                        ; implicit-def: $vgpr2_vgpr3
.LBB25_4039:
	s_and_not1_saveexec_b32 s11, s11
	s_cbranch_execz .LBB25_4049
; %bb.4040:
	v_and_b32_e32 v4, 0x7fffffff, v196
	s_mov_b32 s12, exec_lo
                                        ; implicit-def: $vgpr1
	s_delay_alu instid0(VALU_DEP_1)
	v_cmpx_gt_u32_e32 0x47800000, v4
	s_xor_b32 s12, exec_lo, s12
	s_cbranch_execz .LBB25_4046
; %bb.4041:
	s_mov_b32 s13, exec_lo
                                        ; implicit-def: $vgpr1
	v_cmpx_lt_u32_e32 0x387fffff, v4
	s_xor_b32 s13, exec_lo, s13
; %bb.4042:
	v_bfe_u32 v1, v196, 21, 1
	s_delay_alu instid0(VALU_DEP_1) | instskip(NEXT) | instid1(VALU_DEP_1)
	v_add3_u32 v1, v196, v1, 0x80fffff
	v_lshrrev_b32_e32 v1, 21, v1
; %bb.4043:
	s_and_not1_saveexec_b32 s13, s13
; %bb.4044:
	v_add_f32_e64 v1, 0x43000000, |v196|
; %bb.4045:
	s_or_b32 exec_lo, exec_lo, s13
                                        ; implicit-def: $vgpr4
.LBB25_4046:
	s_and_not1_saveexec_b32 s12, s12
; %bb.4047:
	v_mov_b32_e32 v1, 0x7f
	v_cmp_lt_u32_e32 vcc_lo, 0x7f800000, v4
	s_delay_alu instid0(VALU_DEP_2)
	v_cndmask_b32_e32 v1, 0x7c, v1, vcc_lo
; %bb.4048:
	s_or_b32 exec_lo, exec_lo, s12
	v_lshrrev_b32_e32 v4, 24, v196
	s_delay_alu instid0(VALU_DEP_1)
	v_and_or_b32 v1, 0x80, v4, v1
	flat_store_b8 v[2:3], v1
.LBB25_4049:
	s_wait_xcnt 0x0
	s_or_b32 exec_lo, exec_lo, s11
	s_delay_alu instid0(SALU_CYCLE_1)
	s_or_b32 s11, s0, exec_lo
                                        ; implicit-def: $vgpr1
                                        ; implicit-def: $vgpr196
                                        ; implicit-def: $vgpr2_vgpr3
.LBB25_4050:
	s_or_saveexec_b32 s10, s10
	s_mov_b32 s12, s8
	s_xor_b32 exec_lo, exec_lo, s10
	s_cbranch_execz .LBB25_4060
; %bb.4051:
	s_mov_b32 s12, s11
	s_mov_b32 s13, s8
	s_mov_b32 s14, exec_lo
	v_cmpx_lt_i16_e32 14, v1
	s_xor_b32 s14, exec_lo, s14
	s_cbranch_execz .LBB25_4055
; %bb.4052:
	s_mov_b32 s15, -1
	s_mov_b32 s12, s11
	s_mov_b32 s13, exec_lo
	v_cmpx_eq_u16_e32 15, v1
	s_cbranch_execz .LBB25_4054
; %bb.4053:
	v_bfe_u32 v1, v196, 16, 1
	v_cmp_o_f32_e32 vcc_lo, v196, v196
	s_xor_b32 s15, exec_lo, -1
	s_or_b32 s12, s11, exec_lo
	s_delay_alu instid0(VALU_DEP_2) | instskip(NEXT) | instid1(VALU_DEP_1)
	v_add3_u32 v1, v196, v1, 0x7fff
	v_lshrrev_b32_e32 v1, 16, v1
	s_delay_alu instid0(VALU_DEP_1)
	v_cndmask_b32_e32 v1, 0x7fc0, v1, vcc_lo
	flat_store_b16 v[2:3], v1
.LBB25_4054:
	s_wait_xcnt 0x0
	s_or_b32 exec_lo, exec_lo, s13
	s_delay_alu instid0(SALU_CYCLE_1)
	s_and_not1_b32 s13, s8, exec_lo
	s_and_b32 s15, s15, exec_lo
	s_and_not1_b32 s16, s11, exec_lo
	s_and_b32 s12, s12, exec_lo
	s_or_b32 s13, s13, s15
	s_or_b32 s12, s16, s12
                                        ; implicit-def: $vgpr1
                                        ; implicit-def: $vgpr196
                                        ; implicit-def: $vgpr2_vgpr3
.LBB25_4055:
	s_and_not1_saveexec_b32 s14, s14
	s_cbranch_execz .LBB25_4059
; %bb.4056:
	s_mov_b32 s16, -1
	s_mov_b32 s15, s12
	s_mov_b32 s17, exec_lo
	v_cmpx_eq_u16_e32 11, v1
	s_cbranch_execz .LBB25_4058
; %bb.4057:
	v_cmp_neq_f32_e32 vcc_lo, 0, v196
	s_xor_b32 s16, exec_lo, -1
	s_or_b32 s15, s12, exec_lo
	v_cndmask_b32_e64 v1, 0, 1, vcc_lo
	flat_store_b8 v[2:3], v1
.LBB25_4058:
	s_wait_xcnt 0x0
	s_or_b32 exec_lo, exec_lo, s17
	s_delay_alu instid0(SALU_CYCLE_1)
	s_and_not1_b32 s13, s13, exec_lo
	s_and_b32 s16, s16, exec_lo
	s_and_not1_b32 s12, s12, exec_lo
	s_and_b32 s15, s15, exec_lo
	s_or_b32 s13, s13, s16
	s_or_b32 s12, s12, s15
.LBB25_4059:
	s_or_b32 exec_lo, exec_lo, s14
	s_delay_alu instid0(SALU_CYCLE_1)
	s_and_not1_b32 s14, s8, exec_lo
	s_and_b32 s13, s13, exec_lo
	s_and_not1_b32 s11, s11, exec_lo
	s_and_b32 s15, s12, exec_lo
	s_or_b32 s12, s14, s13
	s_or_b32 s11, s11, s15
.LBB25_4060:
	s_or_b32 exec_lo, exec_lo, s10
	s_delay_alu instid0(SALU_CYCLE_1)
	s_and_not1_b32 s8, s8, exec_lo
	s_and_b32 s10, s12, exec_lo
	s_and_not1_b32 s0, s0, exec_lo
	s_and_b32 s11, s11, exec_lo
	s_or_b32 s8, s8, s10
	s_or_b32 s0, s0, s11
.LBB25_4061:
	s_or_b32 exec_lo, exec_lo, s9
	s_delay_alu instid0(SALU_CYCLE_1)
	s_and_not1_b32 s9, s3, exec_lo
	s_and_b32 s8, s8, exec_lo
	s_and_b32 s0, s0, exec_lo
	s_or_b32 s8, s9, s8
                                        ; implicit-def: $vgpr1
                                        ; implicit-def: $vgpr196
                                        ; implicit-def: $vgpr2_vgpr3
.LBB25_4062:
	s_and_not1_saveexec_b32 s5, s5
	s_cbranch_execz .LBB25_4104
; %bb.4063:
	s_mov_b32 s9, exec_lo
	v_cmpx_lt_i16_e32 4, v1
	s_xor_b32 s9, exec_lo, s9
	s_cbranch_execz .LBB25_4085
; %bb.4064:
	s_mov_b32 s10, exec_lo
	v_cmpx_lt_i16_e32 7, v1
	s_xor_b32 s10, exec_lo, s10
	s_cbranch_execz .LBB25_4074
; %bb.4065:
	s_mov_b32 s11, exec_lo
	v_cmpx_lt_i16_e32 8, v1
	s_xor_b32 s11, exec_lo, s11
	s_cbranch_execz .LBB25_4071
; %bb.4066:
	s_mov_b32 s12, exec_lo
	v_cmpx_lt_i16_e32 9, v1
	s_xor_b32 s12, exec_lo, s12
	s_cbranch_execz .LBB25_4068
; %bb.4067:
	v_cvt_f64_f32_e32 v[4:5], v196
	v_mov_b32_e32 v6, 0
                                        ; implicit-def: $vgpr196
	s_delay_alu instid0(VALU_DEP_1)
	v_mov_b32_e32 v7, v6
	flat_store_b128 v[2:3], v[4:7]
                                        ; implicit-def: $vgpr2_vgpr3
.LBB25_4068:
	s_wait_xcnt 0x0
	s_and_not1_saveexec_b32 s12, s12
	s_cbranch_execz .LBB25_4070
; %bb.4069:
	v_mov_b32_e32 v197, 0
	flat_store_b64 v[2:3], v[196:197]
.LBB25_4070:
	s_wait_xcnt 0x0
	s_or_b32 exec_lo, exec_lo, s12
                                        ; implicit-def: $vgpr196
                                        ; implicit-def: $vgpr2_vgpr3
.LBB25_4071:
	s_and_not1_saveexec_b32 s11, s11
	s_cbranch_execz .LBB25_4073
; %bb.4072:
	v_cvt_f16_f32_e64 v1, v196
	s_delay_alu instid0(VALU_DEP_1)
	v_and_b32_e32 v1, 0xffff, v1
	flat_store_b32 v[2:3], v1
.LBB25_4073:
	s_wait_xcnt 0x0
	s_or_b32 exec_lo, exec_lo, s11
                                        ; implicit-def: $vgpr196
                                        ; implicit-def: $vgpr2_vgpr3
                                        ; implicit-def: $vgpr1
.LBB25_4074:
	s_and_not1_saveexec_b32 s10, s10
	s_cbranch_execz .LBB25_4084
; %bb.4075:
	s_mov_b32 s11, exec_lo
	v_cmpx_lt_i16_e32 5, v1
	s_xor_b32 s11, exec_lo, s11
	s_cbranch_execz .LBB25_4081
; %bb.4076:
	s_mov_b32 s12, exec_lo
	v_cmpx_lt_i16_e32 6, v1
	s_xor_b32 s12, exec_lo, s12
	s_cbranch_execz .LBB25_4078
; %bb.4077:
	v_cvt_f64_f32_e32 v[4:5], v196
                                        ; implicit-def: $vgpr196
	flat_store_b64 v[2:3], v[4:5]
                                        ; implicit-def: $vgpr2_vgpr3
.LBB25_4078:
	s_wait_xcnt 0x0
	s_and_not1_saveexec_b32 s12, s12
	s_cbranch_execz .LBB25_4080
; %bb.4079:
	flat_store_b32 v[2:3], v196
.LBB25_4080:
	s_wait_xcnt 0x0
	s_or_b32 exec_lo, exec_lo, s12
                                        ; implicit-def: $vgpr196
                                        ; implicit-def: $vgpr2_vgpr3
.LBB25_4081:
	s_and_not1_saveexec_b32 s11, s11
	s_cbranch_execz .LBB25_4083
; %bb.4082:
	v_cvt_f16_f32_e64 v1, v196
	flat_store_b16 v[2:3], v1
.LBB25_4083:
	s_wait_xcnt 0x0
	s_or_b32 exec_lo, exec_lo, s11
.LBB25_4084:
	s_delay_alu instid0(SALU_CYCLE_1)
	s_or_b32 exec_lo, exec_lo, s10
                                        ; implicit-def: $vgpr1
                                        ; implicit-def: $vgpr196
                                        ; implicit-def: $vgpr2_vgpr3
.LBB25_4085:
	s_and_not1_saveexec_b32 s9, s9
	s_cbranch_execz .LBB25_4103
; %bb.4086:
	s_mov_b32 s10, exec_lo
	v_cmpx_lt_i16_e32 1, v1
	s_xor_b32 s10, exec_lo, s10
	s_cbranch_execz .LBB25_4096
; %bb.4087:
	s_mov_b32 s11, exec_lo
	v_cmpx_lt_i16_e32 2, v1
	s_xor_b32 s11, exec_lo, s11
	;; [unrolled: 5-line block ×3, first 2 shown]
	s_cbranch_execz .LBB25_4090
; %bb.4089:
	v_trunc_f32_e32 v1, v196
                                        ; implicit-def: $vgpr196
	s_delay_alu instid0(VALU_DEP_1) | instskip(NEXT) | instid1(VALU_DEP_1)
	v_mul_f32_e64 v4, 0x2f800000, |v1|
	v_floor_f32_e32 v5, v4
	v_ashrrev_i32_e32 v4, 31, v1
	s_delay_alu instid0(VALU_DEP_2) | instskip(SKIP_1) | instid1(VALU_DEP_3)
	v_fma_f32 v6, 0xcf800000, v5, |v1|
	v_cvt_u32_f32_e32 v1, v5
	v_mov_b32_e32 v5, v4
	s_delay_alu instid0(VALU_DEP_3) | instskip(NEXT) | instid1(VALU_DEP_3)
	v_cvt_u32_f32_e32 v6, v6
	v_xor_b32_e32 v7, v1, v4
	s_delay_alu instid0(VALU_DEP_2) | instskip(NEXT) | instid1(VALU_DEP_1)
	v_xor_b32_e32 v6, v6, v4
	v_sub_nc_u64_e32 v[4:5], v[6:7], v[4:5]
	flat_store_b64 v[2:3], v[4:5]
                                        ; implicit-def: $vgpr2_vgpr3
.LBB25_4090:
	s_wait_xcnt 0x0
	s_and_not1_saveexec_b32 s12, s12
	s_cbranch_execz .LBB25_4092
; %bb.4091:
	v_cvt_i32_f32_e32 v1, v196
	flat_store_b32 v[2:3], v1
.LBB25_4092:
	s_wait_xcnt 0x0
	s_or_b32 exec_lo, exec_lo, s12
                                        ; implicit-def: $vgpr196
                                        ; implicit-def: $vgpr2_vgpr3
.LBB25_4093:
	s_and_not1_saveexec_b32 s11, s11
	s_cbranch_execz .LBB25_4095
; %bb.4094:
	v_cvt_i32_f32_e32 v1, v196
	flat_store_b16 v[2:3], v1
.LBB25_4095:
	s_wait_xcnt 0x0
	s_or_b32 exec_lo, exec_lo, s11
                                        ; implicit-def: $vgpr196
                                        ; implicit-def: $vgpr2_vgpr3
                                        ; implicit-def: $vgpr1
.LBB25_4096:
	s_and_not1_saveexec_b32 s10, s10
	s_cbranch_execz .LBB25_4102
; %bb.4097:
	s_mov_b32 s11, exec_lo
	v_cmpx_lt_i16_e32 0, v1
	s_xor_b32 s11, exec_lo, s11
	s_cbranch_execz .LBB25_4099
; %bb.4098:
	v_cvt_i32_f32_e32 v1, v196
                                        ; implicit-def: $vgpr196
	flat_store_b8 v[2:3], v1
                                        ; implicit-def: $vgpr2_vgpr3
.LBB25_4099:
	s_wait_xcnt 0x0
	s_and_not1_saveexec_b32 s11, s11
	s_cbranch_execz .LBB25_4101
; %bb.4100:
	v_trunc_f32_e32 v1, v196
	s_delay_alu instid0(VALU_DEP_1) | instskip(NEXT) | instid1(VALU_DEP_1)
	v_mul_f32_e64 v4, 0x2f800000, |v1|
	v_floor_f32_e32 v4, v4
	s_delay_alu instid0(VALU_DEP_1) | instskip(SKIP_1) | instid1(VALU_DEP_2)
	v_fma_f32 v4, 0xcf800000, v4, |v1|
	v_ashrrev_i32_e32 v1, 31, v1
	v_cvt_u32_f32_e32 v4, v4
	s_delay_alu instid0(VALU_DEP_1) | instskip(NEXT) | instid1(VALU_DEP_1)
	v_xor_b32_e32 v4, v4, v1
	v_sub_nc_u32_e32 v1, v4, v1
	flat_store_b8 v[2:3], v1
.LBB25_4101:
	s_wait_xcnt 0x0
	s_or_b32 exec_lo, exec_lo, s11
.LBB25_4102:
	s_delay_alu instid0(SALU_CYCLE_1)
	s_or_b32 exec_lo, exec_lo, s10
.LBB25_4103:
	s_delay_alu instid0(SALU_CYCLE_1) | instskip(NEXT) | instid1(SALU_CYCLE_1)
	s_or_b32 exec_lo, exec_lo, s9
	s_or_b32 s0, s0, exec_lo
.LBB25_4104:
	s_or_b32 exec_lo, exec_lo, s5
	s_mov_b32 s9, 0
	s_mov_b32 s5, 0
	s_and_saveexec_b32 s10, s0
; %bb.4105:
	v_add_nc_u32_e32 v209, 0x200, v209
	s_mov_b32 s9, exec_lo
	s_delay_alu instid0(VALU_DEP_1)
	v_cmp_lt_i32_e32 vcc_lo, v209, v211
	s_and_b32 s5, vcc_lo, exec_lo
; %bb.4106:
	s_or_b32 exec_lo, exec_lo, s10
	s_delay_alu instid0(SALU_CYCLE_1)
	s_and_not1_b32 s0, s3, exec_lo
	s_and_b32 s8, s8, exec_lo
	s_and_b32 s10, s5, exec_lo
	s_or_b32 s5, s0, s8
	s_or_not1_b32 s9, s9, exec_lo
.LBB25_4107:
	s_or_b32 exec_lo, exec_lo, s6
	s_mov_b32 s0, 0
	s_mov_b32 s8, 0
                                        ; implicit-def: $vgpr4
                                        ; implicit-def: $vgpr2_vgpr3
	s_and_saveexec_b32 s6, s9
	s_cbranch_execz .LBB25_7829
; %bb.4108:
	s_mov_b32 s11, -1
	s_mov_b32 s9, 0
	s_mov_b32 s7, s5
	s_and_saveexec_b32 s8, s10
	s_cbranch_execz .LBB25_4236
; %bb.4109:
	v_dual_add_nc_u32 v1, s60, v209 :: v_dual_mov_b32 v3, 0
	s_mov_b32 s10, s5
	s_mov_b32 s7, exec_lo
	s_delay_alu instid0(VALU_DEP_1) | instskip(SKIP_1) | instid1(VALU_DEP_2)
	v_mul_lo_u32 v2, v1, v210
	v_and_b32_e32 v1, 0xff, v85
	v_add_nc_u64_e32 v[2:3], v[212:213], v[2:3]
	s_delay_alu instid0(VALU_DEP_2)
	v_cmpx_lt_i16_e32 10, v1
	s_xor_b32 s7, exec_lo, s7
	s_cbranch_execz .LBB25_4191
; %bb.4110:
	s_mov_b32 s10, s5
	s_mov_b32 s11, exec_lo
	v_cmpx_lt_i16_e32 25, v1
	s_xor_b32 s11, exec_lo, s11
	s_cbranch_execz .LBB25_4146
; %bb.4111:
	s_mov_b32 s12, s5
	s_mov_b32 s10, exec_lo
	v_cmpx_lt_i16_e32 28, v1
	s_xor_b32 s10, exec_lo, s10
	s_cbranch_execz .LBB25_4129
; %bb.4112:
	s_mov_b32 s14, s5
	s_mov_b32 s12, exec_lo
	v_cmpx_lt_i16_e32 43, v1
	s_xor_b32 s12, exec_lo, s12
	s_cbranch_execz .LBB25_4124
; %bb.4113:
	s_mov_b32 s13, 0
	s_mov_b32 s14, s5
	s_mov_b32 s0, exec_lo
	v_cmpx_lt_i16_e32 45, v1
	s_xor_b32 s0, exec_lo, s0
	s_cbranch_execz .LBB25_4117
; %bb.4114:
	s_mov_b32 s15, -1
	s_mov_b32 s14, exec_lo
	v_cmpx_eq_u16_e32 46, v1
	s_cbranch_execz .LBB25_4116
; %bb.4115:
	v_bfe_u32 v1, v194, 16, 1
	v_cmp_o_f32_e32 vcc_lo, v194, v194
	s_mov_b32 s13, exec_lo
	s_xor_b32 s15, exec_lo, -1
	s_delay_alu instid0(VALU_DEP_2) | instskip(NEXT) | instid1(VALU_DEP_1)
	v_add3_u32 v1, v194, v1, 0x7fff
	v_lshrrev_b32_e32 v1, 16, v1
	s_delay_alu instid0(VALU_DEP_1)
	v_cndmask_b32_e32 v1, 0x7fc0, v1, vcc_lo
	flat_store_b32 v[2:3], v1
.LBB25_4116:
	s_wait_xcnt 0x0
	s_or_b32 exec_lo, exec_lo, s14
	s_delay_alu instid0(SALU_CYCLE_1)
	s_and_not1_b32 s14, s5, exec_lo
	s_and_b32 s15, s15, exec_lo
	s_and_b32 s13, s13, exec_lo
	s_or_b32 s14, s14, s15
                                        ; implicit-def: $vgpr1
                                        ; implicit-def: $vgpr2_vgpr3
                                        ; implicit-def: $vgpr194
.LBB25_4117:
	s_and_not1_saveexec_b32 s15, s0
	s_cbranch_execz .LBB25_4123
; %bb.4118:
	s_mov_b32 s17, -1
	s_mov_b32 s0, s13
	s_mov_b32 s16, exec_lo
	v_cmpx_eq_u16_e32 44, v1
	s_cbranch_execz .LBB25_4122
; %bb.4119:
	v_bfe_u32 v4, v194, 23, 8
	v_mov_b32_e32 v1, 0xff
	s_mov_b32 s17, exec_lo
	s_delay_alu instid0(VALU_DEP_2)
	v_cmpx_ne_u32_e32 0xff, v4
	s_cbranch_execz .LBB25_4121
; %bb.4120:
	v_and_b32_e32 v1, 0x400000, v194
	v_and_or_b32 v4, 0x3fffff, v194, v4
	s_delay_alu instid0(VALU_DEP_2) | instskip(NEXT) | instid1(VALU_DEP_2)
	v_cmp_ne_u32_e32 vcc_lo, 0, v1
	v_cmp_ne_u32_e64 s0, 0, v4
	v_lshrrev_b32_e32 v1, 23, v194
	s_and_b32 s0, vcc_lo, s0
	s_delay_alu instid0(SALU_CYCLE_1) | instskip(NEXT) | instid1(VALU_DEP_1)
	v_cndmask_b32_e64 v4, 0, 1, s0
	v_add_nc_u32_e32 v1, v1, v4
.LBB25_4121:
	s_or_b32 exec_lo, exec_lo, s17
	s_delay_alu instid0(SALU_CYCLE_1)
	s_xor_b32 s17, exec_lo, -1
	s_or_b32 s0, s13, exec_lo
	flat_store_b8 v[2:3], v1
.LBB25_4122:
	s_wait_xcnt 0x0
	s_or_b32 exec_lo, exec_lo, s16
	s_delay_alu instid0(SALU_CYCLE_1)
	s_and_not1_b32 s14, s14, exec_lo
	s_and_b32 s16, s17, exec_lo
	s_and_not1_b32 s13, s13, exec_lo
	s_and_b32 s0, s0, exec_lo
	s_or_b32 s14, s14, s16
	s_or_b32 s13, s13, s0
.LBB25_4123:
	s_or_b32 exec_lo, exec_lo, s15
	s_delay_alu instid0(SALU_CYCLE_1) | instskip(SKIP_1) | instid1(SALU_CYCLE_1)
	s_and_not1_b32 s0, s5, exec_lo
	s_and_b32 s14, s14, exec_lo
                                        ; implicit-def: $vgpr1
                                        ; implicit-def: $vgpr194
                                        ; implicit-def: $vgpr2_vgpr3
	s_or_b32 s14, s0, s14
	s_and_b32 s0, s13, exec_lo
.LBB25_4124:
	s_and_not1_saveexec_b32 s12, s12
	s_cbranch_execz .LBB25_4128
; %bb.4125:
	s_mov_b32 s16, -1
	s_mov_b32 s15, s0
	s_mov_b32 s13, exec_lo
	v_cmpx_eq_u16_e32 29, v1
	s_cbranch_execz .LBB25_4127
; %bb.4126:
	v_trunc_f32_e32 v1, v194
	s_xor_b32 s16, exec_lo, -1
	s_or_b32 s15, s0, exec_lo
	s_delay_alu instid0(VALU_DEP_1) | instskip(NEXT) | instid1(VALU_DEP_1)
	v_mul_f32_e32 v4, 0x2f800000, v1
	v_floor_f32_e32 v4, v4
	s_delay_alu instid0(VALU_DEP_1) | instskip(SKIP_1) | instid1(VALU_DEP_2)
	v_fmamk_f32 v1, v4, 0xcf800000, v1
	v_cvt_u32_f32_e32 v5, v4
	v_cvt_u32_f32_e32 v4, v1
	flat_store_b64 v[2:3], v[4:5]
.LBB25_4127:
	s_wait_xcnt 0x0
	s_or_b32 exec_lo, exec_lo, s13
	s_delay_alu instid0(SALU_CYCLE_1)
	s_and_not1_b32 s13, s14, exec_lo
	s_and_b32 s14, s16, exec_lo
	s_and_not1_b32 s0, s0, exec_lo
	s_and_b32 s15, s15, exec_lo
	s_or_b32 s14, s13, s14
	s_or_b32 s0, s0, s15
.LBB25_4128:
	s_or_b32 exec_lo, exec_lo, s12
	s_delay_alu instid0(SALU_CYCLE_1)
	s_and_not1_b32 s12, s5, exec_lo
	s_and_b32 s13, s14, exec_lo
	s_and_b32 s0, s0, exec_lo
	s_or_b32 s12, s12, s13
                                        ; implicit-def: $vgpr2_vgpr3
                                        ; implicit-def: $vgpr1
                                        ; implicit-def: $vgpr194
.LBB25_4129:
	s_and_not1_saveexec_b32 s10, s10
	s_cbranch_execz .LBB25_4145
; %bb.4130:
	s_mov_b32 s13, exec_lo
	v_cmpx_lt_i16_e32 26, v1
	s_xor_b32 s13, exec_lo, s13
	s_cbranch_execz .LBB25_4136
; %bb.4131:
	v_cmp_lt_i16_e32 vcc_lo, 27, v1
	v_cvt_u32_f32_e32 v1, v194
	s_and_saveexec_b32 s14, vcc_lo
	s_delay_alu instid0(SALU_CYCLE_1)
	s_xor_b32 s14, exec_lo, s14
	s_cbranch_execz .LBB25_4133
; %bb.4132:
	flat_store_b32 v[2:3], v1
                                        ; implicit-def: $vgpr2_vgpr3
                                        ; implicit-def: $vgpr1
.LBB25_4133:
	s_wait_xcnt 0x0
	s_and_not1_saveexec_b32 s14, s14
	s_cbranch_execz .LBB25_4135
; %bb.4134:
	flat_store_b16 v[2:3], v1
.LBB25_4135:
	s_wait_xcnt 0x0
	s_or_b32 exec_lo, exec_lo, s14
                                        ; implicit-def: $vgpr2_vgpr3
                                        ; implicit-def: $vgpr194
.LBB25_4136:
	s_and_not1_saveexec_b32 s13, s13
	s_cbranch_execz .LBB25_4144
; %bb.4137:
	v_and_b32_e32 v1, 0x7fffffff, v194
	v_mov_b32_e32 v4, 0x80
	s_mov_b32 s14, exec_lo
	s_delay_alu instid0(VALU_DEP_2)
	v_cmpx_gt_u32_e32 0x43800000, v1
	s_cbranch_execz .LBB25_4143
; %bb.4138:
	v_cmp_lt_u32_e32 vcc_lo, 0x3bffffff, v1
	s_mov_b32 s15, 0
                                        ; implicit-def: $vgpr1
	s_and_saveexec_b32 s16, vcc_lo
	s_delay_alu instid0(SALU_CYCLE_1)
	s_xor_b32 s16, exec_lo, s16
	s_cbranch_execnz .LBB25_7891
; %bb.4139:
	s_and_not1_saveexec_b32 s16, s16
	s_cbranch_execnz .LBB25_7892
.LBB25_4140:
	s_or_b32 exec_lo, exec_lo, s16
	v_mov_b32_e32 v4, 0
	s_and_saveexec_b32 s16, s15
.LBB25_4141:
	v_lshrrev_b32_e32 v4, 24, v194
	s_delay_alu instid0(VALU_DEP_1)
	v_and_or_b32 v4, 0x80, v4, v1
.LBB25_4142:
	s_or_b32 exec_lo, exec_lo, s16
.LBB25_4143:
	s_delay_alu instid0(SALU_CYCLE_1)
	s_or_b32 exec_lo, exec_lo, s14
	flat_store_b8 v[2:3], v4
.LBB25_4144:
	s_wait_xcnt 0x0
	s_or_b32 exec_lo, exec_lo, s13
	s_delay_alu instid0(SALU_CYCLE_1)
	s_or_b32 s0, s0, exec_lo
.LBB25_4145:
	s_or_b32 exec_lo, exec_lo, s10
	s_delay_alu instid0(SALU_CYCLE_1)
	s_and_not1_b32 s10, s5, exec_lo
	s_and_b32 s12, s12, exec_lo
	s_and_b32 s0, s0, exec_lo
	s_or_b32 s10, s10, s12
                                        ; implicit-def: $vgpr1
                                        ; implicit-def: $vgpr194
                                        ; implicit-def: $vgpr2_vgpr3
.LBB25_4146:
	s_and_not1_saveexec_b32 s11, s11
	s_cbranch_execz .LBB25_4190
; %bb.4147:
	s_mov_b32 s13, s0
	s_mov_b32 s12, exec_lo
	v_cmpx_lt_i16_e32 22, v1
	s_xor_b32 s12, exec_lo, s12
	s_cbranch_execz .LBB25_4179
; %bb.4148:
	s_mov_b32 s13, exec_lo
	v_cmpx_lt_i16_e32 23, v1
	s_xor_b32 s13, exec_lo, s13
	s_cbranch_execz .LBB25_4168
; %bb.4149:
	;; [unrolled: 5-line block ×3, first 2 shown]
	v_and_b32_e32 v1, 0x7fffffff, v194
	v_mov_b32_e32 v4, 0x80
	s_mov_b32 s15, exec_lo
	s_delay_alu instid0(VALU_DEP_2)
	v_cmpx_gt_u32_e32 0x47800000, v1
	s_cbranch_execz .LBB25_4156
; %bb.4151:
	v_cmp_lt_u32_e32 vcc_lo, 0x37ffffff, v1
	s_mov_b32 s16, 0
                                        ; implicit-def: $vgpr1
	s_and_saveexec_b32 s17, vcc_lo
	s_delay_alu instid0(SALU_CYCLE_1)
	s_xor_b32 s17, exec_lo, s17
	s_cbranch_execnz .LBB25_7893
; %bb.4152:
	s_and_not1_saveexec_b32 s17, s17
	s_cbranch_execnz .LBB25_7894
.LBB25_4153:
	s_or_b32 exec_lo, exec_lo, s17
	v_mov_b32_e32 v4, 0
	s_and_saveexec_b32 s17, s16
.LBB25_4154:
	v_lshrrev_b32_e32 v4, 24, v194
	s_delay_alu instid0(VALU_DEP_1)
	v_and_or_b32 v4, 0x80, v4, v1
.LBB25_4155:
	s_or_b32 exec_lo, exec_lo, s17
.LBB25_4156:
	s_delay_alu instid0(SALU_CYCLE_1)
	s_or_b32 exec_lo, exec_lo, s15
	flat_store_b8 v[2:3], v4
                                        ; implicit-def: $vgpr194
                                        ; implicit-def: $vgpr2_vgpr3
.LBB25_4157:
	s_wait_xcnt 0x0
	s_and_not1_saveexec_b32 s14, s14
	s_cbranch_execz .LBB25_4167
; %bb.4158:
	v_and_b32_e32 v4, 0x7fffffff, v194
	s_mov_b32 s15, exec_lo
                                        ; implicit-def: $vgpr1
	s_delay_alu instid0(VALU_DEP_1)
	v_cmpx_gt_u32_e32 0x43f00000, v4
	s_xor_b32 s15, exec_lo, s15
	s_cbranch_execz .LBB25_4164
; %bb.4159:
	s_mov_b32 s16, exec_lo
                                        ; implicit-def: $vgpr1
	v_cmpx_lt_u32_e32 0x3c7fffff, v4
	s_xor_b32 s16, exec_lo, s16
; %bb.4160:
	v_bfe_u32 v1, v194, 20, 1
	s_delay_alu instid0(VALU_DEP_1) | instskip(NEXT) | instid1(VALU_DEP_1)
	v_add3_u32 v1, v194, v1, 0x407ffff
	v_and_b32_e32 v4, 0xff00000, v1
	v_lshrrev_b32_e32 v1, 20, v1
	s_delay_alu instid0(VALU_DEP_2) | instskip(NEXT) | instid1(VALU_DEP_2)
	v_cmp_ne_u32_e32 vcc_lo, 0x7f00000, v4
	v_cndmask_b32_e32 v1, 0x7e, v1, vcc_lo
; %bb.4161:
	s_and_not1_saveexec_b32 s16, s16
; %bb.4162:
	v_add_f32_e64 v1, 0x46800000, |v194|
; %bb.4163:
	s_or_b32 exec_lo, exec_lo, s16
                                        ; implicit-def: $vgpr4
.LBB25_4164:
	s_and_not1_saveexec_b32 s15, s15
; %bb.4165:
	v_mov_b32_e32 v1, 0x7f
	v_cmp_lt_u32_e32 vcc_lo, 0x7f800000, v4
	s_delay_alu instid0(VALU_DEP_2)
	v_cndmask_b32_e32 v1, 0x7e, v1, vcc_lo
; %bb.4166:
	s_or_b32 exec_lo, exec_lo, s15
	v_lshrrev_b32_e32 v4, 24, v194
	s_delay_alu instid0(VALU_DEP_1)
	v_and_or_b32 v1, 0x80, v4, v1
	flat_store_b8 v[2:3], v1
.LBB25_4167:
	s_wait_xcnt 0x0
	s_or_b32 exec_lo, exec_lo, s14
                                        ; implicit-def: $vgpr194
                                        ; implicit-def: $vgpr2_vgpr3
.LBB25_4168:
	s_and_not1_saveexec_b32 s13, s13
	s_cbranch_execz .LBB25_4178
; %bb.4169:
	v_and_b32_e32 v4, 0x7fffffff, v194
	s_mov_b32 s14, exec_lo
                                        ; implicit-def: $vgpr1
	s_delay_alu instid0(VALU_DEP_1)
	v_cmpx_gt_u32_e32 0x47800000, v4
	s_xor_b32 s14, exec_lo, s14
	s_cbranch_execz .LBB25_4175
; %bb.4170:
	s_mov_b32 s15, exec_lo
                                        ; implicit-def: $vgpr1
	v_cmpx_lt_u32_e32 0x387fffff, v4
	s_xor_b32 s15, exec_lo, s15
; %bb.4171:
	v_bfe_u32 v1, v194, 21, 1
	s_delay_alu instid0(VALU_DEP_1) | instskip(NEXT) | instid1(VALU_DEP_1)
	v_add3_u32 v1, v194, v1, 0x80fffff
	v_lshrrev_b32_e32 v1, 21, v1
; %bb.4172:
	s_and_not1_saveexec_b32 s15, s15
; %bb.4173:
	v_add_f32_e64 v1, 0x43000000, |v194|
; %bb.4174:
	s_or_b32 exec_lo, exec_lo, s15
                                        ; implicit-def: $vgpr4
.LBB25_4175:
	s_and_not1_saveexec_b32 s14, s14
; %bb.4176:
	v_mov_b32_e32 v1, 0x7f
	v_cmp_lt_u32_e32 vcc_lo, 0x7f800000, v4
	s_delay_alu instid0(VALU_DEP_2)
	v_cndmask_b32_e32 v1, 0x7c, v1, vcc_lo
; %bb.4177:
	s_or_b32 exec_lo, exec_lo, s14
	v_lshrrev_b32_e32 v4, 24, v194
	s_delay_alu instid0(VALU_DEP_1)
	v_and_or_b32 v1, 0x80, v4, v1
	flat_store_b8 v[2:3], v1
.LBB25_4178:
	s_wait_xcnt 0x0
	s_or_b32 exec_lo, exec_lo, s13
	s_delay_alu instid0(SALU_CYCLE_1)
	s_or_b32 s13, s0, exec_lo
                                        ; implicit-def: $vgpr1
                                        ; implicit-def: $vgpr194
                                        ; implicit-def: $vgpr2_vgpr3
.LBB25_4179:
	s_or_saveexec_b32 s12, s12
	s_mov_b32 s14, s10
	s_xor_b32 exec_lo, exec_lo, s12
	s_cbranch_execz .LBB25_4189
; %bb.4180:
	s_mov_b32 s14, s13
	s_mov_b32 s15, s10
	s_mov_b32 s16, exec_lo
	v_cmpx_lt_i16_e32 14, v1
	s_xor_b32 s16, exec_lo, s16
	s_cbranch_execz .LBB25_4184
; %bb.4181:
	s_mov_b32 s17, -1
	s_mov_b32 s14, s13
	s_mov_b32 s15, exec_lo
	v_cmpx_eq_u16_e32 15, v1
	s_cbranch_execz .LBB25_4183
; %bb.4182:
	v_bfe_u32 v1, v194, 16, 1
	v_cmp_o_f32_e32 vcc_lo, v194, v194
	s_xor_b32 s17, exec_lo, -1
	s_or_b32 s14, s13, exec_lo
	s_delay_alu instid0(VALU_DEP_2) | instskip(NEXT) | instid1(VALU_DEP_1)
	v_add3_u32 v1, v194, v1, 0x7fff
	v_lshrrev_b32_e32 v1, 16, v1
	s_delay_alu instid0(VALU_DEP_1)
	v_cndmask_b32_e32 v1, 0x7fc0, v1, vcc_lo
	flat_store_b16 v[2:3], v1
.LBB25_4183:
	s_wait_xcnt 0x0
	s_or_b32 exec_lo, exec_lo, s15
	s_delay_alu instid0(SALU_CYCLE_1)
	s_and_not1_b32 s15, s10, exec_lo
	s_and_b32 s17, s17, exec_lo
	s_and_not1_b32 s18, s13, exec_lo
	s_and_b32 s14, s14, exec_lo
	s_or_b32 s15, s15, s17
	s_or_b32 s14, s18, s14
                                        ; implicit-def: $vgpr1
                                        ; implicit-def: $vgpr194
                                        ; implicit-def: $vgpr2_vgpr3
.LBB25_4184:
	s_and_not1_saveexec_b32 s16, s16
	s_cbranch_execz .LBB25_4188
; %bb.4185:
	s_mov_b32 s18, -1
	s_mov_b32 s17, s14
	s_mov_b32 s19, exec_lo
	v_cmpx_eq_u16_e32 11, v1
	s_cbranch_execz .LBB25_4187
; %bb.4186:
	v_cmp_neq_f32_e32 vcc_lo, 0, v194
	s_xor_b32 s18, exec_lo, -1
	s_or_b32 s17, s14, exec_lo
	v_cndmask_b32_e64 v1, 0, 1, vcc_lo
	flat_store_b8 v[2:3], v1
.LBB25_4187:
	s_wait_xcnt 0x0
	s_or_b32 exec_lo, exec_lo, s19
	s_delay_alu instid0(SALU_CYCLE_1)
	s_and_not1_b32 s15, s15, exec_lo
	s_and_b32 s18, s18, exec_lo
	s_and_not1_b32 s14, s14, exec_lo
	s_and_b32 s17, s17, exec_lo
	s_or_b32 s15, s15, s18
	s_or_b32 s14, s14, s17
.LBB25_4188:
	s_or_b32 exec_lo, exec_lo, s16
	s_delay_alu instid0(SALU_CYCLE_1)
	s_and_not1_b32 s16, s10, exec_lo
	s_and_b32 s15, s15, exec_lo
	s_and_not1_b32 s13, s13, exec_lo
	s_and_b32 s17, s14, exec_lo
	s_or_b32 s14, s16, s15
	s_or_b32 s13, s13, s17
.LBB25_4189:
	s_or_b32 exec_lo, exec_lo, s12
	s_delay_alu instid0(SALU_CYCLE_1)
	s_and_not1_b32 s10, s10, exec_lo
	s_and_b32 s12, s14, exec_lo
	s_and_not1_b32 s0, s0, exec_lo
	s_and_b32 s13, s13, exec_lo
	s_or_b32 s10, s10, s12
	s_or_b32 s0, s0, s13
.LBB25_4190:
	s_or_b32 exec_lo, exec_lo, s11
	s_delay_alu instid0(SALU_CYCLE_1)
	s_and_not1_b32 s11, s5, exec_lo
	s_and_b32 s10, s10, exec_lo
	s_and_b32 s0, s0, exec_lo
	s_or_b32 s10, s11, s10
                                        ; implicit-def: $vgpr1
                                        ; implicit-def: $vgpr194
                                        ; implicit-def: $vgpr2_vgpr3
.LBB25_4191:
	s_and_not1_saveexec_b32 s7, s7
	s_cbranch_execz .LBB25_4233
; %bb.4192:
	s_mov_b32 s11, exec_lo
	v_cmpx_lt_i16_e32 4, v1
	s_xor_b32 s11, exec_lo, s11
	s_cbranch_execz .LBB25_4214
; %bb.4193:
	s_mov_b32 s12, exec_lo
	v_cmpx_lt_i16_e32 7, v1
	s_xor_b32 s12, exec_lo, s12
	;; [unrolled: 5-line block ×4, first 2 shown]
	s_cbranch_execz .LBB25_4197
; %bb.4196:
	v_cvt_f64_f32_e32 v[4:5], v194
	v_mov_b32_e32 v6, 0
                                        ; implicit-def: $vgpr194
	s_delay_alu instid0(VALU_DEP_1)
	v_mov_b32_e32 v7, v6
	flat_store_b128 v[2:3], v[4:7]
                                        ; implicit-def: $vgpr2_vgpr3
.LBB25_4197:
	s_wait_xcnt 0x0
	s_and_not1_saveexec_b32 s14, s14
	s_cbranch_execz .LBB25_4199
; %bb.4198:
	v_mov_b32_e32 v195, 0
	flat_store_b64 v[2:3], v[194:195]
.LBB25_4199:
	s_wait_xcnt 0x0
	s_or_b32 exec_lo, exec_lo, s14
                                        ; implicit-def: $vgpr194
                                        ; implicit-def: $vgpr2_vgpr3
.LBB25_4200:
	s_and_not1_saveexec_b32 s13, s13
	s_cbranch_execz .LBB25_4202
; %bb.4201:
	v_cvt_f16_f32_e64 v1, v194
	s_delay_alu instid0(VALU_DEP_1)
	v_and_b32_e32 v1, 0xffff, v1
	flat_store_b32 v[2:3], v1
.LBB25_4202:
	s_wait_xcnt 0x0
	s_or_b32 exec_lo, exec_lo, s13
                                        ; implicit-def: $vgpr194
                                        ; implicit-def: $vgpr2_vgpr3
                                        ; implicit-def: $vgpr1
.LBB25_4203:
	s_and_not1_saveexec_b32 s12, s12
	s_cbranch_execz .LBB25_4213
; %bb.4204:
	s_mov_b32 s13, exec_lo
	v_cmpx_lt_i16_e32 5, v1
	s_xor_b32 s13, exec_lo, s13
	s_cbranch_execz .LBB25_4210
; %bb.4205:
	s_mov_b32 s14, exec_lo
	v_cmpx_lt_i16_e32 6, v1
	s_xor_b32 s14, exec_lo, s14
	s_cbranch_execz .LBB25_4207
; %bb.4206:
	v_cvt_f64_f32_e32 v[4:5], v194
                                        ; implicit-def: $vgpr194
	flat_store_b64 v[2:3], v[4:5]
                                        ; implicit-def: $vgpr2_vgpr3
.LBB25_4207:
	s_wait_xcnt 0x0
	s_and_not1_saveexec_b32 s14, s14
	s_cbranch_execz .LBB25_4209
; %bb.4208:
	flat_store_b32 v[2:3], v194
.LBB25_4209:
	s_wait_xcnt 0x0
	s_or_b32 exec_lo, exec_lo, s14
                                        ; implicit-def: $vgpr194
                                        ; implicit-def: $vgpr2_vgpr3
.LBB25_4210:
	s_and_not1_saveexec_b32 s13, s13
	s_cbranch_execz .LBB25_4212
; %bb.4211:
	v_cvt_f16_f32_e64 v1, v194
	flat_store_b16 v[2:3], v1
.LBB25_4212:
	s_wait_xcnt 0x0
	s_or_b32 exec_lo, exec_lo, s13
.LBB25_4213:
	s_delay_alu instid0(SALU_CYCLE_1)
	s_or_b32 exec_lo, exec_lo, s12
                                        ; implicit-def: $vgpr1
                                        ; implicit-def: $vgpr194
                                        ; implicit-def: $vgpr2_vgpr3
.LBB25_4214:
	s_and_not1_saveexec_b32 s11, s11
	s_cbranch_execz .LBB25_4232
; %bb.4215:
	s_mov_b32 s12, exec_lo
	v_cmpx_lt_i16_e32 1, v1
	s_xor_b32 s12, exec_lo, s12
	s_cbranch_execz .LBB25_4225
; %bb.4216:
	s_mov_b32 s13, exec_lo
	v_cmpx_lt_i16_e32 2, v1
	s_xor_b32 s13, exec_lo, s13
	;; [unrolled: 5-line block ×3, first 2 shown]
	s_cbranch_execz .LBB25_4219
; %bb.4218:
	v_trunc_f32_e32 v1, v194
                                        ; implicit-def: $vgpr194
	s_delay_alu instid0(VALU_DEP_1) | instskip(NEXT) | instid1(VALU_DEP_1)
	v_mul_f32_e64 v4, 0x2f800000, |v1|
	v_floor_f32_e32 v5, v4
	v_ashrrev_i32_e32 v4, 31, v1
	s_delay_alu instid0(VALU_DEP_2) | instskip(SKIP_1) | instid1(VALU_DEP_3)
	v_fma_f32 v6, 0xcf800000, v5, |v1|
	v_cvt_u32_f32_e32 v1, v5
	v_mov_b32_e32 v5, v4
	s_delay_alu instid0(VALU_DEP_3) | instskip(NEXT) | instid1(VALU_DEP_3)
	v_cvt_u32_f32_e32 v6, v6
	v_xor_b32_e32 v7, v1, v4
	s_delay_alu instid0(VALU_DEP_2) | instskip(NEXT) | instid1(VALU_DEP_1)
	v_xor_b32_e32 v6, v6, v4
	v_sub_nc_u64_e32 v[4:5], v[6:7], v[4:5]
	flat_store_b64 v[2:3], v[4:5]
                                        ; implicit-def: $vgpr2_vgpr3
.LBB25_4219:
	s_wait_xcnt 0x0
	s_and_not1_saveexec_b32 s14, s14
	s_cbranch_execz .LBB25_4221
; %bb.4220:
	v_cvt_i32_f32_e32 v1, v194
	flat_store_b32 v[2:3], v1
.LBB25_4221:
	s_wait_xcnt 0x0
	s_or_b32 exec_lo, exec_lo, s14
                                        ; implicit-def: $vgpr194
                                        ; implicit-def: $vgpr2_vgpr3
.LBB25_4222:
	s_and_not1_saveexec_b32 s13, s13
	s_cbranch_execz .LBB25_4224
; %bb.4223:
	v_cvt_i32_f32_e32 v1, v194
	flat_store_b16 v[2:3], v1
.LBB25_4224:
	s_wait_xcnt 0x0
	s_or_b32 exec_lo, exec_lo, s13
                                        ; implicit-def: $vgpr194
                                        ; implicit-def: $vgpr2_vgpr3
                                        ; implicit-def: $vgpr1
.LBB25_4225:
	s_and_not1_saveexec_b32 s12, s12
	s_cbranch_execz .LBB25_4231
; %bb.4226:
	s_mov_b32 s13, exec_lo
	v_cmpx_lt_i16_e32 0, v1
	s_xor_b32 s13, exec_lo, s13
	s_cbranch_execz .LBB25_4228
; %bb.4227:
	v_cvt_i32_f32_e32 v1, v194
                                        ; implicit-def: $vgpr194
	flat_store_b8 v[2:3], v1
                                        ; implicit-def: $vgpr2_vgpr3
.LBB25_4228:
	s_wait_xcnt 0x0
	s_and_not1_saveexec_b32 s13, s13
	s_cbranch_execz .LBB25_4230
; %bb.4229:
	v_trunc_f32_e32 v1, v194
	s_delay_alu instid0(VALU_DEP_1) | instskip(NEXT) | instid1(VALU_DEP_1)
	v_mul_f32_e64 v4, 0x2f800000, |v1|
	v_floor_f32_e32 v4, v4
	s_delay_alu instid0(VALU_DEP_1) | instskip(SKIP_1) | instid1(VALU_DEP_2)
	v_fma_f32 v4, 0xcf800000, v4, |v1|
	v_ashrrev_i32_e32 v1, 31, v1
	v_cvt_u32_f32_e32 v4, v4
	s_delay_alu instid0(VALU_DEP_1) | instskip(NEXT) | instid1(VALU_DEP_1)
	v_xor_b32_e32 v4, v4, v1
	v_sub_nc_u32_e32 v1, v4, v1
	flat_store_b8 v[2:3], v1
.LBB25_4230:
	s_wait_xcnt 0x0
	s_or_b32 exec_lo, exec_lo, s13
.LBB25_4231:
	s_delay_alu instid0(SALU_CYCLE_1)
	s_or_b32 exec_lo, exec_lo, s12
.LBB25_4232:
	s_delay_alu instid0(SALU_CYCLE_1) | instskip(NEXT) | instid1(SALU_CYCLE_1)
	s_or_b32 exec_lo, exec_lo, s11
	s_or_b32 s0, s0, exec_lo
.LBB25_4233:
	s_or_b32 exec_lo, exec_lo, s7
	s_mov_b32 s11, 0
	s_mov_b32 s7, 0
	s_and_saveexec_b32 s12, s0
; %bb.4234:
	v_add_nc_u32_e32 v209, 0x200, v209
	s_mov_b32 s11, exec_lo
	s_delay_alu instid0(VALU_DEP_1)
	v_cmp_lt_i32_e32 vcc_lo, v209, v211
	s_and_b32 s7, vcc_lo, exec_lo
; %bb.4235:
	s_or_b32 exec_lo, exec_lo, s12
	s_delay_alu instid0(SALU_CYCLE_1)
	s_and_not1_b32 s12, s5, exec_lo
	s_and_b32 s10, s10, exec_lo
	s_and_b32 s0, s7, exec_lo
	s_or_b32 s7, s12, s10
	s_or_not1_b32 s11, s11, exec_lo
.LBB25_4236:
	s_or_b32 exec_lo, exec_lo, s8
	s_mov_b32 s10, 0
	s_mov_b32 s12, 0
                                        ; implicit-def: $vgpr4
                                        ; implicit-def: $vgpr2_vgpr3
	s_and_saveexec_b32 s8, s11
	s_cbranch_execz .LBB25_7828
; %bb.4237:
	s_mov_b32 s13, -1
	s_mov_b32 s11, 0
	s_mov_b32 s9, s7
	s_mov_b32 s14, 0
	s_and_saveexec_b32 s10, s0
	s_cbranch_execz .LBB25_4365
; %bb.4238:
	v_dual_add_nc_u32 v1, s60, v209 :: v_dual_mov_b32 v3, 0
	s_mov_b32 s0, 0
	s_mov_b32 s12, s7
	s_mov_b32 s9, exec_lo
	s_delay_alu instid0(VALU_DEP_1) | instskip(SKIP_1) | instid1(VALU_DEP_2)
	v_mul_lo_u32 v2, v1, v210
	v_and_b32_e32 v1, 0xff, v85
	v_add_nc_u64_e32 v[2:3], v[212:213], v[2:3]
	s_delay_alu instid0(VALU_DEP_2)
	v_cmpx_lt_i16_e32 10, v1
	s_xor_b32 s9, exec_lo, s9
	s_cbranch_execz .LBB25_4320
; %bb.4239:
	s_mov_b32 s12, s7
	s_mov_b32 s13, exec_lo
	v_cmpx_lt_i16_e32 25, v1
	s_xor_b32 s13, exec_lo, s13
	s_cbranch_execz .LBB25_4275
; %bb.4240:
	s_mov_b32 s14, s7
	s_mov_b32 s12, exec_lo
	;; [unrolled: 6-line block ×3, first 2 shown]
	v_cmpx_lt_i16_e32 43, v1
	s_xor_b32 s14, exec_lo, s14
	s_cbranch_execz .LBB25_4253
; %bb.4242:
	s_mov_b32 s15, 0
	s_mov_b32 s16, s7
	s_mov_b32 s0, exec_lo
	v_cmpx_lt_i16_e32 45, v1
	s_xor_b32 s0, exec_lo, s0
	s_cbranch_execz .LBB25_4246
; %bb.4243:
	s_mov_b32 s17, -1
	s_mov_b32 s16, exec_lo
	v_cmpx_eq_u16_e32 46, v1
	s_cbranch_execz .LBB25_4245
; %bb.4244:
	v_bfe_u32 v1, v192, 16, 1
	v_cmp_o_f32_e32 vcc_lo, v192, v192
	s_mov_b32 s15, exec_lo
	s_xor_b32 s17, exec_lo, -1
	s_delay_alu instid0(VALU_DEP_2) | instskip(NEXT) | instid1(VALU_DEP_1)
	v_add3_u32 v1, v192, v1, 0x7fff
	v_lshrrev_b32_e32 v1, 16, v1
	s_delay_alu instid0(VALU_DEP_1)
	v_cndmask_b32_e32 v1, 0x7fc0, v1, vcc_lo
	flat_store_b32 v[2:3], v1
.LBB25_4245:
	s_wait_xcnt 0x0
	s_or_b32 exec_lo, exec_lo, s16
	s_delay_alu instid0(SALU_CYCLE_1)
	s_and_not1_b32 s16, s7, exec_lo
	s_and_b32 s17, s17, exec_lo
	s_and_b32 s15, s15, exec_lo
	s_or_b32 s16, s16, s17
                                        ; implicit-def: $vgpr1
                                        ; implicit-def: $vgpr2_vgpr3
                                        ; implicit-def: $vgpr192
.LBB25_4246:
	s_and_not1_saveexec_b32 s17, s0
	s_cbranch_execz .LBB25_4252
; %bb.4247:
	s_mov_b32 s19, -1
	s_mov_b32 s0, s15
	s_mov_b32 s18, exec_lo
	v_cmpx_eq_u16_e32 44, v1
	s_cbranch_execz .LBB25_4251
; %bb.4248:
	v_bfe_u32 v4, v192, 23, 8
	v_mov_b32_e32 v1, 0xff
	s_mov_b32 s19, exec_lo
	s_delay_alu instid0(VALU_DEP_2)
	v_cmpx_ne_u32_e32 0xff, v4
	s_cbranch_execz .LBB25_4250
; %bb.4249:
	v_and_b32_e32 v1, 0x400000, v192
	v_and_or_b32 v4, 0x3fffff, v192, v4
	s_delay_alu instid0(VALU_DEP_2) | instskip(NEXT) | instid1(VALU_DEP_2)
	v_cmp_ne_u32_e32 vcc_lo, 0, v1
	v_cmp_ne_u32_e64 s0, 0, v4
	v_lshrrev_b32_e32 v1, 23, v192
	s_and_b32 s0, vcc_lo, s0
	s_delay_alu instid0(SALU_CYCLE_1) | instskip(NEXT) | instid1(VALU_DEP_1)
	v_cndmask_b32_e64 v4, 0, 1, s0
	v_add_nc_u32_e32 v1, v1, v4
.LBB25_4250:
	s_or_b32 exec_lo, exec_lo, s19
	s_delay_alu instid0(SALU_CYCLE_1)
	s_xor_b32 s19, exec_lo, -1
	s_or_b32 s0, s15, exec_lo
	flat_store_b8 v[2:3], v1
.LBB25_4251:
	s_wait_xcnt 0x0
	s_or_b32 exec_lo, exec_lo, s18
	s_delay_alu instid0(SALU_CYCLE_1)
	s_and_not1_b32 s16, s16, exec_lo
	s_and_b32 s18, s19, exec_lo
	s_and_not1_b32 s15, s15, exec_lo
	s_and_b32 s0, s0, exec_lo
	s_or_b32 s16, s16, s18
	s_or_b32 s15, s15, s0
.LBB25_4252:
	s_or_b32 exec_lo, exec_lo, s17
	s_delay_alu instid0(SALU_CYCLE_1) | instskip(SKIP_1) | instid1(SALU_CYCLE_1)
	s_and_not1_b32 s0, s7, exec_lo
	s_and_b32 s16, s16, exec_lo
                                        ; implicit-def: $vgpr1
                                        ; implicit-def: $vgpr192
                                        ; implicit-def: $vgpr2_vgpr3
	s_or_b32 s16, s0, s16
	s_and_b32 s0, s15, exec_lo
.LBB25_4253:
	s_and_not1_saveexec_b32 s14, s14
	s_cbranch_execz .LBB25_4257
; %bb.4254:
	s_mov_b32 s18, -1
	s_mov_b32 s17, s0
	s_mov_b32 s15, exec_lo
	v_cmpx_eq_u16_e32 29, v1
	s_cbranch_execz .LBB25_4256
; %bb.4255:
	v_trunc_f32_e32 v1, v192
	s_xor_b32 s18, exec_lo, -1
	s_or_b32 s17, s0, exec_lo
	s_delay_alu instid0(VALU_DEP_1) | instskip(NEXT) | instid1(VALU_DEP_1)
	v_mul_f32_e32 v4, 0x2f800000, v1
	v_floor_f32_e32 v4, v4
	s_delay_alu instid0(VALU_DEP_1) | instskip(SKIP_1) | instid1(VALU_DEP_2)
	v_fmamk_f32 v1, v4, 0xcf800000, v1
	v_cvt_u32_f32_e32 v5, v4
	v_cvt_u32_f32_e32 v4, v1
	flat_store_b64 v[2:3], v[4:5]
.LBB25_4256:
	s_wait_xcnt 0x0
	s_or_b32 exec_lo, exec_lo, s15
	s_delay_alu instid0(SALU_CYCLE_1)
	s_and_not1_b32 s15, s16, exec_lo
	s_and_b32 s16, s18, exec_lo
	s_and_not1_b32 s0, s0, exec_lo
	s_and_b32 s17, s17, exec_lo
	s_or_b32 s16, s15, s16
	s_or_b32 s0, s0, s17
.LBB25_4257:
	s_or_b32 exec_lo, exec_lo, s14
	s_delay_alu instid0(SALU_CYCLE_1)
	s_and_not1_b32 s14, s7, exec_lo
	s_and_b32 s15, s16, exec_lo
	s_and_b32 s0, s0, exec_lo
	s_or_b32 s14, s14, s15
                                        ; implicit-def: $vgpr2_vgpr3
                                        ; implicit-def: $vgpr1
                                        ; implicit-def: $vgpr192
.LBB25_4258:
	s_and_not1_saveexec_b32 s12, s12
	s_cbranch_execz .LBB25_4274
; %bb.4259:
	s_mov_b32 s15, exec_lo
	v_cmpx_lt_i16_e32 26, v1
	s_xor_b32 s15, exec_lo, s15
	s_cbranch_execz .LBB25_4265
; %bb.4260:
	v_cmp_lt_i16_e32 vcc_lo, 27, v1
	v_cvt_u32_f32_e32 v1, v192
	s_and_saveexec_b32 s16, vcc_lo
	s_delay_alu instid0(SALU_CYCLE_1)
	s_xor_b32 s16, exec_lo, s16
	s_cbranch_execz .LBB25_4262
; %bb.4261:
	flat_store_b32 v[2:3], v1
                                        ; implicit-def: $vgpr2_vgpr3
                                        ; implicit-def: $vgpr1
.LBB25_4262:
	s_wait_xcnt 0x0
	s_and_not1_saveexec_b32 s16, s16
	s_cbranch_execz .LBB25_4264
; %bb.4263:
	flat_store_b16 v[2:3], v1
.LBB25_4264:
	s_wait_xcnt 0x0
	s_or_b32 exec_lo, exec_lo, s16
                                        ; implicit-def: $vgpr2_vgpr3
                                        ; implicit-def: $vgpr192
.LBB25_4265:
	s_and_not1_saveexec_b32 s15, s15
	s_cbranch_execz .LBB25_4273
; %bb.4266:
	v_and_b32_e32 v1, 0x7fffffff, v192
	v_mov_b32_e32 v4, 0x80
	s_mov_b32 s16, exec_lo
	s_delay_alu instid0(VALU_DEP_2)
	v_cmpx_gt_u32_e32 0x43800000, v1
	s_cbranch_execz .LBB25_4272
; %bb.4267:
	v_cmp_lt_u32_e32 vcc_lo, 0x3bffffff, v1
	s_mov_b32 s17, 0
                                        ; implicit-def: $vgpr1
	s_and_saveexec_b32 s18, vcc_lo
	s_delay_alu instid0(SALU_CYCLE_1)
	s_xor_b32 s18, exec_lo, s18
	s_cbranch_execnz .LBB25_7895
; %bb.4268:
	s_and_not1_saveexec_b32 s18, s18
	s_cbranch_execnz .LBB25_7896
.LBB25_4269:
	s_or_b32 exec_lo, exec_lo, s18
	v_mov_b32_e32 v4, 0
	s_and_saveexec_b32 s18, s17
.LBB25_4270:
	v_lshrrev_b32_e32 v4, 24, v192
	s_delay_alu instid0(VALU_DEP_1)
	v_and_or_b32 v4, 0x80, v4, v1
.LBB25_4271:
	s_or_b32 exec_lo, exec_lo, s18
.LBB25_4272:
	s_delay_alu instid0(SALU_CYCLE_1)
	s_or_b32 exec_lo, exec_lo, s16
	flat_store_b8 v[2:3], v4
.LBB25_4273:
	s_wait_xcnt 0x0
	s_or_b32 exec_lo, exec_lo, s15
	s_delay_alu instid0(SALU_CYCLE_1)
	s_or_b32 s0, s0, exec_lo
.LBB25_4274:
	s_or_b32 exec_lo, exec_lo, s12
	s_delay_alu instid0(SALU_CYCLE_1)
	s_and_not1_b32 s12, s7, exec_lo
	s_and_b32 s14, s14, exec_lo
	s_and_b32 s0, s0, exec_lo
	s_or_b32 s12, s12, s14
                                        ; implicit-def: $vgpr1
                                        ; implicit-def: $vgpr192
                                        ; implicit-def: $vgpr2_vgpr3
.LBB25_4275:
	s_and_not1_saveexec_b32 s13, s13
	s_cbranch_execz .LBB25_4319
; %bb.4276:
	s_mov_b32 s15, s0
	s_mov_b32 s14, exec_lo
	v_cmpx_lt_i16_e32 22, v1
	s_xor_b32 s14, exec_lo, s14
	s_cbranch_execz .LBB25_4308
; %bb.4277:
	s_mov_b32 s15, exec_lo
	v_cmpx_lt_i16_e32 23, v1
	s_xor_b32 s15, exec_lo, s15
	s_cbranch_execz .LBB25_4297
; %bb.4278:
	;; [unrolled: 5-line block ×3, first 2 shown]
	v_and_b32_e32 v1, 0x7fffffff, v192
	v_mov_b32_e32 v4, 0x80
	s_mov_b32 s17, exec_lo
	s_delay_alu instid0(VALU_DEP_2)
	v_cmpx_gt_u32_e32 0x47800000, v1
	s_cbranch_execz .LBB25_4285
; %bb.4280:
	v_cmp_lt_u32_e32 vcc_lo, 0x37ffffff, v1
	s_mov_b32 s18, 0
                                        ; implicit-def: $vgpr1
	s_and_saveexec_b32 s19, vcc_lo
	s_delay_alu instid0(SALU_CYCLE_1)
	s_xor_b32 s19, exec_lo, s19
	s_cbranch_execnz .LBB25_7897
; %bb.4281:
	s_and_not1_saveexec_b32 s19, s19
	s_cbranch_execnz .LBB25_7898
.LBB25_4282:
	s_or_b32 exec_lo, exec_lo, s19
	v_mov_b32_e32 v4, 0
	s_and_saveexec_b32 s19, s18
.LBB25_4283:
	v_lshrrev_b32_e32 v4, 24, v192
	s_delay_alu instid0(VALU_DEP_1)
	v_and_or_b32 v4, 0x80, v4, v1
.LBB25_4284:
	s_or_b32 exec_lo, exec_lo, s19
.LBB25_4285:
	s_delay_alu instid0(SALU_CYCLE_1)
	s_or_b32 exec_lo, exec_lo, s17
	flat_store_b8 v[2:3], v4
                                        ; implicit-def: $vgpr192
                                        ; implicit-def: $vgpr2_vgpr3
.LBB25_4286:
	s_wait_xcnt 0x0
	s_and_not1_saveexec_b32 s16, s16
	s_cbranch_execz .LBB25_4296
; %bb.4287:
	v_and_b32_e32 v4, 0x7fffffff, v192
	s_mov_b32 s17, exec_lo
                                        ; implicit-def: $vgpr1
	s_delay_alu instid0(VALU_DEP_1)
	v_cmpx_gt_u32_e32 0x43f00000, v4
	s_xor_b32 s17, exec_lo, s17
	s_cbranch_execz .LBB25_4293
; %bb.4288:
	s_mov_b32 s18, exec_lo
                                        ; implicit-def: $vgpr1
	v_cmpx_lt_u32_e32 0x3c7fffff, v4
	s_xor_b32 s18, exec_lo, s18
; %bb.4289:
	v_bfe_u32 v1, v192, 20, 1
	s_delay_alu instid0(VALU_DEP_1) | instskip(NEXT) | instid1(VALU_DEP_1)
	v_add3_u32 v1, v192, v1, 0x407ffff
	v_and_b32_e32 v4, 0xff00000, v1
	v_lshrrev_b32_e32 v1, 20, v1
	s_delay_alu instid0(VALU_DEP_2) | instskip(NEXT) | instid1(VALU_DEP_2)
	v_cmp_ne_u32_e32 vcc_lo, 0x7f00000, v4
	v_cndmask_b32_e32 v1, 0x7e, v1, vcc_lo
; %bb.4290:
	s_and_not1_saveexec_b32 s18, s18
; %bb.4291:
	v_add_f32_e64 v1, 0x46800000, |v192|
; %bb.4292:
	s_or_b32 exec_lo, exec_lo, s18
                                        ; implicit-def: $vgpr4
.LBB25_4293:
	s_and_not1_saveexec_b32 s17, s17
; %bb.4294:
	v_mov_b32_e32 v1, 0x7f
	v_cmp_lt_u32_e32 vcc_lo, 0x7f800000, v4
	s_delay_alu instid0(VALU_DEP_2)
	v_cndmask_b32_e32 v1, 0x7e, v1, vcc_lo
; %bb.4295:
	s_or_b32 exec_lo, exec_lo, s17
	v_lshrrev_b32_e32 v4, 24, v192
	s_delay_alu instid0(VALU_DEP_1)
	v_and_or_b32 v1, 0x80, v4, v1
	flat_store_b8 v[2:3], v1
.LBB25_4296:
	s_wait_xcnt 0x0
	s_or_b32 exec_lo, exec_lo, s16
                                        ; implicit-def: $vgpr192
                                        ; implicit-def: $vgpr2_vgpr3
.LBB25_4297:
	s_and_not1_saveexec_b32 s15, s15
	s_cbranch_execz .LBB25_4307
; %bb.4298:
	v_and_b32_e32 v4, 0x7fffffff, v192
	s_mov_b32 s16, exec_lo
                                        ; implicit-def: $vgpr1
	s_delay_alu instid0(VALU_DEP_1)
	v_cmpx_gt_u32_e32 0x47800000, v4
	s_xor_b32 s16, exec_lo, s16
	s_cbranch_execz .LBB25_4304
; %bb.4299:
	s_mov_b32 s17, exec_lo
                                        ; implicit-def: $vgpr1
	v_cmpx_lt_u32_e32 0x387fffff, v4
	s_xor_b32 s17, exec_lo, s17
; %bb.4300:
	v_bfe_u32 v1, v192, 21, 1
	s_delay_alu instid0(VALU_DEP_1) | instskip(NEXT) | instid1(VALU_DEP_1)
	v_add3_u32 v1, v192, v1, 0x80fffff
	v_lshrrev_b32_e32 v1, 21, v1
; %bb.4301:
	s_and_not1_saveexec_b32 s17, s17
; %bb.4302:
	v_add_f32_e64 v1, 0x43000000, |v192|
; %bb.4303:
	s_or_b32 exec_lo, exec_lo, s17
                                        ; implicit-def: $vgpr4
.LBB25_4304:
	s_and_not1_saveexec_b32 s16, s16
; %bb.4305:
	v_mov_b32_e32 v1, 0x7f
	v_cmp_lt_u32_e32 vcc_lo, 0x7f800000, v4
	s_delay_alu instid0(VALU_DEP_2)
	v_cndmask_b32_e32 v1, 0x7c, v1, vcc_lo
; %bb.4306:
	s_or_b32 exec_lo, exec_lo, s16
	v_lshrrev_b32_e32 v4, 24, v192
	s_delay_alu instid0(VALU_DEP_1)
	v_and_or_b32 v1, 0x80, v4, v1
	flat_store_b8 v[2:3], v1
.LBB25_4307:
	s_wait_xcnt 0x0
	s_or_b32 exec_lo, exec_lo, s15
	s_delay_alu instid0(SALU_CYCLE_1)
	s_or_b32 s15, s0, exec_lo
                                        ; implicit-def: $vgpr1
                                        ; implicit-def: $vgpr192
                                        ; implicit-def: $vgpr2_vgpr3
.LBB25_4308:
	s_or_saveexec_b32 s14, s14
	s_mov_b32 s16, s12
	s_xor_b32 exec_lo, exec_lo, s14
	s_cbranch_execz .LBB25_4318
; %bb.4309:
	s_mov_b32 s16, s15
	s_mov_b32 s17, s12
	s_mov_b32 s18, exec_lo
	v_cmpx_lt_i16_e32 14, v1
	s_xor_b32 s18, exec_lo, s18
	s_cbranch_execz .LBB25_4313
; %bb.4310:
	s_mov_b32 s19, -1
	s_mov_b32 s16, s15
	s_mov_b32 s17, exec_lo
	v_cmpx_eq_u16_e32 15, v1
	s_cbranch_execz .LBB25_4312
; %bb.4311:
	v_bfe_u32 v1, v192, 16, 1
	v_cmp_o_f32_e32 vcc_lo, v192, v192
	s_xor_b32 s19, exec_lo, -1
	s_or_b32 s16, s15, exec_lo
	s_delay_alu instid0(VALU_DEP_2) | instskip(NEXT) | instid1(VALU_DEP_1)
	v_add3_u32 v1, v192, v1, 0x7fff
	v_lshrrev_b32_e32 v1, 16, v1
	s_delay_alu instid0(VALU_DEP_1)
	v_cndmask_b32_e32 v1, 0x7fc0, v1, vcc_lo
	flat_store_b16 v[2:3], v1
.LBB25_4312:
	s_wait_xcnt 0x0
	s_or_b32 exec_lo, exec_lo, s17
	s_delay_alu instid0(SALU_CYCLE_1)
	s_and_not1_b32 s17, s12, exec_lo
	s_and_b32 s19, s19, exec_lo
	s_and_not1_b32 s20, s15, exec_lo
	s_and_b32 s16, s16, exec_lo
	s_or_b32 s17, s17, s19
	s_or_b32 s16, s20, s16
                                        ; implicit-def: $vgpr1
                                        ; implicit-def: $vgpr192
                                        ; implicit-def: $vgpr2_vgpr3
.LBB25_4313:
	s_and_not1_saveexec_b32 s18, s18
	s_cbranch_execz .LBB25_4317
; %bb.4314:
	s_mov_b32 s20, -1
	s_mov_b32 s19, s16
	s_mov_b32 s21, exec_lo
	v_cmpx_eq_u16_e32 11, v1
	s_cbranch_execz .LBB25_4316
; %bb.4315:
	v_cmp_neq_f32_e32 vcc_lo, 0, v192
	s_xor_b32 s20, exec_lo, -1
	s_or_b32 s19, s16, exec_lo
	v_cndmask_b32_e64 v1, 0, 1, vcc_lo
	flat_store_b8 v[2:3], v1
.LBB25_4316:
	s_wait_xcnt 0x0
	s_or_b32 exec_lo, exec_lo, s21
	s_delay_alu instid0(SALU_CYCLE_1)
	s_and_not1_b32 s17, s17, exec_lo
	s_and_b32 s20, s20, exec_lo
	s_and_not1_b32 s16, s16, exec_lo
	s_and_b32 s19, s19, exec_lo
	s_or_b32 s17, s17, s20
	s_or_b32 s16, s16, s19
.LBB25_4317:
	s_or_b32 exec_lo, exec_lo, s18
	s_delay_alu instid0(SALU_CYCLE_1)
	s_and_not1_b32 s18, s12, exec_lo
	s_and_b32 s17, s17, exec_lo
	s_and_not1_b32 s15, s15, exec_lo
	s_and_b32 s19, s16, exec_lo
	s_or_b32 s16, s18, s17
	s_or_b32 s15, s15, s19
.LBB25_4318:
	s_or_b32 exec_lo, exec_lo, s14
	s_delay_alu instid0(SALU_CYCLE_1)
	s_and_not1_b32 s12, s12, exec_lo
	s_and_b32 s14, s16, exec_lo
	s_and_not1_b32 s0, s0, exec_lo
	s_and_b32 s15, s15, exec_lo
	s_or_b32 s12, s12, s14
	s_or_b32 s0, s0, s15
.LBB25_4319:
	s_or_b32 exec_lo, exec_lo, s13
	s_delay_alu instid0(SALU_CYCLE_1)
	s_and_not1_b32 s13, s7, exec_lo
	s_and_b32 s12, s12, exec_lo
	s_and_b32 s0, s0, exec_lo
	s_or_b32 s12, s13, s12
                                        ; implicit-def: $vgpr1
                                        ; implicit-def: $vgpr192
                                        ; implicit-def: $vgpr2_vgpr3
.LBB25_4320:
	s_and_not1_saveexec_b32 s9, s9
	s_cbranch_execz .LBB25_4362
; %bb.4321:
	s_mov_b32 s13, exec_lo
	v_cmpx_lt_i16_e32 4, v1
	s_xor_b32 s13, exec_lo, s13
	s_cbranch_execz .LBB25_4343
; %bb.4322:
	s_mov_b32 s14, exec_lo
	v_cmpx_lt_i16_e32 7, v1
	s_xor_b32 s14, exec_lo, s14
	;; [unrolled: 5-line block ×4, first 2 shown]
	s_cbranch_execz .LBB25_4326
; %bb.4325:
	v_cvt_f64_f32_e32 v[4:5], v192
	v_mov_b32_e32 v6, 0
                                        ; implicit-def: $vgpr192
	s_delay_alu instid0(VALU_DEP_1)
	v_mov_b32_e32 v7, v6
	flat_store_b128 v[2:3], v[4:7]
                                        ; implicit-def: $vgpr2_vgpr3
.LBB25_4326:
	s_wait_xcnt 0x0
	s_and_not1_saveexec_b32 s16, s16
	s_cbranch_execz .LBB25_4328
; %bb.4327:
	v_mov_b32_e32 v193, 0
	flat_store_b64 v[2:3], v[192:193]
.LBB25_4328:
	s_wait_xcnt 0x0
	s_or_b32 exec_lo, exec_lo, s16
                                        ; implicit-def: $vgpr192
                                        ; implicit-def: $vgpr2_vgpr3
.LBB25_4329:
	s_and_not1_saveexec_b32 s15, s15
	s_cbranch_execz .LBB25_4331
; %bb.4330:
	v_cvt_f16_f32_e64 v1, v192
	s_delay_alu instid0(VALU_DEP_1)
	v_and_b32_e32 v1, 0xffff, v1
	flat_store_b32 v[2:3], v1
.LBB25_4331:
	s_wait_xcnt 0x0
	s_or_b32 exec_lo, exec_lo, s15
                                        ; implicit-def: $vgpr192
                                        ; implicit-def: $vgpr2_vgpr3
                                        ; implicit-def: $vgpr1
.LBB25_4332:
	s_and_not1_saveexec_b32 s14, s14
	s_cbranch_execz .LBB25_4342
; %bb.4333:
	s_mov_b32 s15, exec_lo
	v_cmpx_lt_i16_e32 5, v1
	s_xor_b32 s15, exec_lo, s15
	s_cbranch_execz .LBB25_4339
; %bb.4334:
	s_mov_b32 s16, exec_lo
	v_cmpx_lt_i16_e32 6, v1
	s_xor_b32 s16, exec_lo, s16
	s_cbranch_execz .LBB25_4336
; %bb.4335:
	v_cvt_f64_f32_e32 v[4:5], v192
                                        ; implicit-def: $vgpr192
	flat_store_b64 v[2:3], v[4:5]
                                        ; implicit-def: $vgpr2_vgpr3
.LBB25_4336:
	s_wait_xcnt 0x0
	s_and_not1_saveexec_b32 s16, s16
	s_cbranch_execz .LBB25_4338
; %bb.4337:
	flat_store_b32 v[2:3], v192
.LBB25_4338:
	s_wait_xcnt 0x0
	s_or_b32 exec_lo, exec_lo, s16
                                        ; implicit-def: $vgpr192
                                        ; implicit-def: $vgpr2_vgpr3
.LBB25_4339:
	s_and_not1_saveexec_b32 s15, s15
	s_cbranch_execz .LBB25_4341
; %bb.4340:
	v_cvt_f16_f32_e64 v1, v192
	flat_store_b16 v[2:3], v1
.LBB25_4341:
	s_wait_xcnt 0x0
	s_or_b32 exec_lo, exec_lo, s15
.LBB25_4342:
	s_delay_alu instid0(SALU_CYCLE_1)
	s_or_b32 exec_lo, exec_lo, s14
                                        ; implicit-def: $vgpr1
                                        ; implicit-def: $vgpr192
                                        ; implicit-def: $vgpr2_vgpr3
.LBB25_4343:
	s_and_not1_saveexec_b32 s13, s13
	s_cbranch_execz .LBB25_4361
; %bb.4344:
	s_mov_b32 s14, exec_lo
	v_cmpx_lt_i16_e32 1, v1
	s_xor_b32 s14, exec_lo, s14
	s_cbranch_execz .LBB25_4354
; %bb.4345:
	s_mov_b32 s15, exec_lo
	v_cmpx_lt_i16_e32 2, v1
	s_xor_b32 s15, exec_lo, s15
	;; [unrolled: 5-line block ×3, first 2 shown]
	s_cbranch_execz .LBB25_4348
; %bb.4347:
	v_trunc_f32_e32 v1, v192
                                        ; implicit-def: $vgpr192
	s_delay_alu instid0(VALU_DEP_1) | instskip(NEXT) | instid1(VALU_DEP_1)
	v_mul_f32_e64 v4, 0x2f800000, |v1|
	v_floor_f32_e32 v5, v4
	v_ashrrev_i32_e32 v4, 31, v1
	s_delay_alu instid0(VALU_DEP_2) | instskip(SKIP_1) | instid1(VALU_DEP_3)
	v_fma_f32 v6, 0xcf800000, v5, |v1|
	v_cvt_u32_f32_e32 v1, v5
	v_mov_b32_e32 v5, v4
	s_delay_alu instid0(VALU_DEP_3) | instskip(NEXT) | instid1(VALU_DEP_3)
	v_cvt_u32_f32_e32 v6, v6
	v_xor_b32_e32 v7, v1, v4
	s_delay_alu instid0(VALU_DEP_2) | instskip(NEXT) | instid1(VALU_DEP_1)
	v_xor_b32_e32 v6, v6, v4
	v_sub_nc_u64_e32 v[4:5], v[6:7], v[4:5]
	flat_store_b64 v[2:3], v[4:5]
                                        ; implicit-def: $vgpr2_vgpr3
.LBB25_4348:
	s_wait_xcnt 0x0
	s_and_not1_saveexec_b32 s16, s16
	s_cbranch_execz .LBB25_4350
; %bb.4349:
	v_cvt_i32_f32_e32 v1, v192
	flat_store_b32 v[2:3], v1
.LBB25_4350:
	s_wait_xcnt 0x0
	s_or_b32 exec_lo, exec_lo, s16
                                        ; implicit-def: $vgpr192
                                        ; implicit-def: $vgpr2_vgpr3
.LBB25_4351:
	s_and_not1_saveexec_b32 s15, s15
	s_cbranch_execz .LBB25_4353
; %bb.4352:
	v_cvt_i32_f32_e32 v1, v192
	flat_store_b16 v[2:3], v1
.LBB25_4353:
	s_wait_xcnt 0x0
	s_or_b32 exec_lo, exec_lo, s15
                                        ; implicit-def: $vgpr192
                                        ; implicit-def: $vgpr2_vgpr3
                                        ; implicit-def: $vgpr1
.LBB25_4354:
	s_and_not1_saveexec_b32 s14, s14
	s_cbranch_execz .LBB25_4360
; %bb.4355:
	s_mov_b32 s15, exec_lo
	v_cmpx_lt_i16_e32 0, v1
	s_xor_b32 s15, exec_lo, s15
	s_cbranch_execz .LBB25_4357
; %bb.4356:
	v_cvt_i32_f32_e32 v1, v192
                                        ; implicit-def: $vgpr192
	flat_store_b8 v[2:3], v1
                                        ; implicit-def: $vgpr2_vgpr3
.LBB25_4357:
	s_wait_xcnt 0x0
	s_and_not1_saveexec_b32 s15, s15
	s_cbranch_execz .LBB25_4359
; %bb.4358:
	v_trunc_f32_e32 v1, v192
	s_delay_alu instid0(VALU_DEP_1) | instskip(NEXT) | instid1(VALU_DEP_1)
	v_mul_f32_e64 v4, 0x2f800000, |v1|
	v_floor_f32_e32 v4, v4
	s_delay_alu instid0(VALU_DEP_1) | instskip(SKIP_1) | instid1(VALU_DEP_2)
	v_fma_f32 v4, 0xcf800000, v4, |v1|
	v_ashrrev_i32_e32 v1, 31, v1
	v_cvt_u32_f32_e32 v4, v4
	s_delay_alu instid0(VALU_DEP_1) | instskip(NEXT) | instid1(VALU_DEP_1)
	v_xor_b32_e32 v4, v4, v1
	v_sub_nc_u32_e32 v1, v4, v1
	flat_store_b8 v[2:3], v1
.LBB25_4359:
	s_wait_xcnt 0x0
	s_or_b32 exec_lo, exec_lo, s15
.LBB25_4360:
	s_delay_alu instid0(SALU_CYCLE_1)
	s_or_b32 exec_lo, exec_lo, s14
.LBB25_4361:
	s_delay_alu instid0(SALU_CYCLE_1) | instskip(NEXT) | instid1(SALU_CYCLE_1)
	s_or_b32 exec_lo, exec_lo, s13
	s_or_b32 s0, s0, exec_lo
.LBB25_4362:
	s_or_b32 exec_lo, exec_lo, s9
	s_mov_b32 s13, 0
	s_mov_b32 s9, 0
	s_and_saveexec_b32 s14, s0
; %bb.4363:
	v_add_nc_u32_e32 v209, 0x200, v209
	s_mov_b32 s13, exec_lo
	s_delay_alu instid0(VALU_DEP_1)
	v_cmp_lt_i32_e32 vcc_lo, v209, v211
	s_and_b32 s9, vcc_lo, exec_lo
; %bb.4364:
	s_or_b32 exec_lo, exec_lo, s14
	s_delay_alu instid0(SALU_CYCLE_1)
	s_and_not1_b32 s0, s7, exec_lo
	s_and_b32 s12, s12, exec_lo
	s_and_b32 s14, s9, exec_lo
	s_or_b32 s9, s0, s12
	s_or_not1_b32 s13, s13, exec_lo
.LBB25_4365:
	s_or_b32 exec_lo, exec_lo, s10
	s_mov_b32 s0, 0
	s_mov_b32 s12, 0
                                        ; implicit-def: $vgpr4
                                        ; implicit-def: $vgpr2_vgpr3
	s_and_saveexec_b32 s10, s13
	s_cbranch_execz .LBB25_7827
; %bb.4366:
	s_mov_b32 s15, -1
	s_mov_b32 s13, 0
	s_mov_b32 s11, s9
	s_and_saveexec_b32 s12, s14
	s_cbranch_execz .LBB25_4494
; %bb.4367:
	v_dual_add_nc_u32 v1, s60, v209 :: v_dual_mov_b32 v3, 0
	s_mov_b32 s14, s9
	s_mov_b32 s11, exec_lo
	s_delay_alu instid0(VALU_DEP_1) | instskip(SKIP_1) | instid1(VALU_DEP_2)
	v_mul_lo_u32 v2, v1, v210
	v_and_b32_e32 v1, 0xff, v85
	v_add_nc_u64_e32 v[2:3], v[212:213], v[2:3]
	s_delay_alu instid0(VALU_DEP_2)
	v_cmpx_lt_i16_e32 10, v1
	s_xor_b32 s11, exec_lo, s11
	s_cbranch_execz .LBB25_4449
; %bb.4368:
	s_mov_b32 s14, s9
	s_mov_b32 s15, exec_lo
	v_cmpx_lt_i16_e32 25, v1
	s_xor_b32 s15, exec_lo, s15
	s_cbranch_execz .LBB25_4404
; %bb.4369:
	s_mov_b32 s16, s9
	s_mov_b32 s14, exec_lo
	;; [unrolled: 6-line block ×3, first 2 shown]
	v_cmpx_lt_i16_e32 43, v1
	s_xor_b32 s16, exec_lo, s16
	s_cbranch_execz .LBB25_4382
; %bb.4371:
	s_mov_b32 s17, 0
	s_mov_b32 s18, s9
	s_mov_b32 s0, exec_lo
	v_cmpx_lt_i16_e32 45, v1
	s_xor_b32 s0, exec_lo, s0
	s_cbranch_execz .LBB25_4375
; %bb.4372:
	s_mov_b32 s19, -1
	s_mov_b32 s18, exec_lo
	v_cmpx_eq_u16_e32 46, v1
	s_cbranch_execz .LBB25_4374
; %bb.4373:
	v_bfe_u32 v1, v182, 16, 1
	v_cmp_o_f32_e32 vcc_lo, v182, v182
	s_mov_b32 s17, exec_lo
	s_xor_b32 s19, exec_lo, -1
	s_delay_alu instid0(VALU_DEP_2) | instskip(NEXT) | instid1(VALU_DEP_1)
	v_add3_u32 v1, v182, v1, 0x7fff
	v_lshrrev_b32_e32 v1, 16, v1
	s_delay_alu instid0(VALU_DEP_1)
	v_cndmask_b32_e32 v1, 0x7fc0, v1, vcc_lo
	flat_store_b32 v[2:3], v1
.LBB25_4374:
	s_wait_xcnt 0x0
	s_or_b32 exec_lo, exec_lo, s18
	s_delay_alu instid0(SALU_CYCLE_1)
	s_and_not1_b32 s18, s9, exec_lo
	s_and_b32 s19, s19, exec_lo
	s_and_b32 s17, s17, exec_lo
	s_or_b32 s18, s18, s19
                                        ; implicit-def: $vgpr1
                                        ; implicit-def: $vgpr2_vgpr3
                                        ; implicit-def: $vgpr182
.LBB25_4375:
	s_and_not1_saveexec_b32 s19, s0
	s_cbranch_execz .LBB25_4381
; %bb.4376:
	s_mov_b32 s21, -1
	s_mov_b32 s0, s17
	s_mov_b32 s20, exec_lo
	v_cmpx_eq_u16_e32 44, v1
	s_cbranch_execz .LBB25_4380
; %bb.4377:
	v_bfe_u32 v4, v182, 23, 8
	v_mov_b32_e32 v1, 0xff
	s_mov_b32 s21, exec_lo
	s_delay_alu instid0(VALU_DEP_2)
	v_cmpx_ne_u32_e32 0xff, v4
	s_cbranch_execz .LBB25_4379
; %bb.4378:
	v_and_b32_e32 v1, 0x400000, v182
	v_and_or_b32 v4, 0x3fffff, v182, v4
	s_delay_alu instid0(VALU_DEP_2) | instskip(NEXT) | instid1(VALU_DEP_2)
	v_cmp_ne_u32_e32 vcc_lo, 0, v1
	v_cmp_ne_u32_e64 s0, 0, v4
	v_lshrrev_b32_e32 v1, 23, v182
	s_and_b32 s0, vcc_lo, s0
	s_delay_alu instid0(SALU_CYCLE_1) | instskip(NEXT) | instid1(VALU_DEP_1)
	v_cndmask_b32_e64 v4, 0, 1, s0
	v_add_nc_u32_e32 v1, v1, v4
.LBB25_4379:
	s_or_b32 exec_lo, exec_lo, s21
	s_delay_alu instid0(SALU_CYCLE_1)
	s_xor_b32 s21, exec_lo, -1
	s_or_b32 s0, s17, exec_lo
	flat_store_b8 v[2:3], v1
.LBB25_4380:
	s_wait_xcnt 0x0
	s_or_b32 exec_lo, exec_lo, s20
	s_delay_alu instid0(SALU_CYCLE_1)
	s_and_not1_b32 s18, s18, exec_lo
	s_and_b32 s20, s21, exec_lo
	s_and_not1_b32 s17, s17, exec_lo
	s_and_b32 s0, s0, exec_lo
	s_or_b32 s18, s18, s20
	s_or_b32 s17, s17, s0
.LBB25_4381:
	s_or_b32 exec_lo, exec_lo, s19
	s_delay_alu instid0(SALU_CYCLE_1) | instskip(SKIP_1) | instid1(SALU_CYCLE_1)
	s_and_not1_b32 s0, s9, exec_lo
	s_and_b32 s18, s18, exec_lo
                                        ; implicit-def: $vgpr1
                                        ; implicit-def: $vgpr182
                                        ; implicit-def: $vgpr2_vgpr3
	s_or_b32 s18, s0, s18
	s_and_b32 s0, s17, exec_lo
.LBB25_4382:
	s_and_not1_saveexec_b32 s16, s16
	s_cbranch_execz .LBB25_4386
; %bb.4383:
	s_mov_b32 s20, -1
	s_mov_b32 s19, s0
	s_mov_b32 s17, exec_lo
	v_cmpx_eq_u16_e32 29, v1
	s_cbranch_execz .LBB25_4385
; %bb.4384:
	v_trunc_f32_e32 v1, v182
	s_xor_b32 s20, exec_lo, -1
	s_or_b32 s19, s0, exec_lo
	s_delay_alu instid0(VALU_DEP_1) | instskip(NEXT) | instid1(VALU_DEP_1)
	v_mul_f32_e32 v4, 0x2f800000, v1
	v_floor_f32_e32 v4, v4
	s_delay_alu instid0(VALU_DEP_1) | instskip(SKIP_1) | instid1(VALU_DEP_2)
	v_fmamk_f32 v1, v4, 0xcf800000, v1
	v_cvt_u32_f32_e32 v5, v4
	v_cvt_u32_f32_e32 v4, v1
	flat_store_b64 v[2:3], v[4:5]
.LBB25_4385:
	s_wait_xcnt 0x0
	s_or_b32 exec_lo, exec_lo, s17
	s_delay_alu instid0(SALU_CYCLE_1)
	s_and_not1_b32 s17, s18, exec_lo
	s_and_b32 s18, s20, exec_lo
	s_and_not1_b32 s0, s0, exec_lo
	s_and_b32 s19, s19, exec_lo
	s_or_b32 s18, s17, s18
	s_or_b32 s0, s0, s19
.LBB25_4386:
	s_or_b32 exec_lo, exec_lo, s16
	s_delay_alu instid0(SALU_CYCLE_1)
	s_and_not1_b32 s16, s9, exec_lo
	s_and_b32 s17, s18, exec_lo
	s_and_b32 s0, s0, exec_lo
	s_or_b32 s16, s16, s17
                                        ; implicit-def: $vgpr2_vgpr3
                                        ; implicit-def: $vgpr1
                                        ; implicit-def: $vgpr182
.LBB25_4387:
	s_and_not1_saveexec_b32 s14, s14
	s_cbranch_execz .LBB25_4403
; %bb.4388:
	s_mov_b32 s17, exec_lo
	v_cmpx_lt_i16_e32 26, v1
	s_xor_b32 s17, exec_lo, s17
	s_cbranch_execz .LBB25_4394
; %bb.4389:
	v_cmp_lt_i16_e32 vcc_lo, 27, v1
	v_cvt_u32_f32_e32 v1, v182
	s_and_saveexec_b32 s18, vcc_lo
	s_delay_alu instid0(SALU_CYCLE_1)
	s_xor_b32 s18, exec_lo, s18
	s_cbranch_execz .LBB25_4391
; %bb.4390:
	flat_store_b32 v[2:3], v1
                                        ; implicit-def: $vgpr2_vgpr3
                                        ; implicit-def: $vgpr1
.LBB25_4391:
	s_wait_xcnt 0x0
	s_and_not1_saveexec_b32 s18, s18
	s_cbranch_execz .LBB25_4393
; %bb.4392:
	flat_store_b16 v[2:3], v1
.LBB25_4393:
	s_wait_xcnt 0x0
	s_or_b32 exec_lo, exec_lo, s18
                                        ; implicit-def: $vgpr2_vgpr3
                                        ; implicit-def: $vgpr182
.LBB25_4394:
	s_and_not1_saveexec_b32 s17, s17
	s_cbranch_execz .LBB25_4402
; %bb.4395:
	v_and_b32_e32 v1, 0x7fffffff, v182
	v_mov_b32_e32 v4, 0x80
	s_mov_b32 s18, exec_lo
	s_delay_alu instid0(VALU_DEP_2)
	v_cmpx_gt_u32_e32 0x43800000, v1
	s_cbranch_execz .LBB25_4401
; %bb.4396:
	v_cmp_lt_u32_e32 vcc_lo, 0x3bffffff, v1
	s_mov_b32 s19, 0
                                        ; implicit-def: $vgpr1
	s_and_saveexec_b32 s20, vcc_lo
	s_delay_alu instid0(SALU_CYCLE_1)
	s_xor_b32 s20, exec_lo, s20
	s_cbranch_execnz .LBB25_7899
; %bb.4397:
	s_and_not1_saveexec_b32 s20, s20
	s_cbranch_execnz .LBB25_7900
.LBB25_4398:
	s_or_b32 exec_lo, exec_lo, s20
	v_mov_b32_e32 v4, 0
	s_and_saveexec_b32 s20, s19
.LBB25_4399:
	v_lshrrev_b32_e32 v4, 24, v182
	s_delay_alu instid0(VALU_DEP_1)
	v_and_or_b32 v4, 0x80, v4, v1
.LBB25_4400:
	s_or_b32 exec_lo, exec_lo, s20
.LBB25_4401:
	s_delay_alu instid0(SALU_CYCLE_1)
	s_or_b32 exec_lo, exec_lo, s18
	flat_store_b8 v[2:3], v4
.LBB25_4402:
	s_wait_xcnt 0x0
	s_or_b32 exec_lo, exec_lo, s17
	s_delay_alu instid0(SALU_CYCLE_1)
	s_or_b32 s0, s0, exec_lo
.LBB25_4403:
	s_or_b32 exec_lo, exec_lo, s14
	s_delay_alu instid0(SALU_CYCLE_1)
	s_and_not1_b32 s14, s9, exec_lo
	s_and_b32 s16, s16, exec_lo
	s_and_b32 s0, s0, exec_lo
	s_or_b32 s14, s14, s16
                                        ; implicit-def: $vgpr1
                                        ; implicit-def: $vgpr182
                                        ; implicit-def: $vgpr2_vgpr3
.LBB25_4404:
	s_and_not1_saveexec_b32 s15, s15
	s_cbranch_execz .LBB25_4448
; %bb.4405:
	s_mov_b32 s17, s0
	s_mov_b32 s16, exec_lo
	v_cmpx_lt_i16_e32 22, v1
	s_xor_b32 s16, exec_lo, s16
	s_cbranch_execz .LBB25_4437
; %bb.4406:
	s_mov_b32 s17, exec_lo
	v_cmpx_lt_i16_e32 23, v1
	s_xor_b32 s17, exec_lo, s17
	s_cbranch_execz .LBB25_4426
; %bb.4407:
	;; [unrolled: 5-line block ×3, first 2 shown]
	v_and_b32_e32 v1, 0x7fffffff, v182
	v_mov_b32_e32 v4, 0x80
	s_mov_b32 s19, exec_lo
	s_delay_alu instid0(VALU_DEP_2)
	v_cmpx_gt_u32_e32 0x47800000, v1
	s_cbranch_execz .LBB25_4414
; %bb.4409:
	v_cmp_lt_u32_e32 vcc_lo, 0x37ffffff, v1
	s_mov_b32 s20, 0
                                        ; implicit-def: $vgpr1
	s_and_saveexec_b32 s21, vcc_lo
	s_delay_alu instid0(SALU_CYCLE_1)
	s_xor_b32 s21, exec_lo, s21
	s_cbranch_execnz .LBB25_7901
; %bb.4410:
	s_and_not1_saveexec_b32 s21, s21
	s_cbranch_execnz .LBB25_7902
.LBB25_4411:
	s_or_b32 exec_lo, exec_lo, s21
	v_mov_b32_e32 v4, 0
	s_and_saveexec_b32 s21, s20
.LBB25_4412:
	v_lshrrev_b32_e32 v4, 24, v182
	s_delay_alu instid0(VALU_DEP_1)
	v_and_or_b32 v4, 0x80, v4, v1
.LBB25_4413:
	s_or_b32 exec_lo, exec_lo, s21
.LBB25_4414:
	s_delay_alu instid0(SALU_CYCLE_1)
	s_or_b32 exec_lo, exec_lo, s19
	flat_store_b8 v[2:3], v4
                                        ; implicit-def: $vgpr182
                                        ; implicit-def: $vgpr2_vgpr3
.LBB25_4415:
	s_wait_xcnt 0x0
	s_and_not1_saveexec_b32 s18, s18
	s_cbranch_execz .LBB25_4425
; %bb.4416:
	v_and_b32_e32 v4, 0x7fffffff, v182
	s_mov_b32 s19, exec_lo
                                        ; implicit-def: $vgpr1
	s_delay_alu instid0(VALU_DEP_1)
	v_cmpx_gt_u32_e32 0x43f00000, v4
	s_xor_b32 s19, exec_lo, s19
	s_cbranch_execz .LBB25_4422
; %bb.4417:
	s_mov_b32 s20, exec_lo
                                        ; implicit-def: $vgpr1
	v_cmpx_lt_u32_e32 0x3c7fffff, v4
	s_xor_b32 s20, exec_lo, s20
; %bb.4418:
	v_bfe_u32 v1, v182, 20, 1
	s_delay_alu instid0(VALU_DEP_1) | instskip(NEXT) | instid1(VALU_DEP_1)
	v_add3_u32 v1, v182, v1, 0x407ffff
	v_and_b32_e32 v4, 0xff00000, v1
	v_lshrrev_b32_e32 v1, 20, v1
	s_delay_alu instid0(VALU_DEP_2) | instskip(NEXT) | instid1(VALU_DEP_2)
	v_cmp_ne_u32_e32 vcc_lo, 0x7f00000, v4
	v_cndmask_b32_e32 v1, 0x7e, v1, vcc_lo
; %bb.4419:
	s_and_not1_saveexec_b32 s20, s20
; %bb.4420:
	v_add_f32_e64 v1, 0x46800000, |v182|
; %bb.4421:
	s_or_b32 exec_lo, exec_lo, s20
                                        ; implicit-def: $vgpr4
.LBB25_4422:
	s_and_not1_saveexec_b32 s19, s19
; %bb.4423:
	v_mov_b32_e32 v1, 0x7f
	v_cmp_lt_u32_e32 vcc_lo, 0x7f800000, v4
	s_delay_alu instid0(VALU_DEP_2)
	v_cndmask_b32_e32 v1, 0x7e, v1, vcc_lo
; %bb.4424:
	s_or_b32 exec_lo, exec_lo, s19
	v_lshrrev_b32_e32 v4, 24, v182
	s_delay_alu instid0(VALU_DEP_1)
	v_and_or_b32 v1, 0x80, v4, v1
	flat_store_b8 v[2:3], v1
.LBB25_4425:
	s_wait_xcnt 0x0
	s_or_b32 exec_lo, exec_lo, s18
                                        ; implicit-def: $vgpr182
                                        ; implicit-def: $vgpr2_vgpr3
.LBB25_4426:
	s_and_not1_saveexec_b32 s17, s17
	s_cbranch_execz .LBB25_4436
; %bb.4427:
	v_and_b32_e32 v4, 0x7fffffff, v182
	s_mov_b32 s18, exec_lo
                                        ; implicit-def: $vgpr1
	s_delay_alu instid0(VALU_DEP_1)
	v_cmpx_gt_u32_e32 0x47800000, v4
	s_xor_b32 s18, exec_lo, s18
	s_cbranch_execz .LBB25_4433
; %bb.4428:
	s_mov_b32 s19, exec_lo
                                        ; implicit-def: $vgpr1
	v_cmpx_lt_u32_e32 0x387fffff, v4
	s_xor_b32 s19, exec_lo, s19
; %bb.4429:
	v_bfe_u32 v1, v182, 21, 1
	s_delay_alu instid0(VALU_DEP_1) | instskip(NEXT) | instid1(VALU_DEP_1)
	v_add3_u32 v1, v182, v1, 0x80fffff
	v_lshrrev_b32_e32 v1, 21, v1
; %bb.4430:
	s_and_not1_saveexec_b32 s19, s19
; %bb.4431:
	v_add_f32_e64 v1, 0x43000000, |v182|
; %bb.4432:
	s_or_b32 exec_lo, exec_lo, s19
                                        ; implicit-def: $vgpr4
.LBB25_4433:
	s_and_not1_saveexec_b32 s18, s18
; %bb.4434:
	v_mov_b32_e32 v1, 0x7f
	v_cmp_lt_u32_e32 vcc_lo, 0x7f800000, v4
	s_delay_alu instid0(VALU_DEP_2)
	v_cndmask_b32_e32 v1, 0x7c, v1, vcc_lo
; %bb.4435:
	s_or_b32 exec_lo, exec_lo, s18
	v_lshrrev_b32_e32 v4, 24, v182
	s_delay_alu instid0(VALU_DEP_1)
	v_and_or_b32 v1, 0x80, v4, v1
	flat_store_b8 v[2:3], v1
.LBB25_4436:
	s_wait_xcnt 0x0
	s_or_b32 exec_lo, exec_lo, s17
	s_delay_alu instid0(SALU_CYCLE_1)
	s_or_b32 s17, s0, exec_lo
                                        ; implicit-def: $vgpr1
                                        ; implicit-def: $vgpr182
                                        ; implicit-def: $vgpr2_vgpr3
.LBB25_4437:
	s_or_saveexec_b32 s16, s16
	s_mov_b32 s18, s14
	s_xor_b32 exec_lo, exec_lo, s16
	s_cbranch_execz .LBB25_4447
; %bb.4438:
	s_mov_b32 s18, s17
	s_mov_b32 s19, s14
	s_mov_b32 s20, exec_lo
	v_cmpx_lt_i16_e32 14, v1
	s_xor_b32 s20, exec_lo, s20
	s_cbranch_execz .LBB25_4442
; %bb.4439:
	s_mov_b32 s21, -1
	s_mov_b32 s18, s17
	s_mov_b32 s19, exec_lo
	v_cmpx_eq_u16_e32 15, v1
	s_cbranch_execz .LBB25_4441
; %bb.4440:
	v_bfe_u32 v1, v182, 16, 1
	v_cmp_o_f32_e32 vcc_lo, v182, v182
	s_xor_b32 s21, exec_lo, -1
	s_or_b32 s18, s17, exec_lo
	s_delay_alu instid0(VALU_DEP_2) | instskip(NEXT) | instid1(VALU_DEP_1)
	v_add3_u32 v1, v182, v1, 0x7fff
	v_lshrrev_b32_e32 v1, 16, v1
	s_delay_alu instid0(VALU_DEP_1)
	v_cndmask_b32_e32 v1, 0x7fc0, v1, vcc_lo
	flat_store_b16 v[2:3], v1
.LBB25_4441:
	s_wait_xcnt 0x0
	s_or_b32 exec_lo, exec_lo, s19
	s_delay_alu instid0(SALU_CYCLE_1)
	s_and_not1_b32 s19, s14, exec_lo
	s_and_b32 s21, s21, exec_lo
	s_and_not1_b32 s22, s17, exec_lo
	s_and_b32 s18, s18, exec_lo
	s_or_b32 s19, s19, s21
	s_or_b32 s18, s22, s18
                                        ; implicit-def: $vgpr1
                                        ; implicit-def: $vgpr182
                                        ; implicit-def: $vgpr2_vgpr3
.LBB25_4442:
	s_and_not1_saveexec_b32 s20, s20
	s_cbranch_execz .LBB25_4446
; %bb.4443:
	s_mov_b32 s22, -1
	s_mov_b32 s21, s18
	s_mov_b32 s23, exec_lo
	v_cmpx_eq_u16_e32 11, v1
	s_cbranch_execz .LBB25_4445
; %bb.4444:
	v_cmp_neq_f32_e32 vcc_lo, 0, v182
	s_xor_b32 s22, exec_lo, -1
	s_or_b32 s21, s18, exec_lo
	v_cndmask_b32_e64 v1, 0, 1, vcc_lo
	flat_store_b8 v[2:3], v1
.LBB25_4445:
	s_wait_xcnt 0x0
	s_or_b32 exec_lo, exec_lo, s23
	s_delay_alu instid0(SALU_CYCLE_1)
	s_and_not1_b32 s19, s19, exec_lo
	s_and_b32 s22, s22, exec_lo
	s_and_not1_b32 s18, s18, exec_lo
	s_and_b32 s21, s21, exec_lo
	s_or_b32 s19, s19, s22
	s_or_b32 s18, s18, s21
.LBB25_4446:
	s_or_b32 exec_lo, exec_lo, s20
	s_delay_alu instid0(SALU_CYCLE_1)
	s_and_not1_b32 s20, s14, exec_lo
	s_and_b32 s19, s19, exec_lo
	s_and_not1_b32 s17, s17, exec_lo
	s_and_b32 s21, s18, exec_lo
	s_or_b32 s18, s20, s19
	s_or_b32 s17, s17, s21
.LBB25_4447:
	s_or_b32 exec_lo, exec_lo, s16
	s_delay_alu instid0(SALU_CYCLE_1)
	s_and_not1_b32 s14, s14, exec_lo
	s_and_b32 s16, s18, exec_lo
	s_and_not1_b32 s0, s0, exec_lo
	s_and_b32 s17, s17, exec_lo
	s_or_b32 s14, s14, s16
	s_or_b32 s0, s0, s17
.LBB25_4448:
	s_or_b32 exec_lo, exec_lo, s15
	s_delay_alu instid0(SALU_CYCLE_1)
	s_and_not1_b32 s15, s9, exec_lo
	s_and_b32 s14, s14, exec_lo
	s_and_b32 s0, s0, exec_lo
	s_or_b32 s14, s15, s14
                                        ; implicit-def: $vgpr1
                                        ; implicit-def: $vgpr182
                                        ; implicit-def: $vgpr2_vgpr3
.LBB25_4449:
	s_and_not1_saveexec_b32 s11, s11
	s_cbranch_execz .LBB25_4491
; %bb.4450:
	s_mov_b32 s15, exec_lo
	v_cmpx_lt_i16_e32 4, v1
	s_xor_b32 s15, exec_lo, s15
	s_cbranch_execz .LBB25_4472
; %bb.4451:
	s_mov_b32 s16, exec_lo
	v_cmpx_lt_i16_e32 7, v1
	s_xor_b32 s16, exec_lo, s16
	;; [unrolled: 5-line block ×4, first 2 shown]
	s_cbranch_execz .LBB25_4455
; %bb.4454:
	v_cvt_f64_f32_e32 v[4:5], v182
	v_mov_b32_e32 v6, 0
                                        ; implicit-def: $vgpr182
	s_delay_alu instid0(VALU_DEP_1)
	v_mov_b32_e32 v7, v6
	flat_store_b128 v[2:3], v[4:7]
                                        ; implicit-def: $vgpr2_vgpr3
.LBB25_4455:
	s_wait_xcnt 0x0
	s_and_not1_saveexec_b32 s18, s18
	s_cbranch_execz .LBB25_4457
; %bb.4456:
	v_mov_b32_e32 v183, 0
	flat_store_b64 v[2:3], v[182:183]
.LBB25_4457:
	s_wait_xcnt 0x0
	s_or_b32 exec_lo, exec_lo, s18
                                        ; implicit-def: $vgpr182
                                        ; implicit-def: $vgpr2_vgpr3
.LBB25_4458:
	s_and_not1_saveexec_b32 s17, s17
	s_cbranch_execz .LBB25_4460
; %bb.4459:
	v_cvt_f16_f32_e64 v1, v182
	s_delay_alu instid0(VALU_DEP_1)
	v_and_b32_e32 v1, 0xffff, v1
	flat_store_b32 v[2:3], v1
.LBB25_4460:
	s_wait_xcnt 0x0
	s_or_b32 exec_lo, exec_lo, s17
                                        ; implicit-def: $vgpr182
                                        ; implicit-def: $vgpr2_vgpr3
                                        ; implicit-def: $vgpr1
.LBB25_4461:
	s_and_not1_saveexec_b32 s16, s16
	s_cbranch_execz .LBB25_4471
; %bb.4462:
	s_mov_b32 s17, exec_lo
	v_cmpx_lt_i16_e32 5, v1
	s_xor_b32 s17, exec_lo, s17
	s_cbranch_execz .LBB25_4468
; %bb.4463:
	s_mov_b32 s18, exec_lo
	v_cmpx_lt_i16_e32 6, v1
	s_xor_b32 s18, exec_lo, s18
	s_cbranch_execz .LBB25_4465
; %bb.4464:
	v_cvt_f64_f32_e32 v[4:5], v182
                                        ; implicit-def: $vgpr182
	flat_store_b64 v[2:3], v[4:5]
                                        ; implicit-def: $vgpr2_vgpr3
.LBB25_4465:
	s_wait_xcnt 0x0
	s_and_not1_saveexec_b32 s18, s18
	s_cbranch_execz .LBB25_4467
; %bb.4466:
	flat_store_b32 v[2:3], v182
.LBB25_4467:
	s_wait_xcnt 0x0
	s_or_b32 exec_lo, exec_lo, s18
                                        ; implicit-def: $vgpr182
                                        ; implicit-def: $vgpr2_vgpr3
.LBB25_4468:
	s_and_not1_saveexec_b32 s17, s17
	s_cbranch_execz .LBB25_4470
; %bb.4469:
	v_cvt_f16_f32_e64 v1, v182
	flat_store_b16 v[2:3], v1
.LBB25_4470:
	s_wait_xcnt 0x0
	s_or_b32 exec_lo, exec_lo, s17
.LBB25_4471:
	s_delay_alu instid0(SALU_CYCLE_1)
	s_or_b32 exec_lo, exec_lo, s16
                                        ; implicit-def: $vgpr1
                                        ; implicit-def: $vgpr182
                                        ; implicit-def: $vgpr2_vgpr3
.LBB25_4472:
	s_and_not1_saveexec_b32 s15, s15
	s_cbranch_execz .LBB25_4490
; %bb.4473:
	s_mov_b32 s16, exec_lo
	v_cmpx_lt_i16_e32 1, v1
	s_xor_b32 s16, exec_lo, s16
	s_cbranch_execz .LBB25_4483
; %bb.4474:
	s_mov_b32 s17, exec_lo
	v_cmpx_lt_i16_e32 2, v1
	s_xor_b32 s17, exec_lo, s17
	;; [unrolled: 5-line block ×3, first 2 shown]
	s_cbranch_execz .LBB25_4477
; %bb.4476:
	v_trunc_f32_e32 v1, v182
                                        ; implicit-def: $vgpr182
	s_delay_alu instid0(VALU_DEP_1) | instskip(NEXT) | instid1(VALU_DEP_1)
	v_mul_f32_e64 v4, 0x2f800000, |v1|
	v_floor_f32_e32 v5, v4
	v_ashrrev_i32_e32 v4, 31, v1
	s_delay_alu instid0(VALU_DEP_2) | instskip(SKIP_1) | instid1(VALU_DEP_3)
	v_fma_f32 v6, 0xcf800000, v5, |v1|
	v_cvt_u32_f32_e32 v1, v5
	v_mov_b32_e32 v5, v4
	s_delay_alu instid0(VALU_DEP_3) | instskip(NEXT) | instid1(VALU_DEP_3)
	v_cvt_u32_f32_e32 v6, v6
	v_xor_b32_e32 v7, v1, v4
	s_delay_alu instid0(VALU_DEP_2) | instskip(NEXT) | instid1(VALU_DEP_1)
	v_xor_b32_e32 v6, v6, v4
	v_sub_nc_u64_e32 v[4:5], v[6:7], v[4:5]
	flat_store_b64 v[2:3], v[4:5]
                                        ; implicit-def: $vgpr2_vgpr3
.LBB25_4477:
	s_wait_xcnt 0x0
	s_and_not1_saveexec_b32 s18, s18
	s_cbranch_execz .LBB25_4479
; %bb.4478:
	v_cvt_i32_f32_e32 v1, v182
	flat_store_b32 v[2:3], v1
.LBB25_4479:
	s_wait_xcnt 0x0
	s_or_b32 exec_lo, exec_lo, s18
                                        ; implicit-def: $vgpr182
                                        ; implicit-def: $vgpr2_vgpr3
.LBB25_4480:
	s_and_not1_saveexec_b32 s17, s17
	s_cbranch_execz .LBB25_4482
; %bb.4481:
	v_cvt_i32_f32_e32 v1, v182
	flat_store_b16 v[2:3], v1
.LBB25_4482:
	s_wait_xcnt 0x0
	s_or_b32 exec_lo, exec_lo, s17
                                        ; implicit-def: $vgpr182
                                        ; implicit-def: $vgpr2_vgpr3
                                        ; implicit-def: $vgpr1
.LBB25_4483:
	s_and_not1_saveexec_b32 s16, s16
	s_cbranch_execz .LBB25_4489
; %bb.4484:
	s_mov_b32 s17, exec_lo
	v_cmpx_lt_i16_e32 0, v1
	s_xor_b32 s17, exec_lo, s17
	s_cbranch_execz .LBB25_4486
; %bb.4485:
	v_cvt_i32_f32_e32 v1, v182
                                        ; implicit-def: $vgpr182
	flat_store_b8 v[2:3], v1
                                        ; implicit-def: $vgpr2_vgpr3
.LBB25_4486:
	s_wait_xcnt 0x0
	s_and_not1_saveexec_b32 s17, s17
	s_cbranch_execz .LBB25_4488
; %bb.4487:
	v_trunc_f32_e32 v1, v182
	s_delay_alu instid0(VALU_DEP_1) | instskip(NEXT) | instid1(VALU_DEP_1)
	v_mul_f32_e64 v4, 0x2f800000, |v1|
	v_floor_f32_e32 v4, v4
	s_delay_alu instid0(VALU_DEP_1) | instskip(SKIP_1) | instid1(VALU_DEP_2)
	v_fma_f32 v4, 0xcf800000, v4, |v1|
	v_ashrrev_i32_e32 v1, 31, v1
	v_cvt_u32_f32_e32 v4, v4
	s_delay_alu instid0(VALU_DEP_1) | instskip(NEXT) | instid1(VALU_DEP_1)
	v_xor_b32_e32 v4, v4, v1
	v_sub_nc_u32_e32 v1, v4, v1
	flat_store_b8 v[2:3], v1
.LBB25_4488:
	s_wait_xcnt 0x0
	s_or_b32 exec_lo, exec_lo, s17
.LBB25_4489:
	s_delay_alu instid0(SALU_CYCLE_1)
	s_or_b32 exec_lo, exec_lo, s16
.LBB25_4490:
	s_delay_alu instid0(SALU_CYCLE_1) | instskip(NEXT) | instid1(SALU_CYCLE_1)
	s_or_b32 exec_lo, exec_lo, s15
	s_or_b32 s0, s0, exec_lo
.LBB25_4491:
	s_or_b32 exec_lo, exec_lo, s11
	s_mov_b32 s15, 0
	s_mov_b32 s11, 0
	s_and_saveexec_b32 s16, s0
; %bb.4492:
	v_add_nc_u32_e32 v209, 0x200, v209
	s_mov_b32 s15, exec_lo
	s_delay_alu instid0(VALU_DEP_1)
	v_cmp_lt_i32_e32 vcc_lo, v209, v211
	s_and_b32 s11, vcc_lo, exec_lo
; %bb.4493:
	s_or_b32 exec_lo, exec_lo, s16
	s_delay_alu instid0(SALU_CYCLE_1)
	s_and_not1_b32 s16, s9, exec_lo
	s_and_b32 s14, s14, exec_lo
	s_and_b32 s0, s11, exec_lo
	s_or_b32 s11, s16, s14
	s_or_not1_b32 s15, s15, exec_lo
.LBB25_4494:
	s_or_b32 exec_lo, exec_lo, s12
	s_mov_b32 s14, 0
	s_mov_b32 s16, 0
                                        ; implicit-def: $vgpr4
                                        ; implicit-def: $vgpr2_vgpr3
	s_and_saveexec_b32 s12, s15
	s_cbranch_execz .LBB25_7826
; %bb.4495:
	s_mov_b32 s17, -1
	s_mov_b32 s15, 0
	s_mov_b32 s13, s11
	s_mov_b32 s18, 0
	s_and_saveexec_b32 s14, s0
	s_cbranch_execz .LBB25_4623
; %bb.4496:
	v_dual_add_nc_u32 v1, s60, v209 :: v_dual_mov_b32 v3, 0
	s_mov_b32 s0, 0
	s_mov_b32 s16, s11
	s_mov_b32 s13, exec_lo
	s_delay_alu instid0(VALU_DEP_1) | instskip(SKIP_1) | instid1(VALU_DEP_2)
	v_mul_lo_u32 v2, v1, v210
	v_and_b32_e32 v1, 0xff, v85
	v_add_nc_u64_e32 v[2:3], v[212:213], v[2:3]
	s_delay_alu instid0(VALU_DEP_2)
	v_cmpx_lt_i16_e32 10, v1
	s_xor_b32 s13, exec_lo, s13
	s_cbranch_execz .LBB25_4578
; %bb.4497:
	s_mov_b32 s16, s11
	s_mov_b32 s17, exec_lo
	v_cmpx_lt_i16_e32 25, v1
	s_xor_b32 s17, exec_lo, s17
	s_cbranch_execz .LBB25_4533
; %bb.4498:
	s_mov_b32 s18, s11
	s_mov_b32 s16, exec_lo
	v_cmpx_lt_i16_e32 28, v1
	s_xor_b32 s16, exec_lo, s16
	s_cbranch_execz .LBB25_4516
; %bb.4499:
	s_mov_b32 s20, s11
	s_mov_b32 s18, exec_lo
	v_cmpx_lt_i16_e32 43, v1
	s_xor_b32 s18, exec_lo, s18
	s_cbranch_execz .LBB25_4511
; %bb.4500:
	s_mov_b32 s19, 0
	s_mov_b32 s20, s11
	s_mov_b32 s0, exec_lo
	v_cmpx_lt_i16_e32 45, v1
	s_xor_b32 s0, exec_lo, s0
	s_cbranch_execz .LBB25_4504
; %bb.4501:
	s_mov_b32 s21, -1
	s_mov_b32 s20, exec_lo
	v_cmpx_eq_u16_e32 46, v1
	s_cbranch_execz .LBB25_4503
; %bb.4502:
	v_bfe_u32 v1, v180, 16, 1
	v_cmp_o_f32_e32 vcc_lo, v180, v180
	s_mov_b32 s19, exec_lo
	s_xor_b32 s21, exec_lo, -1
	s_delay_alu instid0(VALU_DEP_2) | instskip(NEXT) | instid1(VALU_DEP_1)
	v_add3_u32 v1, v180, v1, 0x7fff
	v_lshrrev_b32_e32 v1, 16, v1
	s_delay_alu instid0(VALU_DEP_1)
	v_cndmask_b32_e32 v1, 0x7fc0, v1, vcc_lo
	flat_store_b32 v[2:3], v1
.LBB25_4503:
	s_wait_xcnt 0x0
	s_or_b32 exec_lo, exec_lo, s20
	s_delay_alu instid0(SALU_CYCLE_1)
	s_and_not1_b32 s20, s11, exec_lo
	s_and_b32 s21, s21, exec_lo
	s_and_b32 s19, s19, exec_lo
	s_or_b32 s20, s20, s21
                                        ; implicit-def: $vgpr1
                                        ; implicit-def: $vgpr2_vgpr3
                                        ; implicit-def: $vgpr180
.LBB25_4504:
	s_and_not1_saveexec_b32 s21, s0
	s_cbranch_execz .LBB25_4510
; %bb.4505:
	s_mov_b32 s23, -1
	s_mov_b32 s0, s19
	s_mov_b32 s22, exec_lo
	v_cmpx_eq_u16_e32 44, v1
	s_cbranch_execz .LBB25_4509
; %bb.4506:
	v_bfe_u32 v4, v180, 23, 8
	v_mov_b32_e32 v1, 0xff
	s_mov_b32 s23, exec_lo
	s_delay_alu instid0(VALU_DEP_2)
	v_cmpx_ne_u32_e32 0xff, v4
	s_cbranch_execz .LBB25_4508
; %bb.4507:
	v_and_b32_e32 v1, 0x400000, v180
	v_and_or_b32 v4, 0x3fffff, v180, v4
	s_delay_alu instid0(VALU_DEP_2) | instskip(NEXT) | instid1(VALU_DEP_2)
	v_cmp_ne_u32_e32 vcc_lo, 0, v1
	v_cmp_ne_u32_e64 s0, 0, v4
	v_lshrrev_b32_e32 v1, 23, v180
	s_and_b32 s0, vcc_lo, s0
	s_delay_alu instid0(SALU_CYCLE_1) | instskip(NEXT) | instid1(VALU_DEP_1)
	v_cndmask_b32_e64 v4, 0, 1, s0
	v_add_nc_u32_e32 v1, v1, v4
.LBB25_4508:
	s_or_b32 exec_lo, exec_lo, s23
	s_delay_alu instid0(SALU_CYCLE_1)
	s_xor_b32 s23, exec_lo, -1
	s_or_b32 s0, s19, exec_lo
	flat_store_b8 v[2:3], v1
.LBB25_4509:
	s_wait_xcnt 0x0
	s_or_b32 exec_lo, exec_lo, s22
	s_delay_alu instid0(SALU_CYCLE_1)
	s_and_not1_b32 s20, s20, exec_lo
	s_and_b32 s22, s23, exec_lo
	s_and_not1_b32 s19, s19, exec_lo
	s_and_b32 s0, s0, exec_lo
	s_or_b32 s20, s20, s22
	s_or_b32 s19, s19, s0
.LBB25_4510:
	s_or_b32 exec_lo, exec_lo, s21
	s_delay_alu instid0(SALU_CYCLE_1) | instskip(SKIP_1) | instid1(SALU_CYCLE_1)
	s_and_not1_b32 s0, s11, exec_lo
	s_and_b32 s20, s20, exec_lo
                                        ; implicit-def: $vgpr1
                                        ; implicit-def: $vgpr180
                                        ; implicit-def: $vgpr2_vgpr3
	s_or_b32 s20, s0, s20
	s_and_b32 s0, s19, exec_lo
.LBB25_4511:
	s_and_not1_saveexec_b32 s18, s18
	s_cbranch_execz .LBB25_4515
; %bb.4512:
	s_mov_b32 s22, -1
	s_mov_b32 s21, s0
	s_mov_b32 s19, exec_lo
	v_cmpx_eq_u16_e32 29, v1
	s_cbranch_execz .LBB25_4514
; %bb.4513:
	v_trunc_f32_e32 v1, v180
	s_xor_b32 s22, exec_lo, -1
	s_or_b32 s21, s0, exec_lo
	s_delay_alu instid0(VALU_DEP_1) | instskip(NEXT) | instid1(VALU_DEP_1)
	v_mul_f32_e32 v4, 0x2f800000, v1
	v_floor_f32_e32 v4, v4
	s_delay_alu instid0(VALU_DEP_1) | instskip(SKIP_1) | instid1(VALU_DEP_2)
	v_fmamk_f32 v1, v4, 0xcf800000, v1
	v_cvt_u32_f32_e32 v5, v4
	v_cvt_u32_f32_e32 v4, v1
	flat_store_b64 v[2:3], v[4:5]
.LBB25_4514:
	s_wait_xcnt 0x0
	s_or_b32 exec_lo, exec_lo, s19
	s_delay_alu instid0(SALU_CYCLE_1)
	s_and_not1_b32 s19, s20, exec_lo
	s_and_b32 s20, s22, exec_lo
	s_and_not1_b32 s0, s0, exec_lo
	s_and_b32 s21, s21, exec_lo
	s_or_b32 s20, s19, s20
	s_or_b32 s0, s0, s21
.LBB25_4515:
	s_or_b32 exec_lo, exec_lo, s18
	s_delay_alu instid0(SALU_CYCLE_1)
	s_and_not1_b32 s18, s11, exec_lo
	s_and_b32 s19, s20, exec_lo
	s_and_b32 s0, s0, exec_lo
	s_or_b32 s18, s18, s19
                                        ; implicit-def: $vgpr2_vgpr3
                                        ; implicit-def: $vgpr1
                                        ; implicit-def: $vgpr180
.LBB25_4516:
	s_and_not1_saveexec_b32 s16, s16
	s_cbranch_execz .LBB25_4532
; %bb.4517:
	s_mov_b32 s19, exec_lo
	v_cmpx_lt_i16_e32 26, v1
	s_xor_b32 s19, exec_lo, s19
	s_cbranch_execz .LBB25_4523
; %bb.4518:
	v_cmp_lt_i16_e32 vcc_lo, 27, v1
	v_cvt_u32_f32_e32 v1, v180
	s_and_saveexec_b32 s20, vcc_lo
	s_delay_alu instid0(SALU_CYCLE_1)
	s_xor_b32 s20, exec_lo, s20
	s_cbranch_execz .LBB25_4520
; %bb.4519:
	flat_store_b32 v[2:3], v1
                                        ; implicit-def: $vgpr2_vgpr3
                                        ; implicit-def: $vgpr1
.LBB25_4520:
	s_wait_xcnt 0x0
	s_and_not1_saveexec_b32 s20, s20
	s_cbranch_execz .LBB25_4522
; %bb.4521:
	flat_store_b16 v[2:3], v1
.LBB25_4522:
	s_wait_xcnt 0x0
	s_or_b32 exec_lo, exec_lo, s20
                                        ; implicit-def: $vgpr2_vgpr3
                                        ; implicit-def: $vgpr180
.LBB25_4523:
	s_and_not1_saveexec_b32 s19, s19
	s_cbranch_execz .LBB25_4531
; %bb.4524:
	v_and_b32_e32 v1, 0x7fffffff, v180
	v_mov_b32_e32 v4, 0x80
	s_mov_b32 s20, exec_lo
	s_delay_alu instid0(VALU_DEP_2)
	v_cmpx_gt_u32_e32 0x43800000, v1
	s_cbranch_execz .LBB25_4530
; %bb.4525:
	v_cmp_lt_u32_e32 vcc_lo, 0x3bffffff, v1
	s_mov_b32 s21, 0
                                        ; implicit-def: $vgpr1
	s_and_saveexec_b32 s22, vcc_lo
	s_delay_alu instid0(SALU_CYCLE_1)
	s_xor_b32 s22, exec_lo, s22
	s_cbranch_execnz .LBB25_7903
; %bb.4526:
	s_and_not1_saveexec_b32 s22, s22
	s_cbranch_execnz .LBB25_7904
.LBB25_4527:
	s_or_b32 exec_lo, exec_lo, s22
	v_mov_b32_e32 v4, 0
	s_and_saveexec_b32 s22, s21
.LBB25_4528:
	v_lshrrev_b32_e32 v4, 24, v180
	s_delay_alu instid0(VALU_DEP_1)
	v_and_or_b32 v4, 0x80, v4, v1
.LBB25_4529:
	s_or_b32 exec_lo, exec_lo, s22
.LBB25_4530:
	s_delay_alu instid0(SALU_CYCLE_1)
	s_or_b32 exec_lo, exec_lo, s20
	flat_store_b8 v[2:3], v4
.LBB25_4531:
	s_wait_xcnt 0x0
	s_or_b32 exec_lo, exec_lo, s19
	s_delay_alu instid0(SALU_CYCLE_1)
	s_or_b32 s0, s0, exec_lo
.LBB25_4532:
	s_or_b32 exec_lo, exec_lo, s16
	s_delay_alu instid0(SALU_CYCLE_1)
	s_and_not1_b32 s16, s11, exec_lo
	s_and_b32 s18, s18, exec_lo
	s_and_b32 s0, s0, exec_lo
	s_or_b32 s16, s16, s18
                                        ; implicit-def: $vgpr1
                                        ; implicit-def: $vgpr180
                                        ; implicit-def: $vgpr2_vgpr3
.LBB25_4533:
	s_and_not1_saveexec_b32 s17, s17
	s_cbranch_execz .LBB25_4577
; %bb.4534:
	s_mov_b32 s19, s0
	s_mov_b32 s18, exec_lo
	v_cmpx_lt_i16_e32 22, v1
	s_xor_b32 s18, exec_lo, s18
	s_cbranch_execz .LBB25_4566
; %bb.4535:
	s_mov_b32 s19, exec_lo
	v_cmpx_lt_i16_e32 23, v1
	s_xor_b32 s19, exec_lo, s19
	s_cbranch_execz .LBB25_4555
; %bb.4536:
	;; [unrolled: 5-line block ×3, first 2 shown]
	v_and_b32_e32 v1, 0x7fffffff, v180
	v_mov_b32_e32 v4, 0x80
	s_mov_b32 s21, exec_lo
	s_delay_alu instid0(VALU_DEP_2)
	v_cmpx_gt_u32_e32 0x47800000, v1
	s_cbranch_execz .LBB25_4543
; %bb.4538:
	v_cmp_lt_u32_e32 vcc_lo, 0x37ffffff, v1
	s_mov_b32 s22, 0
                                        ; implicit-def: $vgpr1
	s_and_saveexec_b32 s23, vcc_lo
	s_delay_alu instid0(SALU_CYCLE_1)
	s_xor_b32 s23, exec_lo, s23
	s_cbranch_execnz .LBB25_7905
; %bb.4539:
	s_and_not1_saveexec_b32 s23, s23
	s_cbranch_execnz .LBB25_7906
.LBB25_4540:
	s_or_b32 exec_lo, exec_lo, s23
	v_mov_b32_e32 v4, 0
	s_and_saveexec_b32 s23, s22
.LBB25_4541:
	v_lshrrev_b32_e32 v4, 24, v180
	s_delay_alu instid0(VALU_DEP_1)
	v_and_or_b32 v4, 0x80, v4, v1
.LBB25_4542:
	s_or_b32 exec_lo, exec_lo, s23
.LBB25_4543:
	s_delay_alu instid0(SALU_CYCLE_1)
	s_or_b32 exec_lo, exec_lo, s21
	flat_store_b8 v[2:3], v4
                                        ; implicit-def: $vgpr180
                                        ; implicit-def: $vgpr2_vgpr3
.LBB25_4544:
	s_wait_xcnt 0x0
	s_and_not1_saveexec_b32 s20, s20
	s_cbranch_execz .LBB25_4554
; %bb.4545:
	v_and_b32_e32 v4, 0x7fffffff, v180
	s_mov_b32 s21, exec_lo
                                        ; implicit-def: $vgpr1
	s_delay_alu instid0(VALU_DEP_1)
	v_cmpx_gt_u32_e32 0x43f00000, v4
	s_xor_b32 s21, exec_lo, s21
	s_cbranch_execz .LBB25_4551
; %bb.4546:
	s_mov_b32 s22, exec_lo
                                        ; implicit-def: $vgpr1
	v_cmpx_lt_u32_e32 0x3c7fffff, v4
	s_xor_b32 s22, exec_lo, s22
; %bb.4547:
	v_bfe_u32 v1, v180, 20, 1
	s_delay_alu instid0(VALU_DEP_1) | instskip(NEXT) | instid1(VALU_DEP_1)
	v_add3_u32 v1, v180, v1, 0x407ffff
	v_and_b32_e32 v4, 0xff00000, v1
	v_lshrrev_b32_e32 v1, 20, v1
	s_delay_alu instid0(VALU_DEP_2) | instskip(NEXT) | instid1(VALU_DEP_2)
	v_cmp_ne_u32_e32 vcc_lo, 0x7f00000, v4
	v_cndmask_b32_e32 v1, 0x7e, v1, vcc_lo
; %bb.4548:
	s_and_not1_saveexec_b32 s22, s22
; %bb.4549:
	v_add_f32_e64 v1, 0x46800000, |v180|
; %bb.4550:
	s_or_b32 exec_lo, exec_lo, s22
                                        ; implicit-def: $vgpr4
.LBB25_4551:
	s_and_not1_saveexec_b32 s21, s21
; %bb.4552:
	v_mov_b32_e32 v1, 0x7f
	v_cmp_lt_u32_e32 vcc_lo, 0x7f800000, v4
	s_delay_alu instid0(VALU_DEP_2)
	v_cndmask_b32_e32 v1, 0x7e, v1, vcc_lo
; %bb.4553:
	s_or_b32 exec_lo, exec_lo, s21
	v_lshrrev_b32_e32 v4, 24, v180
	s_delay_alu instid0(VALU_DEP_1)
	v_and_or_b32 v1, 0x80, v4, v1
	flat_store_b8 v[2:3], v1
.LBB25_4554:
	s_wait_xcnt 0x0
	s_or_b32 exec_lo, exec_lo, s20
                                        ; implicit-def: $vgpr180
                                        ; implicit-def: $vgpr2_vgpr3
.LBB25_4555:
	s_and_not1_saveexec_b32 s19, s19
	s_cbranch_execz .LBB25_4565
; %bb.4556:
	v_and_b32_e32 v4, 0x7fffffff, v180
	s_mov_b32 s20, exec_lo
                                        ; implicit-def: $vgpr1
	s_delay_alu instid0(VALU_DEP_1)
	v_cmpx_gt_u32_e32 0x47800000, v4
	s_xor_b32 s20, exec_lo, s20
	s_cbranch_execz .LBB25_4562
; %bb.4557:
	s_mov_b32 s21, exec_lo
                                        ; implicit-def: $vgpr1
	v_cmpx_lt_u32_e32 0x387fffff, v4
	s_xor_b32 s21, exec_lo, s21
; %bb.4558:
	v_bfe_u32 v1, v180, 21, 1
	s_delay_alu instid0(VALU_DEP_1) | instskip(NEXT) | instid1(VALU_DEP_1)
	v_add3_u32 v1, v180, v1, 0x80fffff
	v_lshrrev_b32_e32 v1, 21, v1
; %bb.4559:
	s_and_not1_saveexec_b32 s21, s21
; %bb.4560:
	v_add_f32_e64 v1, 0x43000000, |v180|
; %bb.4561:
	s_or_b32 exec_lo, exec_lo, s21
                                        ; implicit-def: $vgpr4
.LBB25_4562:
	s_and_not1_saveexec_b32 s20, s20
; %bb.4563:
	v_mov_b32_e32 v1, 0x7f
	v_cmp_lt_u32_e32 vcc_lo, 0x7f800000, v4
	s_delay_alu instid0(VALU_DEP_2)
	v_cndmask_b32_e32 v1, 0x7c, v1, vcc_lo
; %bb.4564:
	s_or_b32 exec_lo, exec_lo, s20
	v_lshrrev_b32_e32 v4, 24, v180
	s_delay_alu instid0(VALU_DEP_1)
	v_and_or_b32 v1, 0x80, v4, v1
	flat_store_b8 v[2:3], v1
.LBB25_4565:
	s_wait_xcnt 0x0
	s_or_b32 exec_lo, exec_lo, s19
	s_delay_alu instid0(SALU_CYCLE_1)
	s_or_b32 s19, s0, exec_lo
                                        ; implicit-def: $vgpr1
                                        ; implicit-def: $vgpr180
                                        ; implicit-def: $vgpr2_vgpr3
.LBB25_4566:
	s_or_saveexec_b32 s18, s18
	s_mov_b32 s20, s16
	s_xor_b32 exec_lo, exec_lo, s18
	s_cbranch_execz .LBB25_4576
; %bb.4567:
	s_mov_b32 s20, s19
	s_mov_b32 s21, s16
	s_mov_b32 s22, exec_lo
	v_cmpx_lt_i16_e32 14, v1
	s_xor_b32 s22, exec_lo, s22
	s_cbranch_execz .LBB25_4571
; %bb.4568:
	s_mov_b32 s23, -1
	s_mov_b32 s20, s19
	s_mov_b32 s21, exec_lo
	v_cmpx_eq_u16_e32 15, v1
	s_cbranch_execz .LBB25_4570
; %bb.4569:
	v_bfe_u32 v1, v180, 16, 1
	v_cmp_o_f32_e32 vcc_lo, v180, v180
	s_xor_b32 s23, exec_lo, -1
	s_or_b32 s20, s19, exec_lo
	s_delay_alu instid0(VALU_DEP_2) | instskip(NEXT) | instid1(VALU_DEP_1)
	v_add3_u32 v1, v180, v1, 0x7fff
	v_lshrrev_b32_e32 v1, 16, v1
	s_delay_alu instid0(VALU_DEP_1)
	v_cndmask_b32_e32 v1, 0x7fc0, v1, vcc_lo
	flat_store_b16 v[2:3], v1
.LBB25_4570:
	s_wait_xcnt 0x0
	s_or_b32 exec_lo, exec_lo, s21
	s_delay_alu instid0(SALU_CYCLE_1)
	s_and_not1_b32 s21, s16, exec_lo
	s_and_b32 s23, s23, exec_lo
	s_and_not1_b32 s24, s19, exec_lo
	s_and_b32 s20, s20, exec_lo
	s_or_b32 s21, s21, s23
	s_or_b32 s20, s24, s20
                                        ; implicit-def: $vgpr1
                                        ; implicit-def: $vgpr180
                                        ; implicit-def: $vgpr2_vgpr3
.LBB25_4571:
	s_and_not1_saveexec_b32 s22, s22
	s_cbranch_execz .LBB25_4575
; %bb.4572:
	s_mov_b32 s24, -1
	s_mov_b32 s23, s20
	s_mov_b32 s25, exec_lo
	v_cmpx_eq_u16_e32 11, v1
	s_cbranch_execz .LBB25_4574
; %bb.4573:
	v_cmp_neq_f32_e32 vcc_lo, 0, v180
	s_xor_b32 s24, exec_lo, -1
	s_or_b32 s23, s20, exec_lo
	v_cndmask_b32_e64 v1, 0, 1, vcc_lo
	flat_store_b8 v[2:3], v1
.LBB25_4574:
	s_wait_xcnt 0x0
	s_or_b32 exec_lo, exec_lo, s25
	s_delay_alu instid0(SALU_CYCLE_1)
	s_and_not1_b32 s21, s21, exec_lo
	s_and_b32 s24, s24, exec_lo
	s_and_not1_b32 s20, s20, exec_lo
	s_and_b32 s23, s23, exec_lo
	s_or_b32 s21, s21, s24
	s_or_b32 s20, s20, s23
.LBB25_4575:
	s_or_b32 exec_lo, exec_lo, s22
	s_delay_alu instid0(SALU_CYCLE_1)
	s_and_not1_b32 s22, s16, exec_lo
	s_and_b32 s21, s21, exec_lo
	s_and_not1_b32 s19, s19, exec_lo
	s_and_b32 s23, s20, exec_lo
	s_or_b32 s20, s22, s21
	s_or_b32 s19, s19, s23
.LBB25_4576:
	s_or_b32 exec_lo, exec_lo, s18
	s_delay_alu instid0(SALU_CYCLE_1)
	s_and_not1_b32 s16, s16, exec_lo
	s_and_b32 s18, s20, exec_lo
	s_and_not1_b32 s0, s0, exec_lo
	s_and_b32 s19, s19, exec_lo
	s_or_b32 s16, s16, s18
	s_or_b32 s0, s0, s19
.LBB25_4577:
	s_or_b32 exec_lo, exec_lo, s17
	s_delay_alu instid0(SALU_CYCLE_1)
	s_and_not1_b32 s17, s11, exec_lo
	s_and_b32 s16, s16, exec_lo
	s_and_b32 s0, s0, exec_lo
	s_or_b32 s16, s17, s16
                                        ; implicit-def: $vgpr1
                                        ; implicit-def: $vgpr180
                                        ; implicit-def: $vgpr2_vgpr3
.LBB25_4578:
	s_and_not1_saveexec_b32 s13, s13
	s_cbranch_execz .LBB25_4620
; %bb.4579:
	s_mov_b32 s17, exec_lo
	v_cmpx_lt_i16_e32 4, v1
	s_xor_b32 s17, exec_lo, s17
	s_cbranch_execz .LBB25_4601
; %bb.4580:
	s_mov_b32 s18, exec_lo
	v_cmpx_lt_i16_e32 7, v1
	s_xor_b32 s18, exec_lo, s18
	;; [unrolled: 5-line block ×4, first 2 shown]
	s_cbranch_execz .LBB25_4584
; %bb.4583:
	v_cvt_f64_f32_e32 v[4:5], v180
	v_mov_b32_e32 v6, 0
                                        ; implicit-def: $vgpr180
	s_delay_alu instid0(VALU_DEP_1)
	v_mov_b32_e32 v7, v6
	flat_store_b128 v[2:3], v[4:7]
                                        ; implicit-def: $vgpr2_vgpr3
.LBB25_4584:
	s_wait_xcnt 0x0
	s_and_not1_saveexec_b32 s20, s20
	s_cbranch_execz .LBB25_4586
; %bb.4585:
	v_mov_b32_e32 v181, 0
	flat_store_b64 v[2:3], v[180:181]
.LBB25_4586:
	s_wait_xcnt 0x0
	s_or_b32 exec_lo, exec_lo, s20
                                        ; implicit-def: $vgpr180
                                        ; implicit-def: $vgpr2_vgpr3
.LBB25_4587:
	s_and_not1_saveexec_b32 s19, s19
	s_cbranch_execz .LBB25_4589
; %bb.4588:
	v_cvt_f16_f32_e64 v1, v180
	s_delay_alu instid0(VALU_DEP_1)
	v_and_b32_e32 v1, 0xffff, v1
	flat_store_b32 v[2:3], v1
.LBB25_4589:
	s_wait_xcnt 0x0
	s_or_b32 exec_lo, exec_lo, s19
                                        ; implicit-def: $vgpr180
                                        ; implicit-def: $vgpr2_vgpr3
                                        ; implicit-def: $vgpr1
.LBB25_4590:
	s_and_not1_saveexec_b32 s18, s18
	s_cbranch_execz .LBB25_4600
; %bb.4591:
	s_mov_b32 s19, exec_lo
	v_cmpx_lt_i16_e32 5, v1
	s_xor_b32 s19, exec_lo, s19
	s_cbranch_execz .LBB25_4597
; %bb.4592:
	s_mov_b32 s20, exec_lo
	v_cmpx_lt_i16_e32 6, v1
	s_xor_b32 s20, exec_lo, s20
	s_cbranch_execz .LBB25_4594
; %bb.4593:
	v_cvt_f64_f32_e32 v[4:5], v180
                                        ; implicit-def: $vgpr180
	flat_store_b64 v[2:3], v[4:5]
                                        ; implicit-def: $vgpr2_vgpr3
.LBB25_4594:
	s_wait_xcnt 0x0
	s_and_not1_saveexec_b32 s20, s20
	s_cbranch_execz .LBB25_4596
; %bb.4595:
	flat_store_b32 v[2:3], v180
.LBB25_4596:
	s_wait_xcnt 0x0
	s_or_b32 exec_lo, exec_lo, s20
                                        ; implicit-def: $vgpr180
                                        ; implicit-def: $vgpr2_vgpr3
.LBB25_4597:
	s_and_not1_saveexec_b32 s19, s19
	s_cbranch_execz .LBB25_4599
; %bb.4598:
	v_cvt_f16_f32_e64 v1, v180
	flat_store_b16 v[2:3], v1
.LBB25_4599:
	s_wait_xcnt 0x0
	s_or_b32 exec_lo, exec_lo, s19
.LBB25_4600:
	s_delay_alu instid0(SALU_CYCLE_1)
	s_or_b32 exec_lo, exec_lo, s18
                                        ; implicit-def: $vgpr1
                                        ; implicit-def: $vgpr180
                                        ; implicit-def: $vgpr2_vgpr3
.LBB25_4601:
	s_and_not1_saveexec_b32 s17, s17
	s_cbranch_execz .LBB25_4619
; %bb.4602:
	s_mov_b32 s18, exec_lo
	v_cmpx_lt_i16_e32 1, v1
	s_xor_b32 s18, exec_lo, s18
	s_cbranch_execz .LBB25_4612
; %bb.4603:
	s_mov_b32 s19, exec_lo
	v_cmpx_lt_i16_e32 2, v1
	s_xor_b32 s19, exec_lo, s19
	;; [unrolled: 5-line block ×3, first 2 shown]
	s_cbranch_execz .LBB25_4606
; %bb.4605:
	v_trunc_f32_e32 v1, v180
                                        ; implicit-def: $vgpr180
	s_delay_alu instid0(VALU_DEP_1) | instskip(NEXT) | instid1(VALU_DEP_1)
	v_mul_f32_e64 v4, 0x2f800000, |v1|
	v_floor_f32_e32 v5, v4
	v_ashrrev_i32_e32 v4, 31, v1
	s_delay_alu instid0(VALU_DEP_2) | instskip(SKIP_1) | instid1(VALU_DEP_3)
	v_fma_f32 v6, 0xcf800000, v5, |v1|
	v_cvt_u32_f32_e32 v1, v5
	v_mov_b32_e32 v5, v4
	s_delay_alu instid0(VALU_DEP_3) | instskip(NEXT) | instid1(VALU_DEP_3)
	v_cvt_u32_f32_e32 v6, v6
	v_xor_b32_e32 v7, v1, v4
	s_delay_alu instid0(VALU_DEP_2) | instskip(NEXT) | instid1(VALU_DEP_1)
	v_xor_b32_e32 v6, v6, v4
	v_sub_nc_u64_e32 v[4:5], v[6:7], v[4:5]
	flat_store_b64 v[2:3], v[4:5]
                                        ; implicit-def: $vgpr2_vgpr3
.LBB25_4606:
	s_wait_xcnt 0x0
	s_and_not1_saveexec_b32 s20, s20
	s_cbranch_execz .LBB25_4608
; %bb.4607:
	v_cvt_i32_f32_e32 v1, v180
	flat_store_b32 v[2:3], v1
.LBB25_4608:
	s_wait_xcnt 0x0
	s_or_b32 exec_lo, exec_lo, s20
                                        ; implicit-def: $vgpr180
                                        ; implicit-def: $vgpr2_vgpr3
.LBB25_4609:
	s_and_not1_saveexec_b32 s19, s19
	s_cbranch_execz .LBB25_4611
; %bb.4610:
	v_cvt_i32_f32_e32 v1, v180
	flat_store_b16 v[2:3], v1
.LBB25_4611:
	s_wait_xcnt 0x0
	s_or_b32 exec_lo, exec_lo, s19
                                        ; implicit-def: $vgpr180
                                        ; implicit-def: $vgpr2_vgpr3
                                        ; implicit-def: $vgpr1
.LBB25_4612:
	s_and_not1_saveexec_b32 s18, s18
	s_cbranch_execz .LBB25_4618
; %bb.4613:
	s_mov_b32 s19, exec_lo
	v_cmpx_lt_i16_e32 0, v1
	s_xor_b32 s19, exec_lo, s19
	s_cbranch_execz .LBB25_4615
; %bb.4614:
	v_cvt_i32_f32_e32 v1, v180
                                        ; implicit-def: $vgpr180
	flat_store_b8 v[2:3], v1
                                        ; implicit-def: $vgpr2_vgpr3
.LBB25_4615:
	s_wait_xcnt 0x0
	s_and_not1_saveexec_b32 s19, s19
	s_cbranch_execz .LBB25_4617
; %bb.4616:
	v_trunc_f32_e32 v1, v180
	s_delay_alu instid0(VALU_DEP_1) | instskip(NEXT) | instid1(VALU_DEP_1)
	v_mul_f32_e64 v4, 0x2f800000, |v1|
	v_floor_f32_e32 v4, v4
	s_delay_alu instid0(VALU_DEP_1) | instskip(SKIP_1) | instid1(VALU_DEP_2)
	v_fma_f32 v4, 0xcf800000, v4, |v1|
	v_ashrrev_i32_e32 v1, 31, v1
	v_cvt_u32_f32_e32 v4, v4
	s_delay_alu instid0(VALU_DEP_1) | instskip(NEXT) | instid1(VALU_DEP_1)
	v_xor_b32_e32 v4, v4, v1
	v_sub_nc_u32_e32 v1, v4, v1
	flat_store_b8 v[2:3], v1
.LBB25_4617:
	s_wait_xcnt 0x0
	s_or_b32 exec_lo, exec_lo, s19
.LBB25_4618:
	s_delay_alu instid0(SALU_CYCLE_1)
	s_or_b32 exec_lo, exec_lo, s18
.LBB25_4619:
	s_delay_alu instid0(SALU_CYCLE_1) | instskip(NEXT) | instid1(SALU_CYCLE_1)
	s_or_b32 exec_lo, exec_lo, s17
	s_or_b32 s0, s0, exec_lo
.LBB25_4620:
	s_or_b32 exec_lo, exec_lo, s13
	s_mov_b32 s17, 0
	s_mov_b32 s13, 0
	s_and_saveexec_b32 s18, s0
; %bb.4621:
	v_add_nc_u32_e32 v209, 0x200, v209
	s_mov_b32 s17, exec_lo
	s_delay_alu instid0(VALU_DEP_1)
	v_cmp_lt_i32_e32 vcc_lo, v209, v211
	s_and_b32 s13, vcc_lo, exec_lo
; %bb.4622:
	s_or_b32 exec_lo, exec_lo, s18
	s_delay_alu instid0(SALU_CYCLE_1)
	s_and_not1_b32 s0, s11, exec_lo
	s_and_b32 s16, s16, exec_lo
	s_and_b32 s18, s13, exec_lo
	s_or_b32 s13, s0, s16
	s_or_not1_b32 s17, s17, exec_lo
.LBB25_4623:
	s_or_b32 exec_lo, exec_lo, s14
	s_mov_b32 s0, 0
	s_mov_b32 s16, 0
                                        ; implicit-def: $vgpr4
                                        ; implicit-def: $vgpr2_vgpr3
	s_and_saveexec_b32 s14, s17
	s_cbranch_execz .LBB25_7825
; %bb.4624:
	s_mov_b32 s19, -1
	s_mov_b32 s17, 0
	s_mov_b32 s15, s13
	s_and_saveexec_b32 s16, s18
	s_cbranch_execz .LBB25_4752
; %bb.4625:
	v_dual_add_nc_u32 v1, s60, v209 :: v_dual_mov_b32 v3, 0
	s_mov_b32 s18, s13
	s_mov_b32 s15, exec_lo
	s_delay_alu instid0(VALU_DEP_1) | instskip(SKIP_1) | instid1(VALU_DEP_2)
	v_mul_lo_u32 v2, v1, v210
	v_and_b32_e32 v1, 0xff, v85
	v_add_nc_u64_e32 v[2:3], v[212:213], v[2:3]
	s_delay_alu instid0(VALU_DEP_2)
	v_cmpx_lt_i16_e32 10, v1
	s_xor_b32 s15, exec_lo, s15
	s_cbranch_execz .LBB25_4707
; %bb.4626:
	s_mov_b32 s18, s13
	s_mov_b32 s19, exec_lo
	v_cmpx_lt_i16_e32 25, v1
	s_xor_b32 s19, exec_lo, s19
	s_cbranch_execz .LBB25_4662
; %bb.4627:
	s_mov_b32 s20, s13
	s_mov_b32 s18, exec_lo
	;; [unrolled: 6-line block ×3, first 2 shown]
	v_cmpx_lt_i16_e32 43, v1
	s_xor_b32 s20, exec_lo, s20
	s_cbranch_execz .LBB25_4640
; %bb.4629:
	s_mov_b32 s21, 0
	s_mov_b32 s22, s13
	s_mov_b32 s0, exec_lo
	v_cmpx_lt_i16_e32 45, v1
	s_xor_b32 s0, exec_lo, s0
	s_cbranch_execz .LBB25_4633
; %bb.4630:
	s_mov_b32 s23, -1
	s_mov_b32 s22, exec_lo
	v_cmpx_eq_u16_e32 46, v1
	s_cbranch_execz .LBB25_4632
; %bb.4631:
	v_bfe_u32 v1, v178, 16, 1
	v_cmp_o_f32_e32 vcc_lo, v178, v178
	s_mov_b32 s21, exec_lo
	s_xor_b32 s23, exec_lo, -1
	s_delay_alu instid0(VALU_DEP_2) | instskip(NEXT) | instid1(VALU_DEP_1)
	v_add3_u32 v1, v178, v1, 0x7fff
	v_lshrrev_b32_e32 v1, 16, v1
	s_delay_alu instid0(VALU_DEP_1)
	v_cndmask_b32_e32 v1, 0x7fc0, v1, vcc_lo
	flat_store_b32 v[2:3], v1
.LBB25_4632:
	s_wait_xcnt 0x0
	s_or_b32 exec_lo, exec_lo, s22
	s_delay_alu instid0(SALU_CYCLE_1)
	s_and_not1_b32 s22, s13, exec_lo
	s_and_b32 s23, s23, exec_lo
	s_and_b32 s21, s21, exec_lo
	s_or_b32 s22, s22, s23
                                        ; implicit-def: $vgpr1
                                        ; implicit-def: $vgpr2_vgpr3
                                        ; implicit-def: $vgpr178
.LBB25_4633:
	s_and_not1_saveexec_b32 s23, s0
	s_cbranch_execz .LBB25_4639
; %bb.4634:
	s_mov_b32 s25, -1
	s_mov_b32 s0, s21
	s_mov_b32 s24, exec_lo
	v_cmpx_eq_u16_e32 44, v1
	s_cbranch_execz .LBB25_4638
; %bb.4635:
	v_bfe_u32 v4, v178, 23, 8
	v_mov_b32_e32 v1, 0xff
	s_mov_b32 s25, exec_lo
	s_delay_alu instid0(VALU_DEP_2)
	v_cmpx_ne_u32_e32 0xff, v4
	s_cbranch_execz .LBB25_4637
; %bb.4636:
	v_and_b32_e32 v1, 0x400000, v178
	v_and_or_b32 v4, 0x3fffff, v178, v4
	s_delay_alu instid0(VALU_DEP_2) | instskip(NEXT) | instid1(VALU_DEP_2)
	v_cmp_ne_u32_e32 vcc_lo, 0, v1
	v_cmp_ne_u32_e64 s0, 0, v4
	v_lshrrev_b32_e32 v1, 23, v178
	s_and_b32 s0, vcc_lo, s0
	s_delay_alu instid0(SALU_CYCLE_1) | instskip(NEXT) | instid1(VALU_DEP_1)
	v_cndmask_b32_e64 v4, 0, 1, s0
	v_add_nc_u32_e32 v1, v1, v4
.LBB25_4637:
	s_or_b32 exec_lo, exec_lo, s25
	s_delay_alu instid0(SALU_CYCLE_1)
	s_xor_b32 s25, exec_lo, -1
	s_or_b32 s0, s21, exec_lo
	flat_store_b8 v[2:3], v1
.LBB25_4638:
	s_wait_xcnt 0x0
	s_or_b32 exec_lo, exec_lo, s24
	s_delay_alu instid0(SALU_CYCLE_1)
	s_and_not1_b32 s22, s22, exec_lo
	s_and_b32 s24, s25, exec_lo
	s_and_not1_b32 s21, s21, exec_lo
	s_and_b32 s0, s0, exec_lo
	s_or_b32 s22, s22, s24
	s_or_b32 s21, s21, s0
.LBB25_4639:
	s_or_b32 exec_lo, exec_lo, s23
	s_delay_alu instid0(SALU_CYCLE_1) | instskip(SKIP_1) | instid1(SALU_CYCLE_1)
	s_and_not1_b32 s0, s13, exec_lo
	s_and_b32 s22, s22, exec_lo
                                        ; implicit-def: $vgpr1
                                        ; implicit-def: $vgpr178
                                        ; implicit-def: $vgpr2_vgpr3
	s_or_b32 s22, s0, s22
	s_and_b32 s0, s21, exec_lo
.LBB25_4640:
	s_and_not1_saveexec_b32 s20, s20
	s_cbranch_execz .LBB25_4644
; %bb.4641:
	s_mov_b32 s24, -1
	s_mov_b32 s23, s0
	s_mov_b32 s21, exec_lo
	v_cmpx_eq_u16_e32 29, v1
	s_cbranch_execz .LBB25_4643
; %bb.4642:
	v_trunc_f32_e32 v1, v178
	s_xor_b32 s24, exec_lo, -1
	s_or_b32 s23, s0, exec_lo
	s_delay_alu instid0(VALU_DEP_1) | instskip(NEXT) | instid1(VALU_DEP_1)
	v_mul_f32_e32 v4, 0x2f800000, v1
	v_floor_f32_e32 v4, v4
	s_delay_alu instid0(VALU_DEP_1) | instskip(SKIP_1) | instid1(VALU_DEP_2)
	v_fmamk_f32 v1, v4, 0xcf800000, v1
	v_cvt_u32_f32_e32 v5, v4
	v_cvt_u32_f32_e32 v4, v1
	flat_store_b64 v[2:3], v[4:5]
.LBB25_4643:
	s_wait_xcnt 0x0
	s_or_b32 exec_lo, exec_lo, s21
	s_delay_alu instid0(SALU_CYCLE_1)
	s_and_not1_b32 s21, s22, exec_lo
	s_and_b32 s22, s24, exec_lo
	s_and_not1_b32 s0, s0, exec_lo
	s_and_b32 s23, s23, exec_lo
	s_or_b32 s22, s21, s22
	s_or_b32 s0, s0, s23
.LBB25_4644:
	s_or_b32 exec_lo, exec_lo, s20
	s_delay_alu instid0(SALU_CYCLE_1)
	s_and_not1_b32 s20, s13, exec_lo
	s_and_b32 s21, s22, exec_lo
	s_and_b32 s0, s0, exec_lo
	s_or_b32 s20, s20, s21
                                        ; implicit-def: $vgpr2_vgpr3
                                        ; implicit-def: $vgpr1
                                        ; implicit-def: $vgpr178
.LBB25_4645:
	s_and_not1_saveexec_b32 s18, s18
	s_cbranch_execz .LBB25_4661
; %bb.4646:
	s_mov_b32 s21, exec_lo
	v_cmpx_lt_i16_e32 26, v1
	s_xor_b32 s21, exec_lo, s21
	s_cbranch_execz .LBB25_4652
; %bb.4647:
	v_cmp_lt_i16_e32 vcc_lo, 27, v1
	v_cvt_u32_f32_e32 v1, v178
	s_and_saveexec_b32 s22, vcc_lo
	s_delay_alu instid0(SALU_CYCLE_1)
	s_xor_b32 s22, exec_lo, s22
	s_cbranch_execz .LBB25_4649
; %bb.4648:
	flat_store_b32 v[2:3], v1
                                        ; implicit-def: $vgpr2_vgpr3
                                        ; implicit-def: $vgpr1
.LBB25_4649:
	s_wait_xcnt 0x0
	s_and_not1_saveexec_b32 s22, s22
	s_cbranch_execz .LBB25_4651
; %bb.4650:
	flat_store_b16 v[2:3], v1
.LBB25_4651:
	s_wait_xcnt 0x0
	s_or_b32 exec_lo, exec_lo, s22
                                        ; implicit-def: $vgpr2_vgpr3
                                        ; implicit-def: $vgpr178
.LBB25_4652:
	s_and_not1_saveexec_b32 s21, s21
	s_cbranch_execz .LBB25_4660
; %bb.4653:
	v_and_b32_e32 v1, 0x7fffffff, v178
	v_mov_b32_e32 v4, 0x80
	s_mov_b32 s22, exec_lo
	s_delay_alu instid0(VALU_DEP_2)
	v_cmpx_gt_u32_e32 0x43800000, v1
	s_cbranch_execz .LBB25_4659
; %bb.4654:
	v_cmp_lt_u32_e32 vcc_lo, 0x3bffffff, v1
	s_mov_b32 s23, 0
                                        ; implicit-def: $vgpr1
	s_and_saveexec_b32 s24, vcc_lo
	s_delay_alu instid0(SALU_CYCLE_1)
	s_xor_b32 s24, exec_lo, s24
	s_cbranch_execnz .LBB25_7907
; %bb.4655:
	s_and_not1_saveexec_b32 s24, s24
	s_cbranch_execnz .LBB25_7908
.LBB25_4656:
	s_or_b32 exec_lo, exec_lo, s24
	v_mov_b32_e32 v4, 0
	s_and_saveexec_b32 s24, s23
.LBB25_4657:
	v_lshrrev_b32_e32 v4, 24, v178
	s_delay_alu instid0(VALU_DEP_1)
	v_and_or_b32 v4, 0x80, v4, v1
.LBB25_4658:
	s_or_b32 exec_lo, exec_lo, s24
.LBB25_4659:
	s_delay_alu instid0(SALU_CYCLE_1)
	s_or_b32 exec_lo, exec_lo, s22
	flat_store_b8 v[2:3], v4
.LBB25_4660:
	s_wait_xcnt 0x0
	s_or_b32 exec_lo, exec_lo, s21
	s_delay_alu instid0(SALU_CYCLE_1)
	s_or_b32 s0, s0, exec_lo
.LBB25_4661:
	s_or_b32 exec_lo, exec_lo, s18
	s_delay_alu instid0(SALU_CYCLE_1)
	s_and_not1_b32 s18, s13, exec_lo
	s_and_b32 s20, s20, exec_lo
	s_and_b32 s0, s0, exec_lo
	s_or_b32 s18, s18, s20
                                        ; implicit-def: $vgpr1
                                        ; implicit-def: $vgpr178
                                        ; implicit-def: $vgpr2_vgpr3
.LBB25_4662:
	s_and_not1_saveexec_b32 s19, s19
	s_cbranch_execz .LBB25_4706
; %bb.4663:
	s_mov_b32 s21, s0
	s_mov_b32 s20, exec_lo
	v_cmpx_lt_i16_e32 22, v1
	s_xor_b32 s20, exec_lo, s20
	s_cbranch_execz .LBB25_4695
; %bb.4664:
	s_mov_b32 s21, exec_lo
	v_cmpx_lt_i16_e32 23, v1
	s_xor_b32 s21, exec_lo, s21
	s_cbranch_execz .LBB25_4684
; %bb.4665:
	;; [unrolled: 5-line block ×3, first 2 shown]
	v_and_b32_e32 v1, 0x7fffffff, v178
	v_mov_b32_e32 v4, 0x80
	s_mov_b32 s23, exec_lo
	s_delay_alu instid0(VALU_DEP_2)
	v_cmpx_gt_u32_e32 0x47800000, v1
	s_cbranch_execz .LBB25_4672
; %bb.4667:
	v_cmp_lt_u32_e32 vcc_lo, 0x37ffffff, v1
	s_mov_b32 s24, 0
                                        ; implicit-def: $vgpr1
	s_and_saveexec_b32 s25, vcc_lo
	s_delay_alu instid0(SALU_CYCLE_1)
	s_xor_b32 s25, exec_lo, s25
	s_cbranch_execnz .LBB25_7909
; %bb.4668:
	s_and_not1_saveexec_b32 s25, s25
	s_cbranch_execnz .LBB25_7910
.LBB25_4669:
	s_or_b32 exec_lo, exec_lo, s25
	v_mov_b32_e32 v4, 0
	s_and_saveexec_b32 s25, s24
.LBB25_4670:
	v_lshrrev_b32_e32 v4, 24, v178
	s_delay_alu instid0(VALU_DEP_1)
	v_and_or_b32 v4, 0x80, v4, v1
.LBB25_4671:
	s_or_b32 exec_lo, exec_lo, s25
.LBB25_4672:
	s_delay_alu instid0(SALU_CYCLE_1)
	s_or_b32 exec_lo, exec_lo, s23
	flat_store_b8 v[2:3], v4
                                        ; implicit-def: $vgpr178
                                        ; implicit-def: $vgpr2_vgpr3
.LBB25_4673:
	s_wait_xcnt 0x0
	s_and_not1_saveexec_b32 s22, s22
	s_cbranch_execz .LBB25_4683
; %bb.4674:
	v_and_b32_e32 v4, 0x7fffffff, v178
	s_mov_b32 s23, exec_lo
                                        ; implicit-def: $vgpr1
	s_delay_alu instid0(VALU_DEP_1)
	v_cmpx_gt_u32_e32 0x43f00000, v4
	s_xor_b32 s23, exec_lo, s23
	s_cbranch_execz .LBB25_4680
; %bb.4675:
	s_mov_b32 s24, exec_lo
                                        ; implicit-def: $vgpr1
	v_cmpx_lt_u32_e32 0x3c7fffff, v4
	s_xor_b32 s24, exec_lo, s24
; %bb.4676:
	v_bfe_u32 v1, v178, 20, 1
	s_delay_alu instid0(VALU_DEP_1) | instskip(NEXT) | instid1(VALU_DEP_1)
	v_add3_u32 v1, v178, v1, 0x407ffff
	v_and_b32_e32 v4, 0xff00000, v1
	v_lshrrev_b32_e32 v1, 20, v1
	s_delay_alu instid0(VALU_DEP_2) | instskip(NEXT) | instid1(VALU_DEP_2)
	v_cmp_ne_u32_e32 vcc_lo, 0x7f00000, v4
	v_cndmask_b32_e32 v1, 0x7e, v1, vcc_lo
; %bb.4677:
	s_and_not1_saveexec_b32 s24, s24
; %bb.4678:
	v_add_f32_e64 v1, 0x46800000, |v178|
; %bb.4679:
	s_or_b32 exec_lo, exec_lo, s24
                                        ; implicit-def: $vgpr4
.LBB25_4680:
	s_and_not1_saveexec_b32 s23, s23
; %bb.4681:
	v_mov_b32_e32 v1, 0x7f
	v_cmp_lt_u32_e32 vcc_lo, 0x7f800000, v4
	s_delay_alu instid0(VALU_DEP_2)
	v_cndmask_b32_e32 v1, 0x7e, v1, vcc_lo
; %bb.4682:
	s_or_b32 exec_lo, exec_lo, s23
	v_lshrrev_b32_e32 v4, 24, v178
	s_delay_alu instid0(VALU_DEP_1)
	v_and_or_b32 v1, 0x80, v4, v1
	flat_store_b8 v[2:3], v1
.LBB25_4683:
	s_wait_xcnt 0x0
	s_or_b32 exec_lo, exec_lo, s22
                                        ; implicit-def: $vgpr178
                                        ; implicit-def: $vgpr2_vgpr3
.LBB25_4684:
	s_and_not1_saveexec_b32 s21, s21
	s_cbranch_execz .LBB25_4694
; %bb.4685:
	v_and_b32_e32 v4, 0x7fffffff, v178
	s_mov_b32 s22, exec_lo
                                        ; implicit-def: $vgpr1
	s_delay_alu instid0(VALU_DEP_1)
	v_cmpx_gt_u32_e32 0x47800000, v4
	s_xor_b32 s22, exec_lo, s22
	s_cbranch_execz .LBB25_4691
; %bb.4686:
	s_mov_b32 s23, exec_lo
                                        ; implicit-def: $vgpr1
	v_cmpx_lt_u32_e32 0x387fffff, v4
	s_xor_b32 s23, exec_lo, s23
; %bb.4687:
	v_bfe_u32 v1, v178, 21, 1
	s_delay_alu instid0(VALU_DEP_1) | instskip(NEXT) | instid1(VALU_DEP_1)
	v_add3_u32 v1, v178, v1, 0x80fffff
	v_lshrrev_b32_e32 v1, 21, v1
; %bb.4688:
	s_and_not1_saveexec_b32 s23, s23
; %bb.4689:
	v_add_f32_e64 v1, 0x43000000, |v178|
; %bb.4690:
	s_or_b32 exec_lo, exec_lo, s23
                                        ; implicit-def: $vgpr4
.LBB25_4691:
	s_and_not1_saveexec_b32 s22, s22
; %bb.4692:
	v_mov_b32_e32 v1, 0x7f
	v_cmp_lt_u32_e32 vcc_lo, 0x7f800000, v4
	s_delay_alu instid0(VALU_DEP_2)
	v_cndmask_b32_e32 v1, 0x7c, v1, vcc_lo
; %bb.4693:
	s_or_b32 exec_lo, exec_lo, s22
	v_lshrrev_b32_e32 v4, 24, v178
	s_delay_alu instid0(VALU_DEP_1)
	v_and_or_b32 v1, 0x80, v4, v1
	flat_store_b8 v[2:3], v1
.LBB25_4694:
	s_wait_xcnt 0x0
	s_or_b32 exec_lo, exec_lo, s21
	s_delay_alu instid0(SALU_CYCLE_1)
	s_or_b32 s21, s0, exec_lo
                                        ; implicit-def: $vgpr1
                                        ; implicit-def: $vgpr178
                                        ; implicit-def: $vgpr2_vgpr3
.LBB25_4695:
	s_or_saveexec_b32 s20, s20
	s_mov_b32 s22, s18
	s_xor_b32 exec_lo, exec_lo, s20
	s_cbranch_execz .LBB25_4705
; %bb.4696:
	s_mov_b32 s22, s21
	s_mov_b32 s23, s18
	s_mov_b32 s24, exec_lo
	v_cmpx_lt_i16_e32 14, v1
	s_xor_b32 s24, exec_lo, s24
	s_cbranch_execz .LBB25_4700
; %bb.4697:
	s_mov_b32 s25, -1
	s_mov_b32 s22, s21
	s_mov_b32 s23, exec_lo
	v_cmpx_eq_u16_e32 15, v1
	s_cbranch_execz .LBB25_4699
; %bb.4698:
	v_bfe_u32 v1, v178, 16, 1
	v_cmp_o_f32_e32 vcc_lo, v178, v178
	s_xor_b32 s25, exec_lo, -1
	s_or_b32 s22, s21, exec_lo
	s_delay_alu instid0(VALU_DEP_2) | instskip(NEXT) | instid1(VALU_DEP_1)
	v_add3_u32 v1, v178, v1, 0x7fff
	v_lshrrev_b32_e32 v1, 16, v1
	s_delay_alu instid0(VALU_DEP_1)
	v_cndmask_b32_e32 v1, 0x7fc0, v1, vcc_lo
	flat_store_b16 v[2:3], v1
.LBB25_4699:
	s_wait_xcnt 0x0
	s_or_b32 exec_lo, exec_lo, s23
	s_delay_alu instid0(SALU_CYCLE_1)
	s_and_not1_b32 s23, s18, exec_lo
	s_and_b32 s25, s25, exec_lo
	s_and_not1_b32 s26, s21, exec_lo
	s_and_b32 s22, s22, exec_lo
	s_or_b32 s23, s23, s25
	s_or_b32 s22, s26, s22
                                        ; implicit-def: $vgpr1
                                        ; implicit-def: $vgpr178
                                        ; implicit-def: $vgpr2_vgpr3
.LBB25_4700:
	s_and_not1_saveexec_b32 s24, s24
	s_cbranch_execz .LBB25_4704
; %bb.4701:
	s_mov_b32 s26, -1
	s_mov_b32 s25, s22
	s_mov_b32 s27, exec_lo
	v_cmpx_eq_u16_e32 11, v1
	s_cbranch_execz .LBB25_4703
; %bb.4702:
	v_cmp_neq_f32_e32 vcc_lo, 0, v178
	s_xor_b32 s26, exec_lo, -1
	s_or_b32 s25, s22, exec_lo
	v_cndmask_b32_e64 v1, 0, 1, vcc_lo
	flat_store_b8 v[2:3], v1
.LBB25_4703:
	s_wait_xcnt 0x0
	s_or_b32 exec_lo, exec_lo, s27
	s_delay_alu instid0(SALU_CYCLE_1)
	s_and_not1_b32 s23, s23, exec_lo
	s_and_b32 s26, s26, exec_lo
	s_and_not1_b32 s22, s22, exec_lo
	s_and_b32 s25, s25, exec_lo
	s_or_b32 s23, s23, s26
	s_or_b32 s22, s22, s25
.LBB25_4704:
	s_or_b32 exec_lo, exec_lo, s24
	s_delay_alu instid0(SALU_CYCLE_1)
	s_and_not1_b32 s24, s18, exec_lo
	s_and_b32 s23, s23, exec_lo
	s_and_not1_b32 s21, s21, exec_lo
	s_and_b32 s25, s22, exec_lo
	s_or_b32 s22, s24, s23
	s_or_b32 s21, s21, s25
.LBB25_4705:
	s_or_b32 exec_lo, exec_lo, s20
	s_delay_alu instid0(SALU_CYCLE_1)
	s_and_not1_b32 s18, s18, exec_lo
	s_and_b32 s20, s22, exec_lo
	s_and_not1_b32 s0, s0, exec_lo
	s_and_b32 s21, s21, exec_lo
	s_or_b32 s18, s18, s20
	s_or_b32 s0, s0, s21
.LBB25_4706:
	s_or_b32 exec_lo, exec_lo, s19
	s_delay_alu instid0(SALU_CYCLE_1)
	s_and_not1_b32 s19, s13, exec_lo
	s_and_b32 s18, s18, exec_lo
	s_and_b32 s0, s0, exec_lo
	s_or_b32 s18, s19, s18
                                        ; implicit-def: $vgpr1
                                        ; implicit-def: $vgpr178
                                        ; implicit-def: $vgpr2_vgpr3
.LBB25_4707:
	s_and_not1_saveexec_b32 s15, s15
	s_cbranch_execz .LBB25_4749
; %bb.4708:
	s_mov_b32 s19, exec_lo
	v_cmpx_lt_i16_e32 4, v1
	s_xor_b32 s19, exec_lo, s19
	s_cbranch_execz .LBB25_4730
; %bb.4709:
	s_mov_b32 s20, exec_lo
	v_cmpx_lt_i16_e32 7, v1
	s_xor_b32 s20, exec_lo, s20
	;; [unrolled: 5-line block ×4, first 2 shown]
	s_cbranch_execz .LBB25_4713
; %bb.4712:
	v_cvt_f64_f32_e32 v[4:5], v178
	v_mov_b32_e32 v6, 0
                                        ; implicit-def: $vgpr178
	s_delay_alu instid0(VALU_DEP_1)
	v_mov_b32_e32 v7, v6
	flat_store_b128 v[2:3], v[4:7]
                                        ; implicit-def: $vgpr2_vgpr3
.LBB25_4713:
	s_wait_xcnt 0x0
	s_and_not1_saveexec_b32 s22, s22
	s_cbranch_execz .LBB25_4715
; %bb.4714:
	v_mov_b32_e32 v179, 0
	flat_store_b64 v[2:3], v[178:179]
.LBB25_4715:
	s_wait_xcnt 0x0
	s_or_b32 exec_lo, exec_lo, s22
                                        ; implicit-def: $vgpr178
                                        ; implicit-def: $vgpr2_vgpr3
.LBB25_4716:
	s_and_not1_saveexec_b32 s21, s21
	s_cbranch_execz .LBB25_4718
; %bb.4717:
	v_cvt_f16_f32_e64 v1, v178
	s_delay_alu instid0(VALU_DEP_1)
	v_and_b32_e32 v1, 0xffff, v1
	flat_store_b32 v[2:3], v1
.LBB25_4718:
	s_wait_xcnt 0x0
	s_or_b32 exec_lo, exec_lo, s21
                                        ; implicit-def: $vgpr178
                                        ; implicit-def: $vgpr2_vgpr3
                                        ; implicit-def: $vgpr1
.LBB25_4719:
	s_and_not1_saveexec_b32 s20, s20
	s_cbranch_execz .LBB25_4729
; %bb.4720:
	s_mov_b32 s21, exec_lo
	v_cmpx_lt_i16_e32 5, v1
	s_xor_b32 s21, exec_lo, s21
	s_cbranch_execz .LBB25_4726
; %bb.4721:
	s_mov_b32 s22, exec_lo
	v_cmpx_lt_i16_e32 6, v1
	s_xor_b32 s22, exec_lo, s22
	s_cbranch_execz .LBB25_4723
; %bb.4722:
	v_cvt_f64_f32_e32 v[4:5], v178
                                        ; implicit-def: $vgpr178
	flat_store_b64 v[2:3], v[4:5]
                                        ; implicit-def: $vgpr2_vgpr3
.LBB25_4723:
	s_wait_xcnt 0x0
	s_and_not1_saveexec_b32 s22, s22
	s_cbranch_execz .LBB25_4725
; %bb.4724:
	flat_store_b32 v[2:3], v178
.LBB25_4725:
	s_wait_xcnt 0x0
	s_or_b32 exec_lo, exec_lo, s22
                                        ; implicit-def: $vgpr178
                                        ; implicit-def: $vgpr2_vgpr3
.LBB25_4726:
	s_and_not1_saveexec_b32 s21, s21
	s_cbranch_execz .LBB25_4728
; %bb.4727:
	v_cvt_f16_f32_e64 v1, v178
	flat_store_b16 v[2:3], v1
.LBB25_4728:
	s_wait_xcnt 0x0
	s_or_b32 exec_lo, exec_lo, s21
.LBB25_4729:
	s_delay_alu instid0(SALU_CYCLE_1)
	s_or_b32 exec_lo, exec_lo, s20
                                        ; implicit-def: $vgpr1
                                        ; implicit-def: $vgpr178
                                        ; implicit-def: $vgpr2_vgpr3
.LBB25_4730:
	s_and_not1_saveexec_b32 s19, s19
	s_cbranch_execz .LBB25_4748
; %bb.4731:
	s_mov_b32 s20, exec_lo
	v_cmpx_lt_i16_e32 1, v1
	s_xor_b32 s20, exec_lo, s20
	s_cbranch_execz .LBB25_4741
; %bb.4732:
	s_mov_b32 s21, exec_lo
	v_cmpx_lt_i16_e32 2, v1
	s_xor_b32 s21, exec_lo, s21
	;; [unrolled: 5-line block ×3, first 2 shown]
	s_cbranch_execz .LBB25_4735
; %bb.4734:
	v_trunc_f32_e32 v1, v178
                                        ; implicit-def: $vgpr178
	s_delay_alu instid0(VALU_DEP_1) | instskip(NEXT) | instid1(VALU_DEP_1)
	v_mul_f32_e64 v4, 0x2f800000, |v1|
	v_floor_f32_e32 v5, v4
	v_ashrrev_i32_e32 v4, 31, v1
	s_delay_alu instid0(VALU_DEP_2) | instskip(SKIP_1) | instid1(VALU_DEP_3)
	v_fma_f32 v6, 0xcf800000, v5, |v1|
	v_cvt_u32_f32_e32 v1, v5
	v_mov_b32_e32 v5, v4
	s_delay_alu instid0(VALU_DEP_3) | instskip(NEXT) | instid1(VALU_DEP_3)
	v_cvt_u32_f32_e32 v6, v6
	v_xor_b32_e32 v7, v1, v4
	s_delay_alu instid0(VALU_DEP_2) | instskip(NEXT) | instid1(VALU_DEP_1)
	v_xor_b32_e32 v6, v6, v4
	v_sub_nc_u64_e32 v[4:5], v[6:7], v[4:5]
	flat_store_b64 v[2:3], v[4:5]
                                        ; implicit-def: $vgpr2_vgpr3
.LBB25_4735:
	s_wait_xcnt 0x0
	s_and_not1_saveexec_b32 s22, s22
	s_cbranch_execz .LBB25_4737
; %bb.4736:
	v_cvt_i32_f32_e32 v1, v178
	flat_store_b32 v[2:3], v1
.LBB25_4737:
	s_wait_xcnt 0x0
	s_or_b32 exec_lo, exec_lo, s22
                                        ; implicit-def: $vgpr178
                                        ; implicit-def: $vgpr2_vgpr3
.LBB25_4738:
	s_and_not1_saveexec_b32 s21, s21
	s_cbranch_execz .LBB25_4740
; %bb.4739:
	v_cvt_i32_f32_e32 v1, v178
	flat_store_b16 v[2:3], v1
.LBB25_4740:
	s_wait_xcnt 0x0
	s_or_b32 exec_lo, exec_lo, s21
                                        ; implicit-def: $vgpr178
                                        ; implicit-def: $vgpr2_vgpr3
                                        ; implicit-def: $vgpr1
.LBB25_4741:
	s_and_not1_saveexec_b32 s20, s20
	s_cbranch_execz .LBB25_4747
; %bb.4742:
	s_mov_b32 s21, exec_lo
	v_cmpx_lt_i16_e32 0, v1
	s_xor_b32 s21, exec_lo, s21
	s_cbranch_execz .LBB25_4744
; %bb.4743:
	v_cvt_i32_f32_e32 v1, v178
                                        ; implicit-def: $vgpr178
	flat_store_b8 v[2:3], v1
                                        ; implicit-def: $vgpr2_vgpr3
.LBB25_4744:
	s_wait_xcnt 0x0
	s_and_not1_saveexec_b32 s21, s21
	s_cbranch_execz .LBB25_4746
; %bb.4745:
	v_trunc_f32_e32 v1, v178
	s_delay_alu instid0(VALU_DEP_1) | instskip(NEXT) | instid1(VALU_DEP_1)
	v_mul_f32_e64 v4, 0x2f800000, |v1|
	v_floor_f32_e32 v4, v4
	s_delay_alu instid0(VALU_DEP_1) | instskip(SKIP_1) | instid1(VALU_DEP_2)
	v_fma_f32 v4, 0xcf800000, v4, |v1|
	v_ashrrev_i32_e32 v1, 31, v1
	v_cvt_u32_f32_e32 v4, v4
	s_delay_alu instid0(VALU_DEP_1) | instskip(NEXT) | instid1(VALU_DEP_1)
	v_xor_b32_e32 v4, v4, v1
	v_sub_nc_u32_e32 v1, v4, v1
	flat_store_b8 v[2:3], v1
.LBB25_4746:
	s_wait_xcnt 0x0
	s_or_b32 exec_lo, exec_lo, s21
.LBB25_4747:
	s_delay_alu instid0(SALU_CYCLE_1)
	s_or_b32 exec_lo, exec_lo, s20
.LBB25_4748:
	s_delay_alu instid0(SALU_CYCLE_1) | instskip(NEXT) | instid1(SALU_CYCLE_1)
	s_or_b32 exec_lo, exec_lo, s19
	s_or_b32 s0, s0, exec_lo
.LBB25_4749:
	s_or_b32 exec_lo, exec_lo, s15
	s_mov_b32 s19, 0
	s_mov_b32 s15, 0
	s_and_saveexec_b32 s20, s0
; %bb.4750:
	v_add_nc_u32_e32 v209, 0x200, v209
	s_mov_b32 s19, exec_lo
	s_delay_alu instid0(VALU_DEP_1)
	v_cmp_lt_i32_e32 vcc_lo, v209, v211
	s_and_b32 s15, vcc_lo, exec_lo
; %bb.4751:
	s_or_b32 exec_lo, exec_lo, s20
	s_delay_alu instid0(SALU_CYCLE_1)
	s_and_not1_b32 s20, s13, exec_lo
	s_and_b32 s18, s18, exec_lo
	s_and_b32 s0, s15, exec_lo
	s_or_b32 s15, s20, s18
	s_or_not1_b32 s19, s19, exec_lo
.LBB25_4752:
	s_or_b32 exec_lo, exec_lo, s16
	s_mov_b32 s18, 0
	s_mov_b32 s20, 0
                                        ; implicit-def: $vgpr4
                                        ; implicit-def: $vgpr2_vgpr3
	s_and_saveexec_b32 s16, s19
	s_cbranch_execz .LBB25_7824
; %bb.4753:
	s_mov_b32 s21, -1
	s_mov_b32 s19, 0
	s_mov_b32 s17, s15
	;; [unrolled: 1-line block ×3, first 2 shown]
	s_and_saveexec_b32 s18, s0
	s_cbranch_execz .LBB25_4881
; %bb.4754:
	v_dual_add_nc_u32 v1, s60, v209 :: v_dual_mov_b32 v3, 0
	s_mov_b32 s0, 0
	s_mov_b32 s20, s15
	s_mov_b32 s17, exec_lo
	s_delay_alu instid0(VALU_DEP_1) | instskip(SKIP_1) | instid1(VALU_DEP_2)
	v_mul_lo_u32 v2, v1, v210
	v_and_b32_e32 v1, 0xff, v85
	v_add_nc_u64_e32 v[2:3], v[212:213], v[2:3]
	s_delay_alu instid0(VALU_DEP_2)
	v_cmpx_lt_i16_e32 10, v1
	s_xor_b32 s17, exec_lo, s17
	s_cbranch_execz .LBB25_4836
; %bb.4755:
	s_mov_b32 s20, s15
	s_mov_b32 s21, exec_lo
	v_cmpx_lt_i16_e32 25, v1
	s_xor_b32 s21, exec_lo, s21
	s_cbranch_execz .LBB25_4791
; %bb.4756:
	s_mov_b32 s22, s15
	s_mov_b32 s20, exec_lo
	;; [unrolled: 6-line block ×3, first 2 shown]
	v_cmpx_lt_i16_e32 43, v1
	s_xor_b32 s22, exec_lo, s22
	s_cbranch_execz .LBB25_4769
; %bb.4758:
	s_mov_b32 s23, 0
	s_mov_b32 s24, s15
	s_mov_b32 s0, exec_lo
	v_cmpx_lt_i16_e32 45, v1
	s_xor_b32 s0, exec_lo, s0
	s_cbranch_execz .LBB25_4762
; %bb.4759:
	s_mov_b32 s25, -1
	s_mov_b32 s24, exec_lo
	v_cmpx_eq_u16_e32 46, v1
	s_cbranch_execz .LBB25_4761
; %bb.4760:
	v_bfe_u32 v1, v176, 16, 1
	v_cmp_o_f32_e32 vcc_lo, v176, v176
	s_mov_b32 s23, exec_lo
	s_xor_b32 s25, exec_lo, -1
	s_delay_alu instid0(VALU_DEP_2) | instskip(NEXT) | instid1(VALU_DEP_1)
	v_add3_u32 v1, v176, v1, 0x7fff
	v_lshrrev_b32_e32 v1, 16, v1
	s_delay_alu instid0(VALU_DEP_1)
	v_cndmask_b32_e32 v1, 0x7fc0, v1, vcc_lo
	flat_store_b32 v[2:3], v1
.LBB25_4761:
	s_wait_xcnt 0x0
	s_or_b32 exec_lo, exec_lo, s24
	s_delay_alu instid0(SALU_CYCLE_1)
	s_and_not1_b32 s24, s15, exec_lo
	s_and_b32 s25, s25, exec_lo
	s_and_b32 s23, s23, exec_lo
	s_or_b32 s24, s24, s25
                                        ; implicit-def: $vgpr1
                                        ; implicit-def: $vgpr2_vgpr3
                                        ; implicit-def: $vgpr176
.LBB25_4762:
	s_and_not1_saveexec_b32 s25, s0
	s_cbranch_execz .LBB25_4768
; %bb.4763:
	s_mov_b32 s27, -1
	s_mov_b32 s0, s23
	s_mov_b32 s26, exec_lo
	v_cmpx_eq_u16_e32 44, v1
	s_cbranch_execz .LBB25_4767
; %bb.4764:
	v_bfe_u32 v4, v176, 23, 8
	v_mov_b32_e32 v1, 0xff
	s_mov_b32 s27, exec_lo
	s_delay_alu instid0(VALU_DEP_2)
	v_cmpx_ne_u32_e32 0xff, v4
	s_cbranch_execz .LBB25_4766
; %bb.4765:
	v_and_b32_e32 v1, 0x400000, v176
	v_and_or_b32 v4, 0x3fffff, v176, v4
	s_delay_alu instid0(VALU_DEP_2) | instskip(NEXT) | instid1(VALU_DEP_2)
	v_cmp_ne_u32_e32 vcc_lo, 0, v1
	v_cmp_ne_u32_e64 s0, 0, v4
	v_lshrrev_b32_e32 v1, 23, v176
	s_and_b32 s0, vcc_lo, s0
	s_delay_alu instid0(SALU_CYCLE_1) | instskip(NEXT) | instid1(VALU_DEP_1)
	v_cndmask_b32_e64 v4, 0, 1, s0
	v_add_nc_u32_e32 v1, v1, v4
.LBB25_4766:
	s_or_b32 exec_lo, exec_lo, s27
	s_delay_alu instid0(SALU_CYCLE_1)
	s_xor_b32 s27, exec_lo, -1
	s_or_b32 s0, s23, exec_lo
	flat_store_b8 v[2:3], v1
.LBB25_4767:
	s_wait_xcnt 0x0
	s_or_b32 exec_lo, exec_lo, s26
	s_delay_alu instid0(SALU_CYCLE_1)
	s_and_not1_b32 s24, s24, exec_lo
	s_and_b32 s26, s27, exec_lo
	s_and_not1_b32 s23, s23, exec_lo
	s_and_b32 s0, s0, exec_lo
	s_or_b32 s24, s24, s26
	s_or_b32 s23, s23, s0
.LBB25_4768:
	s_or_b32 exec_lo, exec_lo, s25
	s_delay_alu instid0(SALU_CYCLE_1) | instskip(SKIP_1) | instid1(SALU_CYCLE_1)
	s_and_not1_b32 s0, s15, exec_lo
	s_and_b32 s24, s24, exec_lo
                                        ; implicit-def: $vgpr1
                                        ; implicit-def: $vgpr176
                                        ; implicit-def: $vgpr2_vgpr3
	s_or_b32 s24, s0, s24
	s_and_b32 s0, s23, exec_lo
.LBB25_4769:
	s_and_not1_saveexec_b32 s22, s22
	s_cbranch_execz .LBB25_4773
; %bb.4770:
	s_mov_b32 s26, -1
	s_mov_b32 s25, s0
	s_mov_b32 s23, exec_lo
	v_cmpx_eq_u16_e32 29, v1
	s_cbranch_execz .LBB25_4772
; %bb.4771:
	v_trunc_f32_e32 v1, v176
	s_xor_b32 s26, exec_lo, -1
	s_or_b32 s25, s0, exec_lo
	s_delay_alu instid0(VALU_DEP_1) | instskip(NEXT) | instid1(VALU_DEP_1)
	v_mul_f32_e32 v4, 0x2f800000, v1
	v_floor_f32_e32 v4, v4
	s_delay_alu instid0(VALU_DEP_1) | instskip(SKIP_1) | instid1(VALU_DEP_2)
	v_fmamk_f32 v1, v4, 0xcf800000, v1
	v_cvt_u32_f32_e32 v5, v4
	v_cvt_u32_f32_e32 v4, v1
	flat_store_b64 v[2:3], v[4:5]
.LBB25_4772:
	s_wait_xcnt 0x0
	s_or_b32 exec_lo, exec_lo, s23
	s_delay_alu instid0(SALU_CYCLE_1)
	s_and_not1_b32 s23, s24, exec_lo
	s_and_b32 s24, s26, exec_lo
	s_and_not1_b32 s0, s0, exec_lo
	s_and_b32 s25, s25, exec_lo
	s_or_b32 s24, s23, s24
	s_or_b32 s0, s0, s25
.LBB25_4773:
	s_or_b32 exec_lo, exec_lo, s22
	s_delay_alu instid0(SALU_CYCLE_1)
	s_and_not1_b32 s22, s15, exec_lo
	s_and_b32 s23, s24, exec_lo
	s_and_b32 s0, s0, exec_lo
	s_or_b32 s22, s22, s23
                                        ; implicit-def: $vgpr2_vgpr3
                                        ; implicit-def: $vgpr1
                                        ; implicit-def: $vgpr176
.LBB25_4774:
	s_and_not1_saveexec_b32 s20, s20
	s_cbranch_execz .LBB25_4790
; %bb.4775:
	s_mov_b32 s23, exec_lo
	v_cmpx_lt_i16_e32 26, v1
	s_xor_b32 s23, exec_lo, s23
	s_cbranch_execz .LBB25_4781
; %bb.4776:
	v_cmp_lt_i16_e32 vcc_lo, 27, v1
	v_cvt_u32_f32_e32 v1, v176
	s_and_saveexec_b32 s24, vcc_lo
	s_delay_alu instid0(SALU_CYCLE_1)
	s_xor_b32 s24, exec_lo, s24
	s_cbranch_execz .LBB25_4778
; %bb.4777:
	flat_store_b32 v[2:3], v1
                                        ; implicit-def: $vgpr2_vgpr3
                                        ; implicit-def: $vgpr1
.LBB25_4778:
	s_wait_xcnt 0x0
	s_and_not1_saveexec_b32 s24, s24
	s_cbranch_execz .LBB25_4780
; %bb.4779:
	flat_store_b16 v[2:3], v1
.LBB25_4780:
	s_wait_xcnt 0x0
	s_or_b32 exec_lo, exec_lo, s24
                                        ; implicit-def: $vgpr2_vgpr3
                                        ; implicit-def: $vgpr176
.LBB25_4781:
	s_and_not1_saveexec_b32 s23, s23
	s_cbranch_execz .LBB25_4789
; %bb.4782:
	v_and_b32_e32 v1, 0x7fffffff, v176
	v_mov_b32_e32 v4, 0x80
	s_mov_b32 s24, exec_lo
	s_delay_alu instid0(VALU_DEP_2)
	v_cmpx_gt_u32_e32 0x43800000, v1
	s_cbranch_execz .LBB25_4788
; %bb.4783:
	v_cmp_lt_u32_e32 vcc_lo, 0x3bffffff, v1
	s_mov_b32 s25, 0
                                        ; implicit-def: $vgpr1
	s_and_saveexec_b32 s26, vcc_lo
	s_delay_alu instid0(SALU_CYCLE_1)
	s_xor_b32 s26, exec_lo, s26
	s_cbranch_execnz .LBB25_7911
; %bb.4784:
	s_and_not1_saveexec_b32 s26, s26
	s_cbranch_execnz .LBB25_7912
.LBB25_4785:
	s_or_b32 exec_lo, exec_lo, s26
	v_mov_b32_e32 v4, 0
	s_and_saveexec_b32 s26, s25
.LBB25_4786:
	v_lshrrev_b32_e32 v4, 24, v176
	s_delay_alu instid0(VALU_DEP_1)
	v_and_or_b32 v4, 0x80, v4, v1
.LBB25_4787:
	s_or_b32 exec_lo, exec_lo, s26
.LBB25_4788:
	s_delay_alu instid0(SALU_CYCLE_1)
	s_or_b32 exec_lo, exec_lo, s24
	flat_store_b8 v[2:3], v4
.LBB25_4789:
	s_wait_xcnt 0x0
	s_or_b32 exec_lo, exec_lo, s23
	s_delay_alu instid0(SALU_CYCLE_1)
	s_or_b32 s0, s0, exec_lo
.LBB25_4790:
	s_or_b32 exec_lo, exec_lo, s20
	s_delay_alu instid0(SALU_CYCLE_1)
	s_and_not1_b32 s20, s15, exec_lo
	s_and_b32 s22, s22, exec_lo
	s_and_b32 s0, s0, exec_lo
	s_or_b32 s20, s20, s22
                                        ; implicit-def: $vgpr1
                                        ; implicit-def: $vgpr176
                                        ; implicit-def: $vgpr2_vgpr3
.LBB25_4791:
	s_and_not1_saveexec_b32 s21, s21
	s_cbranch_execz .LBB25_4835
; %bb.4792:
	s_mov_b32 s23, s0
	s_mov_b32 s22, exec_lo
	v_cmpx_lt_i16_e32 22, v1
	s_xor_b32 s22, exec_lo, s22
	s_cbranch_execz .LBB25_4824
; %bb.4793:
	s_mov_b32 s23, exec_lo
	v_cmpx_lt_i16_e32 23, v1
	s_xor_b32 s23, exec_lo, s23
	s_cbranch_execz .LBB25_4813
; %bb.4794:
	;; [unrolled: 5-line block ×3, first 2 shown]
	v_and_b32_e32 v1, 0x7fffffff, v176
	v_mov_b32_e32 v4, 0x80
	s_mov_b32 s25, exec_lo
	s_delay_alu instid0(VALU_DEP_2)
	v_cmpx_gt_u32_e32 0x47800000, v1
	s_cbranch_execz .LBB25_4801
; %bb.4796:
	v_cmp_lt_u32_e32 vcc_lo, 0x37ffffff, v1
	s_mov_b32 s26, 0
                                        ; implicit-def: $vgpr1
	s_and_saveexec_b32 s27, vcc_lo
	s_delay_alu instid0(SALU_CYCLE_1)
	s_xor_b32 s27, exec_lo, s27
	s_cbranch_execnz .LBB25_7913
; %bb.4797:
	s_and_not1_saveexec_b32 s27, s27
	s_cbranch_execnz .LBB25_7914
.LBB25_4798:
	s_or_b32 exec_lo, exec_lo, s27
	v_mov_b32_e32 v4, 0
	s_and_saveexec_b32 s27, s26
.LBB25_4799:
	v_lshrrev_b32_e32 v4, 24, v176
	s_delay_alu instid0(VALU_DEP_1)
	v_and_or_b32 v4, 0x80, v4, v1
.LBB25_4800:
	s_or_b32 exec_lo, exec_lo, s27
.LBB25_4801:
	s_delay_alu instid0(SALU_CYCLE_1)
	s_or_b32 exec_lo, exec_lo, s25
	flat_store_b8 v[2:3], v4
                                        ; implicit-def: $vgpr176
                                        ; implicit-def: $vgpr2_vgpr3
.LBB25_4802:
	s_wait_xcnt 0x0
	s_and_not1_saveexec_b32 s24, s24
	s_cbranch_execz .LBB25_4812
; %bb.4803:
	v_and_b32_e32 v4, 0x7fffffff, v176
	s_mov_b32 s25, exec_lo
                                        ; implicit-def: $vgpr1
	s_delay_alu instid0(VALU_DEP_1)
	v_cmpx_gt_u32_e32 0x43f00000, v4
	s_xor_b32 s25, exec_lo, s25
	s_cbranch_execz .LBB25_4809
; %bb.4804:
	s_mov_b32 s26, exec_lo
                                        ; implicit-def: $vgpr1
	v_cmpx_lt_u32_e32 0x3c7fffff, v4
	s_xor_b32 s26, exec_lo, s26
; %bb.4805:
	v_bfe_u32 v1, v176, 20, 1
	s_delay_alu instid0(VALU_DEP_1) | instskip(NEXT) | instid1(VALU_DEP_1)
	v_add3_u32 v1, v176, v1, 0x407ffff
	v_and_b32_e32 v4, 0xff00000, v1
	v_lshrrev_b32_e32 v1, 20, v1
	s_delay_alu instid0(VALU_DEP_2) | instskip(NEXT) | instid1(VALU_DEP_2)
	v_cmp_ne_u32_e32 vcc_lo, 0x7f00000, v4
	v_cndmask_b32_e32 v1, 0x7e, v1, vcc_lo
; %bb.4806:
	s_and_not1_saveexec_b32 s26, s26
; %bb.4807:
	v_add_f32_e64 v1, 0x46800000, |v176|
; %bb.4808:
	s_or_b32 exec_lo, exec_lo, s26
                                        ; implicit-def: $vgpr4
.LBB25_4809:
	s_and_not1_saveexec_b32 s25, s25
; %bb.4810:
	v_mov_b32_e32 v1, 0x7f
	v_cmp_lt_u32_e32 vcc_lo, 0x7f800000, v4
	s_delay_alu instid0(VALU_DEP_2)
	v_cndmask_b32_e32 v1, 0x7e, v1, vcc_lo
; %bb.4811:
	s_or_b32 exec_lo, exec_lo, s25
	v_lshrrev_b32_e32 v4, 24, v176
	s_delay_alu instid0(VALU_DEP_1)
	v_and_or_b32 v1, 0x80, v4, v1
	flat_store_b8 v[2:3], v1
.LBB25_4812:
	s_wait_xcnt 0x0
	s_or_b32 exec_lo, exec_lo, s24
                                        ; implicit-def: $vgpr176
                                        ; implicit-def: $vgpr2_vgpr3
.LBB25_4813:
	s_and_not1_saveexec_b32 s23, s23
	s_cbranch_execz .LBB25_4823
; %bb.4814:
	v_and_b32_e32 v4, 0x7fffffff, v176
	s_mov_b32 s24, exec_lo
                                        ; implicit-def: $vgpr1
	s_delay_alu instid0(VALU_DEP_1)
	v_cmpx_gt_u32_e32 0x47800000, v4
	s_xor_b32 s24, exec_lo, s24
	s_cbranch_execz .LBB25_4820
; %bb.4815:
	s_mov_b32 s25, exec_lo
                                        ; implicit-def: $vgpr1
	v_cmpx_lt_u32_e32 0x387fffff, v4
	s_xor_b32 s25, exec_lo, s25
; %bb.4816:
	v_bfe_u32 v1, v176, 21, 1
	s_delay_alu instid0(VALU_DEP_1) | instskip(NEXT) | instid1(VALU_DEP_1)
	v_add3_u32 v1, v176, v1, 0x80fffff
	v_lshrrev_b32_e32 v1, 21, v1
; %bb.4817:
	s_and_not1_saveexec_b32 s25, s25
; %bb.4818:
	v_add_f32_e64 v1, 0x43000000, |v176|
; %bb.4819:
	s_or_b32 exec_lo, exec_lo, s25
                                        ; implicit-def: $vgpr4
.LBB25_4820:
	s_and_not1_saveexec_b32 s24, s24
; %bb.4821:
	v_mov_b32_e32 v1, 0x7f
	v_cmp_lt_u32_e32 vcc_lo, 0x7f800000, v4
	s_delay_alu instid0(VALU_DEP_2)
	v_cndmask_b32_e32 v1, 0x7c, v1, vcc_lo
; %bb.4822:
	s_or_b32 exec_lo, exec_lo, s24
	v_lshrrev_b32_e32 v4, 24, v176
	s_delay_alu instid0(VALU_DEP_1)
	v_and_or_b32 v1, 0x80, v4, v1
	flat_store_b8 v[2:3], v1
.LBB25_4823:
	s_wait_xcnt 0x0
	s_or_b32 exec_lo, exec_lo, s23
	s_delay_alu instid0(SALU_CYCLE_1)
	s_or_b32 s23, s0, exec_lo
                                        ; implicit-def: $vgpr1
                                        ; implicit-def: $vgpr176
                                        ; implicit-def: $vgpr2_vgpr3
.LBB25_4824:
	s_or_saveexec_b32 s22, s22
	s_mov_b32 s24, s20
	s_xor_b32 exec_lo, exec_lo, s22
	s_cbranch_execz .LBB25_4834
; %bb.4825:
	s_mov_b32 s24, s23
	s_mov_b32 s25, s20
	s_mov_b32 s26, exec_lo
	v_cmpx_lt_i16_e32 14, v1
	s_xor_b32 s26, exec_lo, s26
	s_cbranch_execz .LBB25_4829
; %bb.4826:
	s_mov_b32 s27, -1
	s_mov_b32 s24, s23
	s_mov_b32 s25, exec_lo
	v_cmpx_eq_u16_e32 15, v1
	s_cbranch_execz .LBB25_4828
; %bb.4827:
	v_bfe_u32 v1, v176, 16, 1
	v_cmp_o_f32_e32 vcc_lo, v176, v176
	s_xor_b32 s27, exec_lo, -1
	s_or_b32 s24, s23, exec_lo
	s_delay_alu instid0(VALU_DEP_2) | instskip(NEXT) | instid1(VALU_DEP_1)
	v_add3_u32 v1, v176, v1, 0x7fff
	v_lshrrev_b32_e32 v1, 16, v1
	s_delay_alu instid0(VALU_DEP_1)
	v_cndmask_b32_e32 v1, 0x7fc0, v1, vcc_lo
	flat_store_b16 v[2:3], v1
.LBB25_4828:
	s_wait_xcnt 0x0
	s_or_b32 exec_lo, exec_lo, s25
	s_delay_alu instid0(SALU_CYCLE_1)
	s_and_not1_b32 s25, s20, exec_lo
	s_and_b32 s27, s27, exec_lo
	s_and_not1_b32 s28, s23, exec_lo
	s_and_b32 s24, s24, exec_lo
	s_or_b32 s25, s25, s27
	s_or_b32 s24, s28, s24
                                        ; implicit-def: $vgpr1
                                        ; implicit-def: $vgpr176
                                        ; implicit-def: $vgpr2_vgpr3
.LBB25_4829:
	s_and_not1_saveexec_b32 s26, s26
	s_cbranch_execz .LBB25_4833
; %bb.4830:
	s_mov_b32 s28, -1
	s_mov_b32 s27, s24
	s_mov_b32 s29, exec_lo
	v_cmpx_eq_u16_e32 11, v1
	s_cbranch_execz .LBB25_4832
; %bb.4831:
	v_cmp_neq_f32_e32 vcc_lo, 0, v176
	s_xor_b32 s28, exec_lo, -1
	s_or_b32 s27, s24, exec_lo
	v_cndmask_b32_e64 v1, 0, 1, vcc_lo
	flat_store_b8 v[2:3], v1
.LBB25_4832:
	s_wait_xcnt 0x0
	s_or_b32 exec_lo, exec_lo, s29
	s_delay_alu instid0(SALU_CYCLE_1)
	s_and_not1_b32 s25, s25, exec_lo
	s_and_b32 s28, s28, exec_lo
	s_and_not1_b32 s24, s24, exec_lo
	s_and_b32 s27, s27, exec_lo
	s_or_b32 s25, s25, s28
	s_or_b32 s24, s24, s27
.LBB25_4833:
	s_or_b32 exec_lo, exec_lo, s26
	s_delay_alu instid0(SALU_CYCLE_1)
	s_and_not1_b32 s26, s20, exec_lo
	s_and_b32 s25, s25, exec_lo
	s_and_not1_b32 s23, s23, exec_lo
	s_and_b32 s27, s24, exec_lo
	s_or_b32 s24, s26, s25
	s_or_b32 s23, s23, s27
.LBB25_4834:
	s_or_b32 exec_lo, exec_lo, s22
	s_delay_alu instid0(SALU_CYCLE_1)
	s_and_not1_b32 s20, s20, exec_lo
	s_and_b32 s22, s24, exec_lo
	s_and_not1_b32 s0, s0, exec_lo
	s_and_b32 s23, s23, exec_lo
	s_or_b32 s20, s20, s22
	s_or_b32 s0, s0, s23
.LBB25_4835:
	s_or_b32 exec_lo, exec_lo, s21
	s_delay_alu instid0(SALU_CYCLE_1)
	s_and_not1_b32 s21, s15, exec_lo
	s_and_b32 s20, s20, exec_lo
	s_and_b32 s0, s0, exec_lo
	s_or_b32 s20, s21, s20
                                        ; implicit-def: $vgpr1
                                        ; implicit-def: $vgpr176
                                        ; implicit-def: $vgpr2_vgpr3
.LBB25_4836:
	s_and_not1_saveexec_b32 s17, s17
	s_cbranch_execz .LBB25_4878
; %bb.4837:
	s_mov_b32 s21, exec_lo
	v_cmpx_lt_i16_e32 4, v1
	s_xor_b32 s21, exec_lo, s21
	s_cbranch_execz .LBB25_4859
; %bb.4838:
	s_mov_b32 s22, exec_lo
	v_cmpx_lt_i16_e32 7, v1
	s_xor_b32 s22, exec_lo, s22
	;; [unrolled: 5-line block ×4, first 2 shown]
	s_cbranch_execz .LBB25_4842
; %bb.4841:
	v_cvt_f64_f32_e32 v[4:5], v176
	v_mov_b32_e32 v6, 0
                                        ; implicit-def: $vgpr176
	s_delay_alu instid0(VALU_DEP_1)
	v_mov_b32_e32 v7, v6
	flat_store_b128 v[2:3], v[4:7]
                                        ; implicit-def: $vgpr2_vgpr3
.LBB25_4842:
	s_wait_xcnt 0x0
	s_and_not1_saveexec_b32 s24, s24
	s_cbranch_execz .LBB25_4844
; %bb.4843:
	v_mov_b32_e32 v177, 0
	flat_store_b64 v[2:3], v[176:177]
.LBB25_4844:
	s_wait_xcnt 0x0
	s_or_b32 exec_lo, exec_lo, s24
                                        ; implicit-def: $vgpr176
                                        ; implicit-def: $vgpr2_vgpr3
.LBB25_4845:
	s_and_not1_saveexec_b32 s23, s23
	s_cbranch_execz .LBB25_4847
; %bb.4846:
	v_cvt_f16_f32_e64 v1, v176
	s_delay_alu instid0(VALU_DEP_1)
	v_and_b32_e32 v1, 0xffff, v1
	flat_store_b32 v[2:3], v1
.LBB25_4847:
	s_wait_xcnt 0x0
	s_or_b32 exec_lo, exec_lo, s23
                                        ; implicit-def: $vgpr176
                                        ; implicit-def: $vgpr2_vgpr3
                                        ; implicit-def: $vgpr1
.LBB25_4848:
	s_and_not1_saveexec_b32 s22, s22
	s_cbranch_execz .LBB25_4858
; %bb.4849:
	s_mov_b32 s23, exec_lo
	v_cmpx_lt_i16_e32 5, v1
	s_xor_b32 s23, exec_lo, s23
	s_cbranch_execz .LBB25_4855
; %bb.4850:
	s_mov_b32 s24, exec_lo
	v_cmpx_lt_i16_e32 6, v1
	s_xor_b32 s24, exec_lo, s24
	s_cbranch_execz .LBB25_4852
; %bb.4851:
	v_cvt_f64_f32_e32 v[4:5], v176
                                        ; implicit-def: $vgpr176
	flat_store_b64 v[2:3], v[4:5]
                                        ; implicit-def: $vgpr2_vgpr3
.LBB25_4852:
	s_wait_xcnt 0x0
	s_and_not1_saveexec_b32 s24, s24
	s_cbranch_execz .LBB25_4854
; %bb.4853:
	flat_store_b32 v[2:3], v176
.LBB25_4854:
	s_wait_xcnt 0x0
	s_or_b32 exec_lo, exec_lo, s24
                                        ; implicit-def: $vgpr176
                                        ; implicit-def: $vgpr2_vgpr3
.LBB25_4855:
	s_and_not1_saveexec_b32 s23, s23
	s_cbranch_execz .LBB25_4857
; %bb.4856:
	v_cvt_f16_f32_e64 v1, v176
	flat_store_b16 v[2:3], v1
.LBB25_4857:
	s_wait_xcnt 0x0
	s_or_b32 exec_lo, exec_lo, s23
.LBB25_4858:
	s_delay_alu instid0(SALU_CYCLE_1)
	s_or_b32 exec_lo, exec_lo, s22
                                        ; implicit-def: $vgpr1
                                        ; implicit-def: $vgpr176
                                        ; implicit-def: $vgpr2_vgpr3
.LBB25_4859:
	s_and_not1_saveexec_b32 s21, s21
	s_cbranch_execz .LBB25_4877
; %bb.4860:
	s_mov_b32 s22, exec_lo
	v_cmpx_lt_i16_e32 1, v1
	s_xor_b32 s22, exec_lo, s22
	s_cbranch_execz .LBB25_4870
; %bb.4861:
	s_mov_b32 s23, exec_lo
	v_cmpx_lt_i16_e32 2, v1
	s_xor_b32 s23, exec_lo, s23
	;; [unrolled: 5-line block ×3, first 2 shown]
	s_cbranch_execz .LBB25_4864
; %bb.4863:
	v_trunc_f32_e32 v1, v176
                                        ; implicit-def: $vgpr176
	s_delay_alu instid0(VALU_DEP_1) | instskip(NEXT) | instid1(VALU_DEP_1)
	v_mul_f32_e64 v4, 0x2f800000, |v1|
	v_floor_f32_e32 v5, v4
	v_ashrrev_i32_e32 v4, 31, v1
	s_delay_alu instid0(VALU_DEP_2) | instskip(SKIP_1) | instid1(VALU_DEP_3)
	v_fma_f32 v6, 0xcf800000, v5, |v1|
	v_cvt_u32_f32_e32 v1, v5
	v_mov_b32_e32 v5, v4
	s_delay_alu instid0(VALU_DEP_3) | instskip(NEXT) | instid1(VALU_DEP_3)
	v_cvt_u32_f32_e32 v6, v6
	v_xor_b32_e32 v7, v1, v4
	s_delay_alu instid0(VALU_DEP_2) | instskip(NEXT) | instid1(VALU_DEP_1)
	v_xor_b32_e32 v6, v6, v4
	v_sub_nc_u64_e32 v[4:5], v[6:7], v[4:5]
	flat_store_b64 v[2:3], v[4:5]
                                        ; implicit-def: $vgpr2_vgpr3
.LBB25_4864:
	s_wait_xcnt 0x0
	s_and_not1_saveexec_b32 s24, s24
	s_cbranch_execz .LBB25_4866
; %bb.4865:
	v_cvt_i32_f32_e32 v1, v176
	flat_store_b32 v[2:3], v1
.LBB25_4866:
	s_wait_xcnt 0x0
	s_or_b32 exec_lo, exec_lo, s24
                                        ; implicit-def: $vgpr176
                                        ; implicit-def: $vgpr2_vgpr3
.LBB25_4867:
	s_and_not1_saveexec_b32 s23, s23
	s_cbranch_execz .LBB25_4869
; %bb.4868:
	v_cvt_i32_f32_e32 v1, v176
	flat_store_b16 v[2:3], v1
.LBB25_4869:
	s_wait_xcnt 0x0
	s_or_b32 exec_lo, exec_lo, s23
                                        ; implicit-def: $vgpr176
                                        ; implicit-def: $vgpr2_vgpr3
                                        ; implicit-def: $vgpr1
.LBB25_4870:
	s_and_not1_saveexec_b32 s22, s22
	s_cbranch_execz .LBB25_4876
; %bb.4871:
	s_mov_b32 s23, exec_lo
	v_cmpx_lt_i16_e32 0, v1
	s_xor_b32 s23, exec_lo, s23
	s_cbranch_execz .LBB25_4873
; %bb.4872:
	v_cvt_i32_f32_e32 v1, v176
                                        ; implicit-def: $vgpr176
	flat_store_b8 v[2:3], v1
                                        ; implicit-def: $vgpr2_vgpr3
.LBB25_4873:
	s_wait_xcnt 0x0
	s_and_not1_saveexec_b32 s23, s23
	s_cbranch_execz .LBB25_4875
; %bb.4874:
	v_trunc_f32_e32 v1, v176
	s_delay_alu instid0(VALU_DEP_1) | instskip(NEXT) | instid1(VALU_DEP_1)
	v_mul_f32_e64 v4, 0x2f800000, |v1|
	v_floor_f32_e32 v4, v4
	s_delay_alu instid0(VALU_DEP_1) | instskip(SKIP_1) | instid1(VALU_DEP_2)
	v_fma_f32 v4, 0xcf800000, v4, |v1|
	v_ashrrev_i32_e32 v1, 31, v1
	v_cvt_u32_f32_e32 v4, v4
	s_delay_alu instid0(VALU_DEP_1) | instskip(NEXT) | instid1(VALU_DEP_1)
	v_xor_b32_e32 v4, v4, v1
	v_sub_nc_u32_e32 v1, v4, v1
	flat_store_b8 v[2:3], v1
.LBB25_4875:
	s_wait_xcnt 0x0
	s_or_b32 exec_lo, exec_lo, s23
.LBB25_4876:
	s_delay_alu instid0(SALU_CYCLE_1)
	s_or_b32 exec_lo, exec_lo, s22
.LBB25_4877:
	s_delay_alu instid0(SALU_CYCLE_1) | instskip(NEXT) | instid1(SALU_CYCLE_1)
	s_or_b32 exec_lo, exec_lo, s21
	s_or_b32 s0, s0, exec_lo
.LBB25_4878:
	s_or_b32 exec_lo, exec_lo, s17
	s_mov_b32 s21, 0
	s_mov_b32 s17, 0
	s_and_saveexec_b32 s22, s0
; %bb.4879:
	v_add_nc_u32_e32 v209, 0x200, v209
	s_mov_b32 s21, exec_lo
	s_delay_alu instid0(VALU_DEP_1)
	v_cmp_lt_i32_e32 vcc_lo, v209, v211
	s_and_b32 s17, vcc_lo, exec_lo
; %bb.4880:
	s_or_b32 exec_lo, exec_lo, s22
	s_delay_alu instid0(SALU_CYCLE_1)
	s_and_not1_b32 s0, s15, exec_lo
	s_and_b32 s20, s20, exec_lo
	s_and_b32 s22, s17, exec_lo
	s_or_b32 s17, s0, s20
	s_or_not1_b32 s21, s21, exec_lo
.LBB25_4881:
	s_or_b32 exec_lo, exec_lo, s18
	s_mov_b32 s0, 0
	s_mov_b32 s20, 0
                                        ; implicit-def: $vgpr4
                                        ; implicit-def: $vgpr2_vgpr3
	s_and_saveexec_b32 s18, s21
	s_cbranch_execz .LBB25_7823
; %bb.4882:
	s_mov_b32 s23, -1
	s_mov_b32 s21, 0
	s_mov_b32 s19, s17
	s_and_saveexec_b32 s20, s22
	s_cbranch_execz .LBB25_5010
; %bb.4883:
	v_dual_add_nc_u32 v1, s60, v209 :: v_dual_mov_b32 v3, 0
	s_mov_b32 s22, s17
	s_mov_b32 s19, exec_lo
	s_delay_alu instid0(VALU_DEP_1) | instskip(SKIP_1) | instid1(VALU_DEP_2)
	v_mul_lo_u32 v2, v1, v210
	v_and_b32_e32 v1, 0xff, v85
	v_add_nc_u64_e32 v[2:3], v[212:213], v[2:3]
	s_delay_alu instid0(VALU_DEP_2)
	v_cmpx_lt_i16_e32 10, v1
	s_xor_b32 s19, exec_lo, s19
	s_cbranch_execz .LBB25_4965
; %bb.4884:
	s_mov_b32 s22, s17
	s_mov_b32 s23, exec_lo
	v_cmpx_lt_i16_e32 25, v1
	s_xor_b32 s23, exec_lo, s23
	s_cbranch_execz .LBB25_4920
; %bb.4885:
	s_mov_b32 s24, s17
	s_mov_b32 s22, exec_lo
	;; [unrolled: 6-line block ×3, first 2 shown]
	v_cmpx_lt_i16_e32 43, v1
	s_xor_b32 s24, exec_lo, s24
	s_cbranch_execz .LBB25_4898
; %bb.4887:
	s_mov_b32 s25, 0
	s_mov_b32 s26, s17
	s_mov_b32 s0, exec_lo
	v_cmpx_lt_i16_e32 45, v1
	s_xor_b32 s0, exec_lo, s0
	s_cbranch_execz .LBB25_4891
; %bb.4888:
	s_mov_b32 s27, -1
	s_mov_b32 s26, exec_lo
	v_cmpx_eq_u16_e32 46, v1
	s_cbranch_execz .LBB25_4890
; %bb.4889:
	v_bfe_u32 v1, v166, 16, 1
	v_cmp_o_f32_e32 vcc_lo, v166, v166
	s_mov_b32 s25, exec_lo
	s_xor_b32 s27, exec_lo, -1
	s_delay_alu instid0(VALU_DEP_2) | instskip(NEXT) | instid1(VALU_DEP_1)
	v_add3_u32 v1, v166, v1, 0x7fff
	v_lshrrev_b32_e32 v1, 16, v1
	s_delay_alu instid0(VALU_DEP_1)
	v_cndmask_b32_e32 v1, 0x7fc0, v1, vcc_lo
	flat_store_b32 v[2:3], v1
.LBB25_4890:
	s_wait_xcnt 0x0
	s_or_b32 exec_lo, exec_lo, s26
	s_delay_alu instid0(SALU_CYCLE_1)
	s_and_not1_b32 s26, s17, exec_lo
	s_and_b32 s27, s27, exec_lo
	s_and_b32 s25, s25, exec_lo
	s_or_b32 s26, s26, s27
                                        ; implicit-def: $vgpr1
                                        ; implicit-def: $vgpr2_vgpr3
                                        ; implicit-def: $vgpr166
.LBB25_4891:
	s_and_not1_saveexec_b32 s27, s0
	s_cbranch_execz .LBB25_4897
; %bb.4892:
	s_mov_b32 s29, -1
	s_mov_b32 s0, s25
	s_mov_b32 s28, exec_lo
	v_cmpx_eq_u16_e32 44, v1
	s_cbranch_execz .LBB25_4896
; %bb.4893:
	v_bfe_u32 v4, v166, 23, 8
	v_mov_b32_e32 v1, 0xff
	s_mov_b32 s29, exec_lo
	s_delay_alu instid0(VALU_DEP_2)
	v_cmpx_ne_u32_e32 0xff, v4
	s_cbranch_execz .LBB25_4895
; %bb.4894:
	v_and_b32_e32 v1, 0x400000, v166
	v_and_or_b32 v4, 0x3fffff, v166, v4
	s_delay_alu instid0(VALU_DEP_2) | instskip(NEXT) | instid1(VALU_DEP_2)
	v_cmp_ne_u32_e32 vcc_lo, 0, v1
	v_cmp_ne_u32_e64 s0, 0, v4
	v_lshrrev_b32_e32 v1, 23, v166
	s_and_b32 s0, vcc_lo, s0
	s_delay_alu instid0(SALU_CYCLE_1) | instskip(NEXT) | instid1(VALU_DEP_1)
	v_cndmask_b32_e64 v4, 0, 1, s0
	v_add_nc_u32_e32 v1, v1, v4
.LBB25_4895:
	s_or_b32 exec_lo, exec_lo, s29
	s_delay_alu instid0(SALU_CYCLE_1)
	s_xor_b32 s29, exec_lo, -1
	s_or_b32 s0, s25, exec_lo
	flat_store_b8 v[2:3], v1
.LBB25_4896:
	s_wait_xcnt 0x0
	s_or_b32 exec_lo, exec_lo, s28
	s_delay_alu instid0(SALU_CYCLE_1)
	s_and_not1_b32 s26, s26, exec_lo
	s_and_b32 s28, s29, exec_lo
	s_and_not1_b32 s25, s25, exec_lo
	s_and_b32 s0, s0, exec_lo
	s_or_b32 s26, s26, s28
	s_or_b32 s25, s25, s0
.LBB25_4897:
	s_or_b32 exec_lo, exec_lo, s27
	s_delay_alu instid0(SALU_CYCLE_1) | instskip(SKIP_1) | instid1(SALU_CYCLE_1)
	s_and_not1_b32 s0, s17, exec_lo
	s_and_b32 s26, s26, exec_lo
                                        ; implicit-def: $vgpr1
                                        ; implicit-def: $vgpr166
                                        ; implicit-def: $vgpr2_vgpr3
	s_or_b32 s26, s0, s26
	s_and_b32 s0, s25, exec_lo
.LBB25_4898:
	s_and_not1_saveexec_b32 s24, s24
	s_cbranch_execz .LBB25_4902
; %bb.4899:
	s_mov_b32 s28, -1
	s_mov_b32 s27, s0
	s_mov_b32 s25, exec_lo
	v_cmpx_eq_u16_e32 29, v1
	s_cbranch_execz .LBB25_4901
; %bb.4900:
	v_trunc_f32_e32 v1, v166
	s_xor_b32 s28, exec_lo, -1
	s_or_b32 s27, s0, exec_lo
	s_delay_alu instid0(VALU_DEP_1) | instskip(NEXT) | instid1(VALU_DEP_1)
	v_mul_f32_e32 v4, 0x2f800000, v1
	v_floor_f32_e32 v4, v4
	s_delay_alu instid0(VALU_DEP_1) | instskip(SKIP_1) | instid1(VALU_DEP_2)
	v_fmamk_f32 v1, v4, 0xcf800000, v1
	v_cvt_u32_f32_e32 v5, v4
	v_cvt_u32_f32_e32 v4, v1
	flat_store_b64 v[2:3], v[4:5]
.LBB25_4901:
	s_wait_xcnt 0x0
	s_or_b32 exec_lo, exec_lo, s25
	s_delay_alu instid0(SALU_CYCLE_1)
	s_and_not1_b32 s25, s26, exec_lo
	s_and_b32 s26, s28, exec_lo
	s_and_not1_b32 s0, s0, exec_lo
	s_and_b32 s27, s27, exec_lo
	s_or_b32 s26, s25, s26
	s_or_b32 s0, s0, s27
.LBB25_4902:
	s_or_b32 exec_lo, exec_lo, s24
	s_delay_alu instid0(SALU_CYCLE_1)
	s_and_not1_b32 s24, s17, exec_lo
	s_and_b32 s25, s26, exec_lo
	s_and_b32 s0, s0, exec_lo
	s_or_b32 s24, s24, s25
                                        ; implicit-def: $vgpr2_vgpr3
                                        ; implicit-def: $vgpr1
                                        ; implicit-def: $vgpr166
.LBB25_4903:
	s_and_not1_saveexec_b32 s22, s22
	s_cbranch_execz .LBB25_4919
; %bb.4904:
	s_mov_b32 s25, exec_lo
	v_cmpx_lt_i16_e32 26, v1
	s_xor_b32 s25, exec_lo, s25
	s_cbranch_execz .LBB25_4910
; %bb.4905:
	v_cmp_lt_i16_e32 vcc_lo, 27, v1
	v_cvt_u32_f32_e32 v1, v166
	s_and_saveexec_b32 s26, vcc_lo
	s_delay_alu instid0(SALU_CYCLE_1)
	s_xor_b32 s26, exec_lo, s26
	s_cbranch_execz .LBB25_4907
; %bb.4906:
	flat_store_b32 v[2:3], v1
                                        ; implicit-def: $vgpr2_vgpr3
                                        ; implicit-def: $vgpr1
.LBB25_4907:
	s_wait_xcnt 0x0
	s_and_not1_saveexec_b32 s26, s26
	s_cbranch_execz .LBB25_4909
; %bb.4908:
	flat_store_b16 v[2:3], v1
.LBB25_4909:
	s_wait_xcnt 0x0
	s_or_b32 exec_lo, exec_lo, s26
                                        ; implicit-def: $vgpr2_vgpr3
                                        ; implicit-def: $vgpr166
.LBB25_4910:
	s_and_not1_saveexec_b32 s25, s25
	s_cbranch_execz .LBB25_4918
; %bb.4911:
	v_and_b32_e32 v1, 0x7fffffff, v166
	v_mov_b32_e32 v4, 0x80
	s_mov_b32 s26, exec_lo
	s_delay_alu instid0(VALU_DEP_2)
	v_cmpx_gt_u32_e32 0x43800000, v1
	s_cbranch_execz .LBB25_4917
; %bb.4912:
	v_cmp_lt_u32_e32 vcc_lo, 0x3bffffff, v1
	s_mov_b32 s27, 0
                                        ; implicit-def: $vgpr1
	s_and_saveexec_b32 s28, vcc_lo
	s_delay_alu instid0(SALU_CYCLE_1)
	s_xor_b32 s28, exec_lo, s28
	s_cbranch_execnz .LBB25_7915
; %bb.4913:
	s_and_not1_saveexec_b32 s28, s28
	s_cbranch_execnz .LBB25_7916
.LBB25_4914:
	s_or_b32 exec_lo, exec_lo, s28
	v_mov_b32_e32 v4, 0
	s_and_saveexec_b32 s28, s27
.LBB25_4915:
	v_lshrrev_b32_e32 v4, 24, v166
	s_delay_alu instid0(VALU_DEP_1)
	v_and_or_b32 v4, 0x80, v4, v1
.LBB25_4916:
	s_or_b32 exec_lo, exec_lo, s28
.LBB25_4917:
	s_delay_alu instid0(SALU_CYCLE_1)
	s_or_b32 exec_lo, exec_lo, s26
	flat_store_b8 v[2:3], v4
.LBB25_4918:
	s_wait_xcnt 0x0
	s_or_b32 exec_lo, exec_lo, s25
	s_delay_alu instid0(SALU_CYCLE_1)
	s_or_b32 s0, s0, exec_lo
.LBB25_4919:
	s_or_b32 exec_lo, exec_lo, s22
	s_delay_alu instid0(SALU_CYCLE_1)
	s_and_not1_b32 s22, s17, exec_lo
	s_and_b32 s24, s24, exec_lo
	s_and_b32 s0, s0, exec_lo
	s_or_b32 s22, s22, s24
                                        ; implicit-def: $vgpr1
                                        ; implicit-def: $vgpr166
                                        ; implicit-def: $vgpr2_vgpr3
.LBB25_4920:
	s_and_not1_saveexec_b32 s23, s23
	s_cbranch_execz .LBB25_4964
; %bb.4921:
	s_mov_b32 s25, s0
	s_mov_b32 s24, exec_lo
	v_cmpx_lt_i16_e32 22, v1
	s_xor_b32 s24, exec_lo, s24
	s_cbranch_execz .LBB25_4953
; %bb.4922:
	s_mov_b32 s25, exec_lo
	v_cmpx_lt_i16_e32 23, v1
	s_xor_b32 s25, exec_lo, s25
	s_cbranch_execz .LBB25_4942
; %bb.4923:
	;; [unrolled: 5-line block ×3, first 2 shown]
	v_and_b32_e32 v1, 0x7fffffff, v166
	v_mov_b32_e32 v4, 0x80
	s_mov_b32 s27, exec_lo
	s_delay_alu instid0(VALU_DEP_2)
	v_cmpx_gt_u32_e32 0x47800000, v1
	s_cbranch_execz .LBB25_4930
; %bb.4925:
	v_cmp_lt_u32_e32 vcc_lo, 0x37ffffff, v1
	s_mov_b32 s28, 0
                                        ; implicit-def: $vgpr1
	s_and_saveexec_b32 s29, vcc_lo
	s_delay_alu instid0(SALU_CYCLE_1)
	s_xor_b32 s29, exec_lo, s29
	s_cbranch_execnz .LBB25_7917
; %bb.4926:
	s_and_not1_saveexec_b32 s29, s29
	s_cbranch_execnz .LBB25_7918
.LBB25_4927:
	s_or_b32 exec_lo, exec_lo, s29
	v_mov_b32_e32 v4, 0
	s_and_saveexec_b32 s29, s28
.LBB25_4928:
	v_lshrrev_b32_e32 v4, 24, v166
	s_delay_alu instid0(VALU_DEP_1)
	v_and_or_b32 v4, 0x80, v4, v1
.LBB25_4929:
	s_or_b32 exec_lo, exec_lo, s29
.LBB25_4930:
	s_delay_alu instid0(SALU_CYCLE_1)
	s_or_b32 exec_lo, exec_lo, s27
	flat_store_b8 v[2:3], v4
                                        ; implicit-def: $vgpr166
                                        ; implicit-def: $vgpr2_vgpr3
.LBB25_4931:
	s_wait_xcnt 0x0
	s_and_not1_saveexec_b32 s26, s26
	s_cbranch_execz .LBB25_4941
; %bb.4932:
	v_and_b32_e32 v4, 0x7fffffff, v166
	s_mov_b32 s27, exec_lo
                                        ; implicit-def: $vgpr1
	s_delay_alu instid0(VALU_DEP_1)
	v_cmpx_gt_u32_e32 0x43f00000, v4
	s_xor_b32 s27, exec_lo, s27
	s_cbranch_execz .LBB25_4938
; %bb.4933:
	s_mov_b32 s28, exec_lo
                                        ; implicit-def: $vgpr1
	v_cmpx_lt_u32_e32 0x3c7fffff, v4
	s_xor_b32 s28, exec_lo, s28
; %bb.4934:
	v_bfe_u32 v1, v166, 20, 1
	s_delay_alu instid0(VALU_DEP_1) | instskip(NEXT) | instid1(VALU_DEP_1)
	v_add3_u32 v1, v166, v1, 0x407ffff
	v_and_b32_e32 v4, 0xff00000, v1
	v_lshrrev_b32_e32 v1, 20, v1
	s_delay_alu instid0(VALU_DEP_2) | instskip(NEXT) | instid1(VALU_DEP_2)
	v_cmp_ne_u32_e32 vcc_lo, 0x7f00000, v4
	v_cndmask_b32_e32 v1, 0x7e, v1, vcc_lo
; %bb.4935:
	s_and_not1_saveexec_b32 s28, s28
; %bb.4936:
	v_add_f32_e64 v1, 0x46800000, |v166|
; %bb.4937:
	s_or_b32 exec_lo, exec_lo, s28
                                        ; implicit-def: $vgpr4
.LBB25_4938:
	s_and_not1_saveexec_b32 s27, s27
; %bb.4939:
	v_mov_b32_e32 v1, 0x7f
	v_cmp_lt_u32_e32 vcc_lo, 0x7f800000, v4
	s_delay_alu instid0(VALU_DEP_2)
	v_cndmask_b32_e32 v1, 0x7e, v1, vcc_lo
; %bb.4940:
	s_or_b32 exec_lo, exec_lo, s27
	v_lshrrev_b32_e32 v4, 24, v166
	s_delay_alu instid0(VALU_DEP_1)
	v_and_or_b32 v1, 0x80, v4, v1
	flat_store_b8 v[2:3], v1
.LBB25_4941:
	s_wait_xcnt 0x0
	s_or_b32 exec_lo, exec_lo, s26
                                        ; implicit-def: $vgpr166
                                        ; implicit-def: $vgpr2_vgpr3
.LBB25_4942:
	s_and_not1_saveexec_b32 s25, s25
	s_cbranch_execz .LBB25_4952
; %bb.4943:
	v_and_b32_e32 v4, 0x7fffffff, v166
	s_mov_b32 s26, exec_lo
                                        ; implicit-def: $vgpr1
	s_delay_alu instid0(VALU_DEP_1)
	v_cmpx_gt_u32_e32 0x47800000, v4
	s_xor_b32 s26, exec_lo, s26
	s_cbranch_execz .LBB25_4949
; %bb.4944:
	s_mov_b32 s27, exec_lo
                                        ; implicit-def: $vgpr1
	v_cmpx_lt_u32_e32 0x387fffff, v4
	s_xor_b32 s27, exec_lo, s27
; %bb.4945:
	v_bfe_u32 v1, v166, 21, 1
	s_delay_alu instid0(VALU_DEP_1) | instskip(NEXT) | instid1(VALU_DEP_1)
	v_add3_u32 v1, v166, v1, 0x80fffff
	v_lshrrev_b32_e32 v1, 21, v1
; %bb.4946:
	s_and_not1_saveexec_b32 s27, s27
; %bb.4947:
	v_add_f32_e64 v1, 0x43000000, |v166|
; %bb.4948:
	s_or_b32 exec_lo, exec_lo, s27
                                        ; implicit-def: $vgpr4
.LBB25_4949:
	s_and_not1_saveexec_b32 s26, s26
; %bb.4950:
	v_mov_b32_e32 v1, 0x7f
	v_cmp_lt_u32_e32 vcc_lo, 0x7f800000, v4
	s_delay_alu instid0(VALU_DEP_2)
	v_cndmask_b32_e32 v1, 0x7c, v1, vcc_lo
; %bb.4951:
	s_or_b32 exec_lo, exec_lo, s26
	v_lshrrev_b32_e32 v4, 24, v166
	s_delay_alu instid0(VALU_DEP_1)
	v_and_or_b32 v1, 0x80, v4, v1
	flat_store_b8 v[2:3], v1
.LBB25_4952:
	s_wait_xcnt 0x0
	s_or_b32 exec_lo, exec_lo, s25
	s_delay_alu instid0(SALU_CYCLE_1)
	s_or_b32 s25, s0, exec_lo
                                        ; implicit-def: $vgpr1
                                        ; implicit-def: $vgpr166
                                        ; implicit-def: $vgpr2_vgpr3
.LBB25_4953:
	s_or_saveexec_b32 s24, s24
	s_mov_b32 s26, s22
	s_xor_b32 exec_lo, exec_lo, s24
	s_cbranch_execz .LBB25_4963
; %bb.4954:
	s_mov_b32 s26, s25
	s_mov_b32 s27, s22
	s_mov_b32 s28, exec_lo
	v_cmpx_lt_i16_e32 14, v1
	s_xor_b32 s28, exec_lo, s28
	s_cbranch_execz .LBB25_4958
; %bb.4955:
	s_mov_b32 s29, -1
	s_mov_b32 s26, s25
	s_mov_b32 s27, exec_lo
	v_cmpx_eq_u16_e32 15, v1
	s_cbranch_execz .LBB25_4957
; %bb.4956:
	v_bfe_u32 v1, v166, 16, 1
	v_cmp_o_f32_e32 vcc_lo, v166, v166
	s_xor_b32 s29, exec_lo, -1
	s_or_b32 s26, s25, exec_lo
	s_delay_alu instid0(VALU_DEP_2) | instskip(NEXT) | instid1(VALU_DEP_1)
	v_add3_u32 v1, v166, v1, 0x7fff
	v_lshrrev_b32_e32 v1, 16, v1
	s_delay_alu instid0(VALU_DEP_1)
	v_cndmask_b32_e32 v1, 0x7fc0, v1, vcc_lo
	flat_store_b16 v[2:3], v1
.LBB25_4957:
	s_wait_xcnt 0x0
	s_or_b32 exec_lo, exec_lo, s27
	s_delay_alu instid0(SALU_CYCLE_1)
	s_and_not1_b32 s27, s22, exec_lo
	s_and_b32 s29, s29, exec_lo
	s_and_not1_b32 s40, s25, exec_lo
	s_and_b32 s26, s26, exec_lo
	s_or_b32 s27, s27, s29
	s_or_b32 s26, s40, s26
                                        ; implicit-def: $vgpr1
                                        ; implicit-def: $vgpr166
                                        ; implicit-def: $vgpr2_vgpr3
.LBB25_4958:
	s_and_not1_saveexec_b32 s28, s28
	s_cbranch_execz .LBB25_4962
; %bb.4959:
	s_mov_b32 s40, -1
	s_mov_b32 s29, s26
	s_mov_b32 s41, exec_lo
	v_cmpx_eq_u16_e32 11, v1
	s_cbranch_execz .LBB25_4961
; %bb.4960:
	v_cmp_neq_f32_e32 vcc_lo, 0, v166
	s_xor_b32 s40, exec_lo, -1
	s_or_b32 s29, s26, exec_lo
	v_cndmask_b32_e64 v1, 0, 1, vcc_lo
	flat_store_b8 v[2:3], v1
.LBB25_4961:
	s_wait_xcnt 0x0
	s_or_b32 exec_lo, exec_lo, s41
	s_delay_alu instid0(SALU_CYCLE_1)
	s_and_not1_b32 s27, s27, exec_lo
	s_and_b32 s40, s40, exec_lo
	s_and_not1_b32 s26, s26, exec_lo
	s_and_b32 s29, s29, exec_lo
	s_or_b32 s27, s27, s40
	s_or_b32 s26, s26, s29
.LBB25_4962:
	s_or_b32 exec_lo, exec_lo, s28
	s_delay_alu instid0(SALU_CYCLE_1)
	s_and_not1_b32 s28, s22, exec_lo
	s_and_b32 s27, s27, exec_lo
	s_and_not1_b32 s25, s25, exec_lo
	s_and_b32 s29, s26, exec_lo
	s_or_b32 s26, s28, s27
	s_or_b32 s25, s25, s29
.LBB25_4963:
	s_or_b32 exec_lo, exec_lo, s24
	s_delay_alu instid0(SALU_CYCLE_1)
	s_and_not1_b32 s22, s22, exec_lo
	s_and_b32 s24, s26, exec_lo
	s_and_not1_b32 s0, s0, exec_lo
	s_and_b32 s25, s25, exec_lo
	s_or_b32 s22, s22, s24
	s_or_b32 s0, s0, s25
.LBB25_4964:
	s_or_b32 exec_lo, exec_lo, s23
	s_delay_alu instid0(SALU_CYCLE_1)
	s_and_not1_b32 s23, s17, exec_lo
	s_and_b32 s22, s22, exec_lo
	s_and_b32 s0, s0, exec_lo
	s_or_b32 s22, s23, s22
                                        ; implicit-def: $vgpr1
                                        ; implicit-def: $vgpr166
                                        ; implicit-def: $vgpr2_vgpr3
.LBB25_4965:
	s_and_not1_saveexec_b32 s19, s19
	s_cbranch_execz .LBB25_5007
; %bb.4966:
	s_mov_b32 s23, exec_lo
	v_cmpx_lt_i16_e32 4, v1
	s_xor_b32 s23, exec_lo, s23
	s_cbranch_execz .LBB25_4988
; %bb.4967:
	s_mov_b32 s24, exec_lo
	v_cmpx_lt_i16_e32 7, v1
	s_xor_b32 s24, exec_lo, s24
	;; [unrolled: 5-line block ×4, first 2 shown]
	s_cbranch_execz .LBB25_4971
; %bb.4970:
	v_cvt_f64_f32_e32 v[4:5], v166
	v_mov_b32_e32 v6, 0
                                        ; implicit-def: $vgpr166
	s_delay_alu instid0(VALU_DEP_1)
	v_mov_b32_e32 v7, v6
	flat_store_b128 v[2:3], v[4:7]
                                        ; implicit-def: $vgpr2_vgpr3
.LBB25_4971:
	s_wait_xcnt 0x0
	s_and_not1_saveexec_b32 s26, s26
	s_cbranch_execz .LBB25_4973
; %bb.4972:
	v_mov_b32_e32 v167, 0
	flat_store_b64 v[2:3], v[166:167]
.LBB25_4973:
	s_wait_xcnt 0x0
	s_or_b32 exec_lo, exec_lo, s26
                                        ; implicit-def: $vgpr166
                                        ; implicit-def: $vgpr2_vgpr3
.LBB25_4974:
	s_and_not1_saveexec_b32 s25, s25
	s_cbranch_execz .LBB25_4976
; %bb.4975:
	v_cvt_f16_f32_e64 v1, v166
	s_delay_alu instid0(VALU_DEP_1)
	v_and_b32_e32 v1, 0xffff, v1
	flat_store_b32 v[2:3], v1
.LBB25_4976:
	s_wait_xcnt 0x0
	s_or_b32 exec_lo, exec_lo, s25
                                        ; implicit-def: $vgpr166
                                        ; implicit-def: $vgpr2_vgpr3
                                        ; implicit-def: $vgpr1
.LBB25_4977:
	s_and_not1_saveexec_b32 s24, s24
	s_cbranch_execz .LBB25_4987
; %bb.4978:
	s_mov_b32 s25, exec_lo
	v_cmpx_lt_i16_e32 5, v1
	s_xor_b32 s25, exec_lo, s25
	s_cbranch_execz .LBB25_4984
; %bb.4979:
	s_mov_b32 s26, exec_lo
	v_cmpx_lt_i16_e32 6, v1
	s_xor_b32 s26, exec_lo, s26
	s_cbranch_execz .LBB25_4981
; %bb.4980:
	v_cvt_f64_f32_e32 v[4:5], v166
                                        ; implicit-def: $vgpr166
	flat_store_b64 v[2:3], v[4:5]
                                        ; implicit-def: $vgpr2_vgpr3
.LBB25_4981:
	s_wait_xcnt 0x0
	s_and_not1_saveexec_b32 s26, s26
	s_cbranch_execz .LBB25_4983
; %bb.4982:
	flat_store_b32 v[2:3], v166
.LBB25_4983:
	s_wait_xcnt 0x0
	s_or_b32 exec_lo, exec_lo, s26
                                        ; implicit-def: $vgpr166
                                        ; implicit-def: $vgpr2_vgpr3
.LBB25_4984:
	s_and_not1_saveexec_b32 s25, s25
	s_cbranch_execz .LBB25_4986
; %bb.4985:
	v_cvt_f16_f32_e64 v1, v166
	flat_store_b16 v[2:3], v1
.LBB25_4986:
	s_wait_xcnt 0x0
	s_or_b32 exec_lo, exec_lo, s25
.LBB25_4987:
	s_delay_alu instid0(SALU_CYCLE_1)
	s_or_b32 exec_lo, exec_lo, s24
                                        ; implicit-def: $vgpr1
                                        ; implicit-def: $vgpr166
                                        ; implicit-def: $vgpr2_vgpr3
.LBB25_4988:
	s_and_not1_saveexec_b32 s23, s23
	s_cbranch_execz .LBB25_5006
; %bb.4989:
	s_mov_b32 s24, exec_lo
	v_cmpx_lt_i16_e32 1, v1
	s_xor_b32 s24, exec_lo, s24
	s_cbranch_execz .LBB25_4999
; %bb.4990:
	s_mov_b32 s25, exec_lo
	v_cmpx_lt_i16_e32 2, v1
	s_xor_b32 s25, exec_lo, s25
	;; [unrolled: 5-line block ×3, first 2 shown]
	s_cbranch_execz .LBB25_4993
; %bb.4992:
	v_trunc_f32_e32 v1, v166
                                        ; implicit-def: $vgpr166
	s_delay_alu instid0(VALU_DEP_1) | instskip(NEXT) | instid1(VALU_DEP_1)
	v_mul_f32_e64 v4, 0x2f800000, |v1|
	v_floor_f32_e32 v5, v4
	v_ashrrev_i32_e32 v4, 31, v1
	s_delay_alu instid0(VALU_DEP_2) | instskip(SKIP_1) | instid1(VALU_DEP_3)
	v_fma_f32 v6, 0xcf800000, v5, |v1|
	v_cvt_u32_f32_e32 v1, v5
	v_mov_b32_e32 v5, v4
	s_delay_alu instid0(VALU_DEP_3) | instskip(NEXT) | instid1(VALU_DEP_3)
	v_cvt_u32_f32_e32 v6, v6
	v_xor_b32_e32 v7, v1, v4
	s_delay_alu instid0(VALU_DEP_2) | instskip(NEXT) | instid1(VALU_DEP_1)
	v_xor_b32_e32 v6, v6, v4
	v_sub_nc_u64_e32 v[4:5], v[6:7], v[4:5]
	flat_store_b64 v[2:3], v[4:5]
                                        ; implicit-def: $vgpr2_vgpr3
.LBB25_4993:
	s_wait_xcnt 0x0
	s_and_not1_saveexec_b32 s26, s26
	s_cbranch_execz .LBB25_4995
; %bb.4994:
	v_cvt_i32_f32_e32 v1, v166
	flat_store_b32 v[2:3], v1
.LBB25_4995:
	s_wait_xcnt 0x0
	s_or_b32 exec_lo, exec_lo, s26
                                        ; implicit-def: $vgpr166
                                        ; implicit-def: $vgpr2_vgpr3
.LBB25_4996:
	s_and_not1_saveexec_b32 s25, s25
	s_cbranch_execz .LBB25_4998
; %bb.4997:
	v_cvt_i32_f32_e32 v1, v166
	flat_store_b16 v[2:3], v1
.LBB25_4998:
	s_wait_xcnt 0x0
	s_or_b32 exec_lo, exec_lo, s25
                                        ; implicit-def: $vgpr166
                                        ; implicit-def: $vgpr2_vgpr3
                                        ; implicit-def: $vgpr1
.LBB25_4999:
	s_and_not1_saveexec_b32 s24, s24
	s_cbranch_execz .LBB25_5005
; %bb.5000:
	s_mov_b32 s25, exec_lo
	v_cmpx_lt_i16_e32 0, v1
	s_xor_b32 s25, exec_lo, s25
	s_cbranch_execz .LBB25_5002
; %bb.5001:
	v_cvt_i32_f32_e32 v1, v166
                                        ; implicit-def: $vgpr166
	flat_store_b8 v[2:3], v1
                                        ; implicit-def: $vgpr2_vgpr3
.LBB25_5002:
	s_wait_xcnt 0x0
	s_and_not1_saveexec_b32 s25, s25
	s_cbranch_execz .LBB25_5004
; %bb.5003:
	v_trunc_f32_e32 v1, v166
	s_delay_alu instid0(VALU_DEP_1) | instskip(NEXT) | instid1(VALU_DEP_1)
	v_mul_f32_e64 v4, 0x2f800000, |v1|
	v_floor_f32_e32 v4, v4
	s_delay_alu instid0(VALU_DEP_1) | instskip(SKIP_1) | instid1(VALU_DEP_2)
	v_fma_f32 v4, 0xcf800000, v4, |v1|
	v_ashrrev_i32_e32 v1, 31, v1
	v_cvt_u32_f32_e32 v4, v4
	s_delay_alu instid0(VALU_DEP_1) | instskip(NEXT) | instid1(VALU_DEP_1)
	v_xor_b32_e32 v4, v4, v1
	v_sub_nc_u32_e32 v1, v4, v1
	flat_store_b8 v[2:3], v1
.LBB25_5004:
	s_wait_xcnt 0x0
	s_or_b32 exec_lo, exec_lo, s25
.LBB25_5005:
	s_delay_alu instid0(SALU_CYCLE_1)
	s_or_b32 exec_lo, exec_lo, s24
.LBB25_5006:
	s_delay_alu instid0(SALU_CYCLE_1) | instskip(NEXT) | instid1(SALU_CYCLE_1)
	s_or_b32 exec_lo, exec_lo, s23
	s_or_b32 s0, s0, exec_lo
.LBB25_5007:
	s_or_b32 exec_lo, exec_lo, s19
	s_mov_b32 s23, 0
	s_mov_b32 s19, 0
	s_and_saveexec_b32 s24, s0
; %bb.5008:
	v_add_nc_u32_e32 v209, 0x200, v209
	s_mov_b32 s23, exec_lo
	s_delay_alu instid0(VALU_DEP_1)
	v_cmp_lt_i32_e32 vcc_lo, v209, v211
	s_and_b32 s19, vcc_lo, exec_lo
; %bb.5009:
	s_or_b32 exec_lo, exec_lo, s24
	s_delay_alu instid0(SALU_CYCLE_1)
	s_and_not1_b32 s24, s17, exec_lo
	s_and_b32 s22, s22, exec_lo
	s_and_b32 s0, s19, exec_lo
	s_or_b32 s19, s24, s22
	s_or_not1_b32 s23, s23, exec_lo
.LBB25_5010:
	s_or_b32 exec_lo, exec_lo, s20
	s_mov_b32 s22, 0
	s_mov_b32 s24, 0
                                        ; implicit-def: $vgpr4
                                        ; implicit-def: $vgpr2_vgpr3
	s_and_saveexec_b32 s20, s23
	s_cbranch_execz .LBB25_7822
; %bb.5011:
	s_mov_b32 s25, -1
	s_mov_b32 s23, 0
	s_mov_b32 s21, s19
	s_mov_b32 s26, 0
	s_and_saveexec_b32 s22, s0
	s_cbranch_execz .LBB25_5139
; %bb.5012:
	v_dual_add_nc_u32 v1, s60, v209 :: v_dual_mov_b32 v3, 0
	s_mov_b32 s0, 0
	s_mov_b32 s24, s19
	s_mov_b32 s21, exec_lo
	s_delay_alu instid0(VALU_DEP_1) | instskip(SKIP_1) | instid1(VALU_DEP_2)
	v_mul_lo_u32 v2, v1, v210
	v_and_b32_e32 v1, 0xff, v85
	v_add_nc_u64_e32 v[2:3], v[212:213], v[2:3]
	s_delay_alu instid0(VALU_DEP_2)
	v_cmpx_lt_i16_e32 10, v1
	s_xor_b32 s21, exec_lo, s21
	s_cbranch_execz .LBB25_5094
; %bb.5013:
	s_mov_b32 s24, s19
	s_mov_b32 s25, exec_lo
	v_cmpx_lt_i16_e32 25, v1
	s_xor_b32 s25, exec_lo, s25
	s_cbranch_execz .LBB25_5049
; %bb.5014:
	s_mov_b32 s26, s19
	s_mov_b32 s24, exec_lo
	;; [unrolled: 6-line block ×3, first 2 shown]
	v_cmpx_lt_i16_e32 43, v1
	s_xor_b32 s26, exec_lo, s26
	s_cbranch_execz .LBB25_5027
; %bb.5016:
	s_mov_b32 s27, 0
	s_mov_b32 s28, s19
	s_mov_b32 s0, exec_lo
	v_cmpx_lt_i16_e32 45, v1
	s_xor_b32 s0, exec_lo, s0
	s_cbranch_execz .LBB25_5020
; %bb.5017:
	s_mov_b32 s29, -1
	s_mov_b32 s28, exec_lo
	v_cmpx_eq_u16_e32 46, v1
	s_cbranch_execz .LBB25_5019
; %bb.5018:
	v_bfe_u32 v1, v164, 16, 1
	v_cmp_o_f32_e32 vcc_lo, v164, v164
	s_mov_b32 s27, exec_lo
	s_xor_b32 s29, exec_lo, -1
	s_delay_alu instid0(VALU_DEP_2) | instskip(NEXT) | instid1(VALU_DEP_1)
	v_add3_u32 v1, v164, v1, 0x7fff
	v_lshrrev_b32_e32 v1, 16, v1
	s_delay_alu instid0(VALU_DEP_1)
	v_cndmask_b32_e32 v1, 0x7fc0, v1, vcc_lo
	flat_store_b32 v[2:3], v1
.LBB25_5019:
	s_wait_xcnt 0x0
	s_or_b32 exec_lo, exec_lo, s28
	s_delay_alu instid0(SALU_CYCLE_1)
	s_and_not1_b32 s28, s19, exec_lo
	s_and_b32 s29, s29, exec_lo
	s_and_b32 s27, s27, exec_lo
	s_or_b32 s28, s28, s29
                                        ; implicit-def: $vgpr1
                                        ; implicit-def: $vgpr2_vgpr3
                                        ; implicit-def: $vgpr164
.LBB25_5020:
	s_and_not1_saveexec_b32 s29, s0
	s_cbranch_execz .LBB25_5026
; %bb.5021:
	s_mov_b32 s41, -1
	s_mov_b32 s0, s27
	s_mov_b32 s40, exec_lo
	v_cmpx_eq_u16_e32 44, v1
	s_cbranch_execz .LBB25_5025
; %bb.5022:
	v_bfe_u32 v4, v164, 23, 8
	v_mov_b32_e32 v1, 0xff
	s_mov_b32 s41, exec_lo
	s_delay_alu instid0(VALU_DEP_2)
	v_cmpx_ne_u32_e32 0xff, v4
	s_cbranch_execz .LBB25_5024
; %bb.5023:
	v_and_b32_e32 v1, 0x400000, v164
	v_and_or_b32 v4, 0x3fffff, v164, v4
	s_delay_alu instid0(VALU_DEP_2) | instskip(NEXT) | instid1(VALU_DEP_2)
	v_cmp_ne_u32_e32 vcc_lo, 0, v1
	v_cmp_ne_u32_e64 s0, 0, v4
	v_lshrrev_b32_e32 v1, 23, v164
	s_and_b32 s0, vcc_lo, s0
	s_delay_alu instid0(SALU_CYCLE_1) | instskip(NEXT) | instid1(VALU_DEP_1)
	v_cndmask_b32_e64 v4, 0, 1, s0
	v_add_nc_u32_e32 v1, v1, v4
.LBB25_5024:
	s_or_b32 exec_lo, exec_lo, s41
	s_delay_alu instid0(SALU_CYCLE_1)
	s_xor_b32 s41, exec_lo, -1
	s_or_b32 s0, s27, exec_lo
	flat_store_b8 v[2:3], v1
.LBB25_5025:
	s_wait_xcnt 0x0
	s_or_b32 exec_lo, exec_lo, s40
	s_delay_alu instid0(SALU_CYCLE_1)
	s_and_not1_b32 s28, s28, exec_lo
	s_and_b32 s40, s41, exec_lo
	s_and_not1_b32 s27, s27, exec_lo
	s_and_b32 s0, s0, exec_lo
	s_or_b32 s28, s28, s40
	s_or_b32 s27, s27, s0
.LBB25_5026:
	s_or_b32 exec_lo, exec_lo, s29
	s_delay_alu instid0(SALU_CYCLE_1) | instskip(SKIP_1) | instid1(SALU_CYCLE_1)
	s_and_not1_b32 s0, s19, exec_lo
	s_and_b32 s28, s28, exec_lo
                                        ; implicit-def: $vgpr1
                                        ; implicit-def: $vgpr164
                                        ; implicit-def: $vgpr2_vgpr3
	s_or_b32 s28, s0, s28
	s_and_b32 s0, s27, exec_lo
.LBB25_5027:
	s_and_not1_saveexec_b32 s26, s26
	s_cbranch_execz .LBB25_5031
; %bb.5028:
	s_mov_b32 s40, -1
	s_mov_b32 s29, s0
	s_mov_b32 s27, exec_lo
	v_cmpx_eq_u16_e32 29, v1
	s_cbranch_execz .LBB25_5030
; %bb.5029:
	v_trunc_f32_e32 v1, v164
	s_xor_b32 s40, exec_lo, -1
	s_or_b32 s29, s0, exec_lo
	s_delay_alu instid0(VALU_DEP_1) | instskip(NEXT) | instid1(VALU_DEP_1)
	v_mul_f32_e32 v4, 0x2f800000, v1
	v_floor_f32_e32 v4, v4
	s_delay_alu instid0(VALU_DEP_1) | instskip(SKIP_1) | instid1(VALU_DEP_2)
	v_fmamk_f32 v1, v4, 0xcf800000, v1
	v_cvt_u32_f32_e32 v5, v4
	v_cvt_u32_f32_e32 v4, v1
	flat_store_b64 v[2:3], v[4:5]
.LBB25_5030:
	s_wait_xcnt 0x0
	s_or_b32 exec_lo, exec_lo, s27
	s_delay_alu instid0(SALU_CYCLE_1)
	s_and_not1_b32 s27, s28, exec_lo
	s_and_b32 s28, s40, exec_lo
	s_and_not1_b32 s0, s0, exec_lo
	s_and_b32 s29, s29, exec_lo
	s_or_b32 s28, s27, s28
	s_or_b32 s0, s0, s29
.LBB25_5031:
	s_or_b32 exec_lo, exec_lo, s26
	s_delay_alu instid0(SALU_CYCLE_1)
	s_and_not1_b32 s26, s19, exec_lo
	s_and_b32 s27, s28, exec_lo
	s_and_b32 s0, s0, exec_lo
	s_or_b32 s26, s26, s27
                                        ; implicit-def: $vgpr2_vgpr3
                                        ; implicit-def: $vgpr1
                                        ; implicit-def: $vgpr164
.LBB25_5032:
	s_and_not1_saveexec_b32 s24, s24
	s_cbranch_execz .LBB25_5048
; %bb.5033:
	s_mov_b32 s27, exec_lo
	v_cmpx_lt_i16_e32 26, v1
	s_xor_b32 s27, exec_lo, s27
	s_cbranch_execz .LBB25_5039
; %bb.5034:
	v_cmp_lt_i16_e32 vcc_lo, 27, v1
	v_cvt_u32_f32_e32 v1, v164
	s_and_saveexec_b32 s28, vcc_lo
	s_delay_alu instid0(SALU_CYCLE_1)
	s_xor_b32 s28, exec_lo, s28
	s_cbranch_execz .LBB25_5036
; %bb.5035:
	flat_store_b32 v[2:3], v1
                                        ; implicit-def: $vgpr2_vgpr3
                                        ; implicit-def: $vgpr1
.LBB25_5036:
	s_wait_xcnt 0x0
	s_and_not1_saveexec_b32 s28, s28
	s_cbranch_execz .LBB25_5038
; %bb.5037:
	flat_store_b16 v[2:3], v1
.LBB25_5038:
	s_wait_xcnt 0x0
	s_or_b32 exec_lo, exec_lo, s28
                                        ; implicit-def: $vgpr2_vgpr3
                                        ; implicit-def: $vgpr164
.LBB25_5039:
	s_and_not1_saveexec_b32 s27, s27
	s_cbranch_execz .LBB25_5047
; %bb.5040:
	v_and_b32_e32 v1, 0x7fffffff, v164
	v_mov_b32_e32 v4, 0x80
	s_mov_b32 s28, exec_lo
	s_delay_alu instid0(VALU_DEP_2)
	v_cmpx_gt_u32_e32 0x43800000, v1
	s_cbranch_execz .LBB25_5046
; %bb.5041:
	v_cmp_lt_u32_e32 vcc_lo, 0x3bffffff, v1
	s_mov_b32 s29, 0
                                        ; implicit-def: $vgpr1
	s_and_saveexec_b32 s40, vcc_lo
	s_delay_alu instid0(SALU_CYCLE_1)
	s_xor_b32 s40, exec_lo, s40
	s_cbranch_execnz .LBB25_7919
; %bb.5042:
	s_and_not1_saveexec_b32 s40, s40
	s_cbranch_execnz .LBB25_7920
.LBB25_5043:
	s_or_b32 exec_lo, exec_lo, s40
	v_mov_b32_e32 v4, 0
	s_and_saveexec_b32 s40, s29
.LBB25_5044:
	v_lshrrev_b32_e32 v4, 24, v164
	s_delay_alu instid0(VALU_DEP_1)
	v_and_or_b32 v4, 0x80, v4, v1
.LBB25_5045:
	s_or_b32 exec_lo, exec_lo, s40
.LBB25_5046:
	s_delay_alu instid0(SALU_CYCLE_1)
	s_or_b32 exec_lo, exec_lo, s28
	flat_store_b8 v[2:3], v4
.LBB25_5047:
	s_wait_xcnt 0x0
	s_or_b32 exec_lo, exec_lo, s27
	s_delay_alu instid0(SALU_CYCLE_1)
	s_or_b32 s0, s0, exec_lo
.LBB25_5048:
	s_or_b32 exec_lo, exec_lo, s24
	s_delay_alu instid0(SALU_CYCLE_1)
	s_and_not1_b32 s24, s19, exec_lo
	s_and_b32 s26, s26, exec_lo
	s_and_b32 s0, s0, exec_lo
	s_or_b32 s24, s24, s26
                                        ; implicit-def: $vgpr1
                                        ; implicit-def: $vgpr164
                                        ; implicit-def: $vgpr2_vgpr3
.LBB25_5049:
	s_and_not1_saveexec_b32 s25, s25
	s_cbranch_execz .LBB25_5093
; %bb.5050:
	s_mov_b32 s27, s0
	s_mov_b32 s26, exec_lo
	v_cmpx_lt_i16_e32 22, v1
	s_xor_b32 s26, exec_lo, s26
	s_cbranch_execz .LBB25_5082
; %bb.5051:
	s_mov_b32 s27, exec_lo
	v_cmpx_lt_i16_e32 23, v1
	s_xor_b32 s27, exec_lo, s27
	s_cbranch_execz .LBB25_5071
; %bb.5052:
	;; [unrolled: 5-line block ×3, first 2 shown]
	v_and_b32_e32 v1, 0x7fffffff, v164
	v_mov_b32_e32 v4, 0x80
	s_mov_b32 s29, exec_lo
	s_delay_alu instid0(VALU_DEP_2)
	v_cmpx_gt_u32_e32 0x47800000, v1
	s_cbranch_execz .LBB25_5059
; %bb.5054:
	v_cmp_lt_u32_e32 vcc_lo, 0x37ffffff, v1
	s_mov_b32 s40, 0
                                        ; implicit-def: $vgpr1
	s_and_saveexec_b32 s41, vcc_lo
	s_delay_alu instid0(SALU_CYCLE_1)
	s_xor_b32 s41, exec_lo, s41
	s_cbranch_execnz .LBB25_7921
; %bb.5055:
	s_and_not1_saveexec_b32 s41, s41
	s_cbranch_execnz .LBB25_7922
.LBB25_5056:
	s_or_b32 exec_lo, exec_lo, s41
	v_mov_b32_e32 v4, 0
	s_and_saveexec_b32 s41, s40
.LBB25_5057:
	v_lshrrev_b32_e32 v4, 24, v164
	s_delay_alu instid0(VALU_DEP_1)
	v_and_or_b32 v4, 0x80, v4, v1
.LBB25_5058:
	s_or_b32 exec_lo, exec_lo, s41
.LBB25_5059:
	s_delay_alu instid0(SALU_CYCLE_1)
	s_or_b32 exec_lo, exec_lo, s29
	flat_store_b8 v[2:3], v4
                                        ; implicit-def: $vgpr164
                                        ; implicit-def: $vgpr2_vgpr3
.LBB25_5060:
	s_wait_xcnt 0x0
	s_and_not1_saveexec_b32 s28, s28
	s_cbranch_execz .LBB25_5070
; %bb.5061:
	v_and_b32_e32 v4, 0x7fffffff, v164
	s_mov_b32 s29, exec_lo
                                        ; implicit-def: $vgpr1
	s_delay_alu instid0(VALU_DEP_1)
	v_cmpx_gt_u32_e32 0x43f00000, v4
	s_xor_b32 s29, exec_lo, s29
	s_cbranch_execz .LBB25_5067
; %bb.5062:
	s_mov_b32 s40, exec_lo
                                        ; implicit-def: $vgpr1
	v_cmpx_lt_u32_e32 0x3c7fffff, v4
	s_xor_b32 s40, exec_lo, s40
; %bb.5063:
	v_bfe_u32 v1, v164, 20, 1
	s_delay_alu instid0(VALU_DEP_1) | instskip(NEXT) | instid1(VALU_DEP_1)
	v_add3_u32 v1, v164, v1, 0x407ffff
	v_and_b32_e32 v4, 0xff00000, v1
	v_lshrrev_b32_e32 v1, 20, v1
	s_delay_alu instid0(VALU_DEP_2) | instskip(NEXT) | instid1(VALU_DEP_2)
	v_cmp_ne_u32_e32 vcc_lo, 0x7f00000, v4
	v_cndmask_b32_e32 v1, 0x7e, v1, vcc_lo
; %bb.5064:
	s_and_not1_saveexec_b32 s40, s40
; %bb.5065:
	v_add_f32_e64 v1, 0x46800000, |v164|
; %bb.5066:
	s_or_b32 exec_lo, exec_lo, s40
                                        ; implicit-def: $vgpr4
.LBB25_5067:
	s_and_not1_saveexec_b32 s29, s29
; %bb.5068:
	v_mov_b32_e32 v1, 0x7f
	v_cmp_lt_u32_e32 vcc_lo, 0x7f800000, v4
	s_delay_alu instid0(VALU_DEP_2)
	v_cndmask_b32_e32 v1, 0x7e, v1, vcc_lo
; %bb.5069:
	s_or_b32 exec_lo, exec_lo, s29
	v_lshrrev_b32_e32 v4, 24, v164
	s_delay_alu instid0(VALU_DEP_1)
	v_and_or_b32 v1, 0x80, v4, v1
	flat_store_b8 v[2:3], v1
.LBB25_5070:
	s_wait_xcnt 0x0
	s_or_b32 exec_lo, exec_lo, s28
                                        ; implicit-def: $vgpr164
                                        ; implicit-def: $vgpr2_vgpr3
.LBB25_5071:
	s_and_not1_saveexec_b32 s27, s27
	s_cbranch_execz .LBB25_5081
; %bb.5072:
	v_and_b32_e32 v4, 0x7fffffff, v164
	s_mov_b32 s28, exec_lo
                                        ; implicit-def: $vgpr1
	s_delay_alu instid0(VALU_DEP_1)
	v_cmpx_gt_u32_e32 0x47800000, v4
	s_xor_b32 s28, exec_lo, s28
	s_cbranch_execz .LBB25_5078
; %bb.5073:
	s_mov_b32 s29, exec_lo
                                        ; implicit-def: $vgpr1
	v_cmpx_lt_u32_e32 0x387fffff, v4
	s_xor_b32 s29, exec_lo, s29
; %bb.5074:
	v_bfe_u32 v1, v164, 21, 1
	s_delay_alu instid0(VALU_DEP_1) | instskip(NEXT) | instid1(VALU_DEP_1)
	v_add3_u32 v1, v164, v1, 0x80fffff
	v_lshrrev_b32_e32 v1, 21, v1
; %bb.5075:
	s_and_not1_saveexec_b32 s29, s29
; %bb.5076:
	v_add_f32_e64 v1, 0x43000000, |v164|
; %bb.5077:
	s_or_b32 exec_lo, exec_lo, s29
                                        ; implicit-def: $vgpr4
.LBB25_5078:
	s_and_not1_saveexec_b32 s28, s28
; %bb.5079:
	v_mov_b32_e32 v1, 0x7f
	v_cmp_lt_u32_e32 vcc_lo, 0x7f800000, v4
	s_delay_alu instid0(VALU_DEP_2)
	v_cndmask_b32_e32 v1, 0x7c, v1, vcc_lo
; %bb.5080:
	s_or_b32 exec_lo, exec_lo, s28
	v_lshrrev_b32_e32 v4, 24, v164
	s_delay_alu instid0(VALU_DEP_1)
	v_and_or_b32 v1, 0x80, v4, v1
	flat_store_b8 v[2:3], v1
.LBB25_5081:
	s_wait_xcnt 0x0
	s_or_b32 exec_lo, exec_lo, s27
	s_delay_alu instid0(SALU_CYCLE_1)
	s_or_b32 s27, s0, exec_lo
                                        ; implicit-def: $vgpr1
                                        ; implicit-def: $vgpr164
                                        ; implicit-def: $vgpr2_vgpr3
.LBB25_5082:
	s_or_saveexec_b32 s26, s26
	s_mov_b32 s28, s24
	s_xor_b32 exec_lo, exec_lo, s26
	s_cbranch_execz .LBB25_5092
; %bb.5083:
	s_mov_b32 s28, s27
	s_mov_b32 s29, s24
	s_mov_b32 s40, exec_lo
	v_cmpx_lt_i16_e32 14, v1
	s_xor_b32 s40, exec_lo, s40
	s_cbranch_execz .LBB25_5087
; %bb.5084:
	s_mov_b32 s41, -1
	s_mov_b32 s28, s27
	s_mov_b32 s29, exec_lo
	v_cmpx_eq_u16_e32 15, v1
	s_cbranch_execz .LBB25_5086
; %bb.5085:
	v_bfe_u32 v1, v164, 16, 1
	v_cmp_o_f32_e32 vcc_lo, v164, v164
	s_xor_b32 s41, exec_lo, -1
	s_or_b32 s28, s27, exec_lo
	s_delay_alu instid0(VALU_DEP_2) | instskip(NEXT) | instid1(VALU_DEP_1)
	v_add3_u32 v1, v164, v1, 0x7fff
	v_lshrrev_b32_e32 v1, 16, v1
	s_delay_alu instid0(VALU_DEP_1)
	v_cndmask_b32_e32 v1, 0x7fc0, v1, vcc_lo
	flat_store_b16 v[2:3], v1
.LBB25_5086:
	s_wait_xcnt 0x0
	s_or_b32 exec_lo, exec_lo, s29
	s_delay_alu instid0(SALU_CYCLE_1)
	s_and_not1_b32 s29, s24, exec_lo
	s_and_b32 s41, s41, exec_lo
	s_and_not1_b32 s42, s27, exec_lo
	s_and_b32 s28, s28, exec_lo
	s_or_b32 s29, s29, s41
	s_or_b32 s28, s42, s28
                                        ; implicit-def: $vgpr1
                                        ; implicit-def: $vgpr164
                                        ; implicit-def: $vgpr2_vgpr3
.LBB25_5087:
	s_and_not1_saveexec_b32 s40, s40
	s_cbranch_execz .LBB25_5091
; %bb.5088:
	s_mov_b32 s42, -1
	s_mov_b32 s41, s28
	s_mov_b32 s43, exec_lo
	v_cmpx_eq_u16_e32 11, v1
	s_cbranch_execz .LBB25_5090
; %bb.5089:
	v_cmp_neq_f32_e32 vcc_lo, 0, v164
	s_xor_b32 s42, exec_lo, -1
	s_or_b32 s41, s28, exec_lo
	v_cndmask_b32_e64 v1, 0, 1, vcc_lo
	flat_store_b8 v[2:3], v1
.LBB25_5090:
	s_wait_xcnt 0x0
	s_or_b32 exec_lo, exec_lo, s43
	s_delay_alu instid0(SALU_CYCLE_1)
	s_and_not1_b32 s29, s29, exec_lo
	s_and_b32 s42, s42, exec_lo
	s_and_not1_b32 s28, s28, exec_lo
	s_and_b32 s41, s41, exec_lo
	s_or_b32 s29, s29, s42
	s_or_b32 s28, s28, s41
.LBB25_5091:
	s_or_b32 exec_lo, exec_lo, s40
	s_delay_alu instid0(SALU_CYCLE_1)
	s_and_not1_b32 s40, s24, exec_lo
	s_and_b32 s29, s29, exec_lo
	s_and_not1_b32 s27, s27, exec_lo
	s_and_b32 s41, s28, exec_lo
	s_or_b32 s28, s40, s29
	s_or_b32 s27, s27, s41
.LBB25_5092:
	s_or_b32 exec_lo, exec_lo, s26
	s_delay_alu instid0(SALU_CYCLE_1)
	s_and_not1_b32 s24, s24, exec_lo
	s_and_b32 s26, s28, exec_lo
	s_and_not1_b32 s0, s0, exec_lo
	s_and_b32 s27, s27, exec_lo
	s_or_b32 s24, s24, s26
	s_or_b32 s0, s0, s27
.LBB25_5093:
	s_or_b32 exec_lo, exec_lo, s25
	s_delay_alu instid0(SALU_CYCLE_1)
	s_and_not1_b32 s25, s19, exec_lo
	s_and_b32 s24, s24, exec_lo
	s_and_b32 s0, s0, exec_lo
	s_or_b32 s24, s25, s24
                                        ; implicit-def: $vgpr1
                                        ; implicit-def: $vgpr164
                                        ; implicit-def: $vgpr2_vgpr3
.LBB25_5094:
	s_and_not1_saveexec_b32 s21, s21
	s_cbranch_execz .LBB25_5136
; %bb.5095:
	s_mov_b32 s25, exec_lo
	v_cmpx_lt_i16_e32 4, v1
	s_xor_b32 s25, exec_lo, s25
	s_cbranch_execz .LBB25_5117
; %bb.5096:
	s_mov_b32 s26, exec_lo
	v_cmpx_lt_i16_e32 7, v1
	s_xor_b32 s26, exec_lo, s26
	s_cbranch_execz .LBB25_5106
; %bb.5097:
	s_mov_b32 s27, exec_lo
	v_cmpx_lt_i16_e32 8, v1
	s_xor_b32 s27, exec_lo, s27
	s_cbranch_execz .LBB25_5103
; %bb.5098:
	s_mov_b32 s28, exec_lo
	v_cmpx_lt_i16_e32 9, v1
	s_xor_b32 s28, exec_lo, s28
	s_cbranch_execz .LBB25_5100
; %bb.5099:
	v_cvt_f64_f32_e32 v[4:5], v164
	v_mov_b32_e32 v6, 0
                                        ; implicit-def: $vgpr164
	s_delay_alu instid0(VALU_DEP_1)
	v_mov_b32_e32 v7, v6
	flat_store_b128 v[2:3], v[4:7]
                                        ; implicit-def: $vgpr2_vgpr3
.LBB25_5100:
	s_wait_xcnt 0x0
	s_and_not1_saveexec_b32 s28, s28
	s_cbranch_execz .LBB25_5102
; %bb.5101:
	v_mov_b32_e32 v165, 0
	flat_store_b64 v[2:3], v[164:165]
.LBB25_5102:
	s_wait_xcnt 0x0
	s_or_b32 exec_lo, exec_lo, s28
                                        ; implicit-def: $vgpr164
                                        ; implicit-def: $vgpr2_vgpr3
.LBB25_5103:
	s_and_not1_saveexec_b32 s27, s27
	s_cbranch_execz .LBB25_5105
; %bb.5104:
	v_cvt_f16_f32_e64 v1, v164
	s_delay_alu instid0(VALU_DEP_1)
	v_and_b32_e32 v1, 0xffff, v1
	flat_store_b32 v[2:3], v1
.LBB25_5105:
	s_wait_xcnt 0x0
	s_or_b32 exec_lo, exec_lo, s27
                                        ; implicit-def: $vgpr164
                                        ; implicit-def: $vgpr2_vgpr3
                                        ; implicit-def: $vgpr1
.LBB25_5106:
	s_and_not1_saveexec_b32 s26, s26
	s_cbranch_execz .LBB25_5116
; %bb.5107:
	s_mov_b32 s27, exec_lo
	v_cmpx_lt_i16_e32 5, v1
	s_xor_b32 s27, exec_lo, s27
	s_cbranch_execz .LBB25_5113
; %bb.5108:
	s_mov_b32 s28, exec_lo
	v_cmpx_lt_i16_e32 6, v1
	s_xor_b32 s28, exec_lo, s28
	s_cbranch_execz .LBB25_5110
; %bb.5109:
	v_cvt_f64_f32_e32 v[4:5], v164
                                        ; implicit-def: $vgpr164
	flat_store_b64 v[2:3], v[4:5]
                                        ; implicit-def: $vgpr2_vgpr3
.LBB25_5110:
	s_wait_xcnt 0x0
	s_and_not1_saveexec_b32 s28, s28
	s_cbranch_execz .LBB25_5112
; %bb.5111:
	flat_store_b32 v[2:3], v164
.LBB25_5112:
	s_wait_xcnt 0x0
	s_or_b32 exec_lo, exec_lo, s28
                                        ; implicit-def: $vgpr164
                                        ; implicit-def: $vgpr2_vgpr3
.LBB25_5113:
	s_and_not1_saveexec_b32 s27, s27
	s_cbranch_execz .LBB25_5115
; %bb.5114:
	v_cvt_f16_f32_e64 v1, v164
	flat_store_b16 v[2:3], v1
.LBB25_5115:
	s_wait_xcnt 0x0
	s_or_b32 exec_lo, exec_lo, s27
.LBB25_5116:
	s_delay_alu instid0(SALU_CYCLE_1)
	s_or_b32 exec_lo, exec_lo, s26
                                        ; implicit-def: $vgpr1
                                        ; implicit-def: $vgpr164
                                        ; implicit-def: $vgpr2_vgpr3
.LBB25_5117:
	s_and_not1_saveexec_b32 s25, s25
	s_cbranch_execz .LBB25_5135
; %bb.5118:
	s_mov_b32 s26, exec_lo
	v_cmpx_lt_i16_e32 1, v1
	s_xor_b32 s26, exec_lo, s26
	s_cbranch_execz .LBB25_5128
; %bb.5119:
	s_mov_b32 s27, exec_lo
	v_cmpx_lt_i16_e32 2, v1
	s_xor_b32 s27, exec_lo, s27
	;; [unrolled: 5-line block ×3, first 2 shown]
	s_cbranch_execz .LBB25_5122
; %bb.5121:
	v_trunc_f32_e32 v1, v164
                                        ; implicit-def: $vgpr164
	s_delay_alu instid0(VALU_DEP_1) | instskip(NEXT) | instid1(VALU_DEP_1)
	v_mul_f32_e64 v4, 0x2f800000, |v1|
	v_floor_f32_e32 v5, v4
	v_ashrrev_i32_e32 v4, 31, v1
	s_delay_alu instid0(VALU_DEP_2) | instskip(SKIP_1) | instid1(VALU_DEP_3)
	v_fma_f32 v6, 0xcf800000, v5, |v1|
	v_cvt_u32_f32_e32 v1, v5
	v_mov_b32_e32 v5, v4
	s_delay_alu instid0(VALU_DEP_3) | instskip(NEXT) | instid1(VALU_DEP_3)
	v_cvt_u32_f32_e32 v6, v6
	v_xor_b32_e32 v7, v1, v4
	s_delay_alu instid0(VALU_DEP_2) | instskip(NEXT) | instid1(VALU_DEP_1)
	v_xor_b32_e32 v6, v6, v4
	v_sub_nc_u64_e32 v[4:5], v[6:7], v[4:5]
	flat_store_b64 v[2:3], v[4:5]
                                        ; implicit-def: $vgpr2_vgpr3
.LBB25_5122:
	s_wait_xcnt 0x0
	s_and_not1_saveexec_b32 s28, s28
	s_cbranch_execz .LBB25_5124
; %bb.5123:
	v_cvt_i32_f32_e32 v1, v164
	flat_store_b32 v[2:3], v1
.LBB25_5124:
	s_wait_xcnt 0x0
	s_or_b32 exec_lo, exec_lo, s28
                                        ; implicit-def: $vgpr164
                                        ; implicit-def: $vgpr2_vgpr3
.LBB25_5125:
	s_and_not1_saveexec_b32 s27, s27
	s_cbranch_execz .LBB25_5127
; %bb.5126:
	v_cvt_i32_f32_e32 v1, v164
	flat_store_b16 v[2:3], v1
.LBB25_5127:
	s_wait_xcnt 0x0
	s_or_b32 exec_lo, exec_lo, s27
                                        ; implicit-def: $vgpr164
                                        ; implicit-def: $vgpr2_vgpr3
                                        ; implicit-def: $vgpr1
.LBB25_5128:
	s_and_not1_saveexec_b32 s26, s26
	s_cbranch_execz .LBB25_5134
; %bb.5129:
	s_mov_b32 s27, exec_lo
	v_cmpx_lt_i16_e32 0, v1
	s_xor_b32 s27, exec_lo, s27
	s_cbranch_execz .LBB25_5131
; %bb.5130:
	v_cvt_i32_f32_e32 v1, v164
                                        ; implicit-def: $vgpr164
	flat_store_b8 v[2:3], v1
                                        ; implicit-def: $vgpr2_vgpr3
.LBB25_5131:
	s_wait_xcnt 0x0
	s_and_not1_saveexec_b32 s27, s27
	s_cbranch_execz .LBB25_5133
; %bb.5132:
	v_trunc_f32_e32 v1, v164
	s_delay_alu instid0(VALU_DEP_1) | instskip(NEXT) | instid1(VALU_DEP_1)
	v_mul_f32_e64 v4, 0x2f800000, |v1|
	v_floor_f32_e32 v4, v4
	s_delay_alu instid0(VALU_DEP_1) | instskip(SKIP_1) | instid1(VALU_DEP_2)
	v_fma_f32 v4, 0xcf800000, v4, |v1|
	v_ashrrev_i32_e32 v1, 31, v1
	v_cvt_u32_f32_e32 v4, v4
	s_delay_alu instid0(VALU_DEP_1) | instskip(NEXT) | instid1(VALU_DEP_1)
	v_xor_b32_e32 v4, v4, v1
	v_sub_nc_u32_e32 v1, v4, v1
	flat_store_b8 v[2:3], v1
.LBB25_5133:
	s_wait_xcnt 0x0
	s_or_b32 exec_lo, exec_lo, s27
.LBB25_5134:
	s_delay_alu instid0(SALU_CYCLE_1)
	s_or_b32 exec_lo, exec_lo, s26
.LBB25_5135:
	s_delay_alu instid0(SALU_CYCLE_1) | instskip(NEXT) | instid1(SALU_CYCLE_1)
	s_or_b32 exec_lo, exec_lo, s25
	s_or_b32 s0, s0, exec_lo
.LBB25_5136:
	s_or_b32 exec_lo, exec_lo, s21
	s_mov_b32 s25, 0
	s_mov_b32 s21, 0
	s_and_saveexec_b32 s26, s0
; %bb.5137:
	v_add_nc_u32_e32 v209, 0x200, v209
	s_mov_b32 s25, exec_lo
	s_delay_alu instid0(VALU_DEP_1)
	v_cmp_lt_i32_e32 vcc_lo, v209, v211
	s_and_b32 s21, vcc_lo, exec_lo
; %bb.5138:
	s_or_b32 exec_lo, exec_lo, s26
	s_delay_alu instid0(SALU_CYCLE_1)
	s_and_not1_b32 s0, s19, exec_lo
	s_and_b32 s24, s24, exec_lo
	s_and_b32 s26, s21, exec_lo
	s_or_b32 s21, s0, s24
	s_or_not1_b32 s25, s25, exec_lo
.LBB25_5139:
	s_or_b32 exec_lo, exec_lo, s22
	s_mov_b32 s0, 0
	s_mov_b32 s24, 0
                                        ; implicit-def: $vgpr4
                                        ; implicit-def: $vgpr2_vgpr3
	s_and_saveexec_b32 s22, s25
	s_cbranch_execz .LBB25_7821
; %bb.5140:
	s_mov_b32 s27, -1
	s_mov_b32 s25, 0
	s_mov_b32 s23, s21
	s_and_saveexec_b32 s24, s26
	s_cbranch_execz .LBB25_5268
; %bb.5141:
	v_dual_add_nc_u32 v1, s60, v209 :: v_dual_mov_b32 v3, 0
	s_mov_b32 s26, s21
	s_mov_b32 s23, exec_lo
	s_delay_alu instid0(VALU_DEP_1) | instskip(SKIP_1) | instid1(VALU_DEP_2)
	v_mul_lo_u32 v2, v1, v210
	v_and_b32_e32 v1, 0xff, v85
	v_add_nc_u64_e32 v[2:3], v[212:213], v[2:3]
	s_delay_alu instid0(VALU_DEP_2)
	v_cmpx_lt_i16_e32 10, v1
	s_xor_b32 s23, exec_lo, s23
	s_cbranch_execz .LBB25_5223
; %bb.5142:
	s_mov_b32 s26, s21
	s_mov_b32 s27, exec_lo
	v_cmpx_lt_i16_e32 25, v1
	s_xor_b32 s27, exec_lo, s27
	s_cbranch_execz .LBB25_5178
; %bb.5143:
	s_mov_b32 s28, s21
	s_mov_b32 s26, exec_lo
	;; [unrolled: 6-line block ×3, first 2 shown]
	v_cmpx_lt_i16_e32 43, v1
	s_xor_b32 s28, exec_lo, s28
	s_cbranch_execz .LBB25_5156
; %bb.5145:
	s_mov_b32 s29, 0
	s_mov_b32 s40, s21
	s_mov_b32 s0, exec_lo
	v_cmpx_lt_i16_e32 45, v1
	s_xor_b32 s0, exec_lo, s0
	s_cbranch_execz .LBB25_5149
; %bb.5146:
	s_mov_b32 s41, -1
	s_mov_b32 s40, exec_lo
	v_cmpx_eq_u16_e32 46, v1
	s_cbranch_execz .LBB25_5148
; %bb.5147:
	v_bfe_u32 v1, v162, 16, 1
	v_cmp_o_f32_e32 vcc_lo, v162, v162
	s_mov_b32 s29, exec_lo
	s_xor_b32 s41, exec_lo, -1
	s_delay_alu instid0(VALU_DEP_2) | instskip(NEXT) | instid1(VALU_DEP_1)
	v_add3_u32 v1, v162, v1, 0x7fff
	v_lshrrev_b32_e32 v1, 16, v1
	s_delay_alu instid0(VALU_DEP_1)
	v_cndmask_b32_e32 v1, 0x7fc0, v1, vcc_lo
	flat_store_b32 v[2:3], v1
.LBB25_5148:
	s_wait_xcnt 0x0
	s_or_b32 exec_lo, exec_lo, s40
	s_delay_alu instid0(SALU_CYCLE_1)
	s_and_not1_b32 s40, s21, exec_lo
	s_and_b32 s41, s41, exec_lo
	s_and_b32 s29, s29, exec_lo
	s_or_b32 s40, s40, s41
                                        ; implicit-def: $vgpr1
                                        ; implicit-def: $vgpr2_vgpr3
                                        ; implicit-def: $vgpr162
.LBB25_5149:
	s_and_not1_saveexec_b32 s41, s0
	s_cbranch_execz .LBB25_5155
; %bb.5150:
	s_mov_b32 s43, -1
	s_mov_b32 s0, s29
	s_mov_b32 s42, exec_lo
	v_cmpx_eq_u16_e32 44, v1
	s_cbranch_execz .LBB25_5154
; %bb.5151:
	v_bfe_u32 v4, v162, 23, 8
	v_mov_b32_e32 v1, 0xff
	s_mov_b32 s43, exec_lo
	s_delay_alu instid0(VALU_DEP_2)
	v_cmpx_ne_u32_e32 0xff, v4
	s_cbranch_execz .LBB25_5153
; %bb.5152:
	v_and_b32_e32 v1, 0x400000, v162
	v_and_or_b32 v4, 0x3fffff, v162, v4
	s_delay_alu instid0(VALU_DEP_2) | instskip(NEXT) | instid1(VALU_DEP_2)
	v_cmp_ne_u32_e32 vcc_lo, 0, v1
	v_cmp_ne_u32_e64 s0, 0, v4
	v_lshrrev_b32_e32 v1, 23, v162
	s_and_b32 s0, vcc_lo, s0
	s_delay_alu instid0(SALU_CYCLE_1) | instskip(NEXT) | instid1(VALU_DEP_1)
	v_cndmask_b32_e64 v4, 0, 1, s0
	v_add_nc_u32_e32 v1, v1, v4
.LBB25_5153:
	s_or_b32 exec_lo, exec_lo, s43
	s_delay_alu instid0(SALU_CYCLE_1)
	s_xor_b32 s43, exec_lo, -1
	s_or_b32 s0, s29, exec_lo
	flat_store_b8 v[2:3], v1
.LBB25_5154:
	s_wait_xcnt 0x0
	s_or_b32 exec_lo, exec_lo, s42
	s_delay_alu instid0(SALU_CYCLE_1)
	s_and_not1_b32 s40, s40, exec_lo
	s_and_b32 s42, s43, exec_lo
	s_and_not1_b32 s29, s29, exec_lo
	s_and_b32 s0, s0, exec_lo
	s_or_b32 s40, s40, s42
	s_or_b32 s29, s29, s0
.LBB25_5155:
	s_or_b32 exec_lo, exec_lo, s41
	s_delay_alu instid0(SALU_CYCLE_1) | instskip(SKIP_1) | instid1(SALU_CYCLE_1)
	s_and_not1_b32 s0, s21, exec_lo
	s_and_b32 s40, s40, exec_lo
                                        ; implicit-def: $vgpr1
                                        ; implicit-def: $vgpr162
                                        ; implicit-def: $vgpr2_vgpr3
	s_or_b32 s40, s0, s40
	s_and_b32 s0, s29, exec_lo
.LBB25_5156:
	s_and_not1_saveexec_b32 s28, s28
	s_cbranch_execz .LBB25_5160
; %bb.5157:
	s_mov_b32 s42, -1
	s_mov_b32 s41, s0
	s_mov_b32 s29, exec_lo
	v_cmpx_eq_u16_e32 29, v1
	s_cbranch_execz .LBB25_5159
; %bb.5158:
	v_trunc_f32_e32 v1, v162
	s_xor_b32 s42, exec_lo, -1
	s_or_b32 s41, s0, exec_lo
	s_delay_alu instid0(VALU_DEP_1) | instskip(NEXT) | instid1(VALU_DEP_1)
	v_mul_f32_e32 v4, 0x2f800000, v1
	v_floor_f32_e32 v4, v4
	s_delay_alu instid0(VALU_DEP_1) | instskip(SKIP_1) | instid1(VALU_DEP_2)
	v_fmamk_f32 v1, v4, 0xcf800000, v1
	v_cvt_u32_f32_e32 v5, v4
	v_cvt_u32_f32_e32 v4, v1
	flat_store_b64 v[2:3], v[4:5]
.LBB25_5159:
	s_wait_xcnt 0x0
	s_or_b32 exec_lo, exec_lo, s29
	s_delay_alu instid0(SALU_CYCLE_1)
	s_and_not1_b32 s29, s40, exec_lo
	s_and_b32 s40, s42, exec_lo
	s_and_not1_b32 s0, s0, exec_lo
	s_and_b32 s41, s41, exec_lo
	s_or_b32 s40, s29, s40
	s_or_b32 s0, s0, s41
.LBB25_5160:
	s_or_b32 exec_lo, exec_lo, s28
	s_delay_alu instid0(SALU_CYCLE_1)
	s_and_not1_b32 s28, s21, exec_lo
	s_and_b32 s29, s40, exec_lo
	s_and_b32 s0, s0, exec_lo
	s_or_b32 s28, s28, s29
                                        ; implicit-def: $vgpr2_vgpr3
                                        ; implicit-def: $vgpr1
                                        ; implicit-def: $vgpr162
.LBB25_5161:
	s_and_not1_saveexec_b32 s26, s26
	s_cbranch_execz .LBB25_5177
; %bb.5162:
	s_mov_b32 s29, exec_lo
	v_cmpx_lt_i16_e32 26, v1
	s_xor_b32 s29, exec_lo, s29
	s_cbranch_execz .LBB25_5168
; %bb.5163:
	v_cmp_lt_i16_e32 vcc_lo, 27, v1
	v_cvt_u32_f32_e32 v1, v162
	s_and_saveexec_b32 s40, vcc_lo
	s_delay_alu instid0(SALU_CYCLE_1)
	s_xor_b32 s40, exec_lo, s40
	s_cbranch_execz .LBB25_5165
; %bb.5164:
	flat_store_b32 v[2:3], v1
                                        ; implicit-def: $vgpr2_vgpr3
                                        ; implicit-def: $vgpr1
.LBB25_5165:
	s_wait_xcnt 0x0
	s_and_not1_saveexec_b32 s40, s40
	s_cbranch_execz .LBB25_5167
; %bb.5166:
	flat_store_b16 v[2:3], v1
.LBB25_5167:
	s_wait_xcnt 0x0
	s_or_b32 exec_lo, exec_lo, s40
                                        ; implicit-def: $vgpr2_vgpr3
                                        ; implicit-def: $vgpr162
.LBB25_5168:
	s_and_not1_saveexec_b32 s29, s29
	s_cbranch_execz .LBB25_5176
; %bb.5169:
	v_and_b32_e32 v1, 0x7fffffff, v162
	v_mov_b32_e32 v4, 0x80
	s_mov_b32 s40, exec_lo
	s_delay_alu instid0(VALU_DEP_2)
	v_cmpx_gt_u32_e32 0x43800000, v1
	s_cbranch_execz .LBB25_5175
; %bb.5170:
	v_cmp_lt_u32_e32 vcc_lo, 0x3bffffff, v1
	s_mov_b32 s41, 0
                                        ; implicit-def: $vgpr1
	s_and_saveexec_b32 s42, vcc_lo
	s_delay_alu instid0(SALU_CYCLE_1)
	s_xor_b32 s42, exec_lo, s42
	s_cbranch_execnz .LBB25_7923
; %bb.5171:
	s_and_not1_saveexec_b32 s42, s42
	s_cbranch_execnz .LBB25_7924
.LBB25_5172:
	s_or_b32 exec_lo, exec_lo, s42
	v_mov_b32_e32 v4, 0
	s_and_saveexec_b32 s42, s41
.LBB25_5173:
	v_lshrrev_b32_e32 v4, 24, v162
	s_delay_alu instid0(VALU_DEP_1)
	v_and_or_b32 v4, 0x80, v4, v1
.LBB25_5174:
	s_or_b32 exec_lo, exec_lo, s42
.LBB25_5175:
	s_delay_alu instid0(SALU_CYCLE_1)
	s_or_b32 exec_lo, exec_lo, s40
	flat_store_b8 v[2:3], v4
.LBB25_5176:
	s_wait_xcnt 0x0
	s_or_b32 exec_lo, exec_lo, s29
	s_delay_alu instid0(SALU_CYCLE_1)
	s_or_b32 s0, s0, exec_lo
.LBB25_5177:
	s_or_b32 exec_lo, exec_lo, s26
	s_delay_alu instid0(SALU_CYCLE_1)
	s_and_not1_b32 s26, s21, exec_lo
	s_and_b32 s28, s28, exec_lo
	s_and_b32 s0, s0, exec_lo
	s_or_b32 s26, s26, s28
                                        ; implicit-def: $vgpr1
                                        ; implicit-def: $vgpr162
                                        ; implicit-def: $vgpr2_vgpr3
.LBB25_5178:
	s_and_not1_saveexec_b32 s27, s27
	s_cbranch_execz .LBB25_5222
; %bb.5179:
	s_mov_b32 s29, s0
	s_mov_b32 s28, exec_lo
	v_cmpx_lt_i16_e32 22, v1
	s_xor_b32 s28, exec_lo, s28
	s_cbranch_execz .LBB25_5211
; %bb.5180:
	s_mov_b32 s29, exec_lo
	v_cmpx_lt_i16_e32 23, v1
	s_xor_b32 s29, exec_lo, s29
	s_cbranch_execz .LBB25_5200
; %bb.5181:
	;; [unrolled: 5-line block ×3, first 2 shown]
	v_and_b32_e32 v1, 0x7fffffff, v162
	v_mov_b32_e32 v4, 0x80
	s_mov_b32 s41, exec_lo
	s_delay_alu instid0(VALU_DEP_2)
	v_cmpx_gt_u32_e32 0x47800000, v1
	s_cbranch_execz .LBB25_5188
; %bb.5183:
	v_cmp_lt_u32_e32 vcc_lo, 0x37ffffff, v1
	s_mov_b32 s42, 0
                                        ; implicit-def: $vgpr1
	s_and_saveexec_b32 s43, vcc_lo
	s_delay_alu instid0(SALU_CYCLE_1)
	s_xor_b32 s43, exec_lo, s43
	s_cbranch_execnz .LBB25_7925
; %bb.5184:
	s_and_not1_saveexec_b32 s43, s43
	s_cbranch_execnz .LBB25_7926
.LBB25_5185:
	s_or_b32 exec_lo, exec_lo, s43
	v_mov_b32_e32 v4, 0
	s_and_saveexec_b32 s43, s42
.LBB25_5186:
	v_lshrrev_b32_e32 v4, 24, v162
	s_delay_alu instid0(VALU_DEP_1)
	v_and_or_b32 v4, 0x80, v4, v1
.LBB25_5187:
	s_or_b32 exec_lo, exec_lo, s43
.LBB25_5188:
	s_delay_alu instid0(SALU_CYCLE_1)
	s_or_b32 exec_lo, exec_lo, s41
	flat_store_b8 v[2:3], v4
                                        ; implicit-def: $vgpr162
                                        ; implicit-def: $vgpr2_vgpr3
.LBB25_5189:
	s_wait_xcnt 0x0
	s_and_not1_saveexec_b32 s40, s40
	s_cbranch_execz .LBB25_5199
; %bb.5190:
	v_and_b32_e32 v4, 0x7fffffff, v162
	s_mov_b32 s41, exec_lo
                                        ; implicit-def: $vgpr1
	s_delay_alu instid0(VALU_DEP_1)
	v_cmpx_gt_u32_e32 0x43f00000, v4
	s_xor_b32 s41, exec_lo, s41
	s_cbranch_execz .LBB25_5196
; %bb.5191:
	s_mov_b32 s42, exec_lo
                                        ; implicit-def: $vgpr1
	v_cmpx_lt_u32_e32 0x3c7fffff, v4
	s_xor_b32 s42, exec_lo, s42
; %bb.5192:
	v_bfe_u32 v1, v162, 20, 1
	s_delay_alu instid0(VALU_DEP_1) | instskip(NEXT) | instid1(VALU_DEP_1)
	v_add3_u32 v1, v162, v1, 0x407ffff
	v_and_b32_e32 v4, 0xff00000, v1
	v_lshrrev_b32_e32 v1, 20, v1
	s_delay_alu instid0(VALU_DEP_2) | instskip(NEXT) | instid1(VALU_DEP_2)
	v_cmp_ne_u32_e32 vcc_lo, 0x7f00000, v4
	v_cndmask_b32_e32 v1, 0x7e, v1, vcc_lo
; %bb.5193:
	s_and_not1_saveexec_b32 s42, s42
; %bb.5194:
	v_add_f32_e64 v1, 0x46800000, |v162|
; %bb.5195:
	s_or_b32 exec_lo, exec_lo, s42
                                        ; implicit-def: $vgpr4
.LBB25_5196:
	s_and_not1_saveexec_b32 s41, s41
; %bb.5197:
	v_mov_b32_e32 v1, 0x7f
	v_cmp_lt_u32_e32 vcc_lo, 0x7f800000, v4
	s_delay_alu instid0(VALU_DEP_2)
	v_cndmask_b32_e32 v1, 0x7e, v1, vcc_lo
; %bb.5198:
	s_or_b32 exec_lo, exec_lo, s41
	v_lshrrev_b32_e32 v4, 24, v162
	s_delay_alu instid0(VALU_DEP_1)
	v_and_or_b32 v1, 0x80, v4, v1
	flat_store_b8 v[2:3], v1
.LBB25_5199:
	s_wait_xcnt 0x0
	s_or_b32 exec_lo, exec_lo, s40
                                        ; implicit-def: $vgpr162
                                        ; implicit-def: $vgpr2_vgpr3
.LBB25_5200:
	s_and_not1_saveexec_b32 s29, s29
	s_cbranch_execz .LBB25_5210
; %bb.5201:
	v_and_b32_e32 v4, 0x7fffffff, v162
	s_mov_b32 s40, exec_lo
                                        ; implicit-def: $vgpr1
	s_delay_alu instid0(VALU_DEP_1)
	v_cmpx_gt_u32_e32 0x47800000, v4
	s_xor_b32 s40, exec_lo, s40
	s_cbranch_execz .LBB25_5207
; %bb.5202:
	s_mov_b32 s41, exec_lo
                                        ; implicit-def: $vgpr1
	v_cmpx_lt_u32_e32 0x387fffff, v4
	s_xor_b32 s41, exec_lo, s41
; %bb.5203:
	v_bfe_u32 v1, v162, 21, 1
	s_delay_alu instid0(VALU_DEP_1) | instskip(NEXT) | instid1(VALU_DEP_1)
	v_add3_u32 v1, v162, v1, 0x80fffff
	v_lshrrev_b32_e32 v1, 21, v1
; %bb.5204:
	s_and_not1_saveexec_b32 s41, s41
; %bb.5205:
	v_add_f32_e64 v1, 0x43000000, |v162|
; %bb.5206:
	s_or_b32 exec_lo, exec_lo, s41
                                        ; implicit-def: $vgpr4
.LBB25_5207:
	s_and_not1_saveexec_b32 s40, s40
; %bb.5208:
	v_mov_b32_e32 v1, 0x7f
	v_cmp_lt_u32_e32 vcc_lo, 0x7f800000, v4
	s_delay_alu instid0(VALU_DEP_2)
	v_cndmask_b32_e32 v1, 0x7c, v1, vcc_lo
; %bb.5209:
	s_or_b32 exec_lo, exec_lo, s40
	v_lshrrev_b32_e32 v4, 24, v162
	s_delay_alu instid0(VALU_DEP_1)
	v_and_or_b32 v1, 0x80, v4, v1
	flat_store_b8 v[2:3], v1
.LBB25_5210:
	s_wait_xcnt 0x0
	s_or_b32 exec_lo, exec_lo, s29
	s_delay_alu instid0(SALU_CYCLE_1)
	s_or_b32 s29, s0, exec_lo
                                        ; implicit-def: $vgpr1
                                        ; implicit-def: $vgpr162
                                        ; implicit-def: $vgpr2_vgpr3
.LBB25_5211:
	s_or_saveexec_b32 s28, s28
	s_mov_b32 s40, s26
	s_xor_b32 exec_lo, exec_lo, s28
	s_cbranch_execz .LBB25_5221
; %bb.5212:
	s_mov_b32 s40, s29
	s_mov_b32 s41, s26
	s_mov_b32 s42, exec_lo
	v_cmpx_lt_i16_e32 14, v1
	s_xor_b32 s42, exec_lo, s42
	s_cbranch_execz .LBB25_5216
; %bb.5213:
	s_mov_b32 s43, -1
	s_mov_b32 s40, s29
	s_mov_b32 s41, exec_lo
	v_cmpx_eq_u16_e32 15, v1
	s_cbranch_execz .LBB25_5215
; %bb.5214:
	v_bfe_u32 v1, v162, 16, 1
	v_cmp_o_f32_e32 vcc_lo, v162, v162
	s_xor_b32 s43, exec_lo, -1
	s_or_b32 s40, s29, exec_lo
	s_delay_alu instid0(VALU_DEP_2) | instskip(NEXT) | instid1(VALU_DEP_1)
	v_add3_u32 v1, v162, v1, 0x7fff
	v_lshrrev_b32_e32 v1, 16, v1
	s_delay_alu instid0(VALU_DEP_1)
	v_cndmask_b32_e32 v1, 0x7fc0, v1, vcc_lo
	flat_store_b16 v[2:3], v1
.LBB25_5215:
	s_wait_xcnt 0x0
	s_or_b32 exec_lo, exec_lo, s41
	s_delay_alu instid0(SALU_CYCLE_1)
	s_and_not1_b32 s41, s26, exec_lo
	s_and_b32 s43, s43, exec_lo
	s_and_not1_b32 s44, s29, exec_lo
	s_and_b32 s40, s40, exec_lo
	s_or_b32 s41, s41, s43
	s_or_b32 s40, s44, s40
                                        ; implicit-def: $vgpr1
                                        ; implicit-def: $vgpr162
                                        ; implicit-def: $vgpr2_vgpr3
.LBB25_5216:
	s_and_not1_saveexec_b32 s42, s42
	s_cbranch_execz .LBB25_5220
; %bb.5217:
	s_mov_b32 s44, -1
	s_mov_b32 s43, s40
	s_mov_b32 s45, exec_lo
	v_cmpx_eq_u16_e32 11, v1
	s_cbranch_execz .LBB25_5219
; %bb.5218:
	v_cmp_neq_f32_e32 vcc_lo, 0, v162
	s_xor_b32 s44, exec_lo, -1
	s_or_b32 s43, s40, exec_lo
	v_cndmask_b32_e64 v1, 0, 1, vcc_lo
	flat_store_b8 v[2:3], v1
.LBB25_5219:
	s_wait_xcnt 0x0
	s_or_b32 exec_lo, exec_lo, s45
	s_delay_alu instid0(SALU_CYCLE_1)
	s_and_not1_b32 s41, s41, exec_lo
	s_and_b32 s44, s44, exec_lo
	s_and_not1_b32 s40, s40, exec_lo
	s_and_b32 s43, s43, exec_lo
	s_or_b32 s41, s41, s44
	s_or_b32 s40, s40, s43
.LBB25_5220:
	s_or_b32 exec_lo, exec_lo, s42
	s_delay_alu instid0(SALU_CYCLE_1)
	s_and_not1_b32 s42, s26, exec_lo
	s_and_b32 s41, s41, exec_lo
	s_and_not1_b32 s29, s29, exec_lo
	s_and_b32 s43, s40, exec_lo
	s_or_b32 s40, s42, s41
	s_or_b32 s29, s29, s43
.LBB25_5221:
	s_or_b32 exec_lo, exec_lo, s28
	s_delay_alu instid0(SALU_CYCLE_1)
	s_and_not1_b32 s26, s26, exec_lo
	s_and_b32 s28, s40, exec_lo
	s_and_not1_b32 s0, s0, exec_lo
	s_and_b32 s29, s29, exec_lo
	s_or_b32 s26, s26, s28
	s_or_b32 s0, s0, s29
.LBB25_5222:
	s_or_b32 exec_lo, exec_lo, s27
	s_delay_alu instid0(SALU_CYCLE_1)
	s_and_not1_b32 s27, s21, exec_lo
	s_and_b32 s26, s26, exec_lo
	s_and_b32 s0, s0, exec_lo
	s_or_b32 s26, s27, s26
                                        ; implicit-def: $vgpr1
                                        ; implicit-def: $vgpr162
                                        ; implicit-def: $vgpr2_vgpr3
.LBB25_5223:
	s_and_not1_saveexec_b32 s23, s23
	s_cbranch_execz .LBB25_5265
; %bb.5224:
	s_mov_b32 s27, exec_lo
	v_cmpx_lt_i16_e32 4, v1
	s_xor_b32 s27, exec_lo, s27
	s_cbranch_execz .LBB25_5246
; %bb.5225:
	s_mov_b32 s28, exec_lo
	v_cmpx_lt_i16_e32 7, v1
	s_xor_b32 s28, exec_lo, s28
	;; [unrolled: 5-line block ×4, first 2 shown]
	s_cbranch_execz .LBB25_5229
; %bb.5228:
	v_cvt_f64_f32_e32 v[4:5], v162
	v_mov_b32_e32 v6, 0
                                        ; implicit-def: $vgpr162
	s_delay_alu instid0(VALU_DEP_1)
	v_mov_b32_e32 v7, v6
	flat_store_b128 v[2:3], v[4:7]
                                        ; implicit-def: $vgpr2_vgpr3
.LBB25_5229:
	s_wait_xcnt 0x0
	s_and_not1_saveexec_b32 s40, s40
	s_cbranch_execz .LBB25_5231
; %bb.5230:
	v_mov_b32_e32 v163, 0
	flat_store_b64 v[2:3], v[162:163]
.LBB25_5231:
	s_wait_xcnt 0x0
	s_or_b32 exec_lo, exec_lo, s40
                                        ; implicit-def: $vgpr162
                                        ; implicit-def: $vgpr2_vgpr3
.LBB25_5232:
	s_and_not1_saveexec_b32 s29, s29
	s_cbranch_execz .LBB25_5234
; %bb.5233:
	v_cvt_f16_f32_e64 v1, v162
	s_delay_alu instid0(VALU_DEP_1)
	v_and_b32_e32 v1, 0xffff, v1
	flat_store_b32 v[2:3], v1
.LBB25_5234:
	s_wait_xcnt 0x0
	s_or_b32 exec_lo, exec_lo, s29
                                        ; implicit-def: $vgpr162
                                        ; implicit-def: $vgpr2_vgpr3
                                        ; implicit-def: $vgpr1
.LBB25_5235:
	s_and_not1_saveexec_b32 s28, s28
	s_cbranch_execz .LBB25_5245
; %bb.5236:
	s_mov_b32 s29, exec_lo
	v_cmpx_lt_i16_e32 5, v1
	s_xor_b32 s29, exec_lo, s29
	s_cbranch_execz .LBB25_5242
; %bb.5237:
	s_mov_b32 s40, exec_lo
	v_cmpx_lt_i16_e32 6, v1
	s_xor_b32 s40, exec_lo, s40
	s_cbranch_execz .LBB25_5239
; %bb.5238:
	v_cvt_f64_f32_e32 v[4:5], v162
                                        ; implicit-def: $vgpr162
	flat_store_b64 v[2:3], v[4:5]
                                        ; implicit-def: $vgpr2_vgpr3
.LBB25_5239:
	s_wait_xcnt 0x0
	s_and_not1_saveexec_b32 s40, s40
	s_cbranch_execz .LBB25_5241
; %bb.5240:
	flat_store_b32 v[2:3], v162
.LBB25_5241:
	s_wait_xcnt 0x0
	s_or_b32 exec_lo, exec_lo, s40
                                        ; implicit-def: $vgpr162
                                        ; implicit-def: $vgpr2_vgpr3
.LBB25_5242:
	s_and_not1_saveexec_b32 s29, s29
	s_cbranch_execz .LBB25_5244
; %bb.5243:
	v_cvt_f16_f32_e64 v1, v162
	flat_store_b16 v[2:3], v1
.LBB25_5244:
	s_wait_xcnt 0x0
	s_or_b32 exec_lo, exec_lo, s29
.LBB25_5245:
	s_delay_alu instid0(SALU_CYCLE_1)
	s_or_b32 exec_lo, exec_lo, s28
                                        ; implicit-def: $vgpr1
                                        ; implicit-def: $vgpr162
                                        ; implicit-def: $vgpr2_vgpr3
.LBB25_5246:
	s_and_not1_saveexec_b32 s27, s27
	s_cbranch_execz .LBB25_5264
; %bb.5247:
	s_mov_b32 s28, exec_lo
	v_cmpx_lt_i16_e32 1, v1
	s_xor_b32 s28, exec_lo, s28
	s_cbranch_execz .LBB25_5257
; %bb.5248:
	s_mov_b32 s29, exec_lo
	v_cmpx_lt_i16_e32 2, v1
	s_xor_b32 s29, exec_lo, s29
	;; [unrolled: 5-line block ×3, first 2 shown]
	s_cbranch_execz .LBB25_5251
; %bb.5250:
	v_trunc_f32_e32 v1, v162
                                        ; implicit-def: $vgpr162
	s_delay_alu instid0(VALU_DEP_1) | instskip(NEXT) | instid1(VALU_DEP_1)
	v_mul_f32_e64 v4, 0x2f800000, |v1|
	v_floor_f32_e32 v5, v4
	v_ashrrev_i32_e32 v4, 31, v1
	s_delay_alu instid0(VALU_DEP_2) | instskip(SKIP_1) | instid1(VALU_DEP_3)
	v_fma_f32 v6, 0xcf800000, v5, |v1|
	v_cvt_u32_f32_e32 v1, v5
	v_mov_b32_e32 v5, v4
	s_delay_alu instid0(VALU_DEP_3) | instskip(NEXT) | instid1(VALU_DEP_3)
	v_cvt_u32_f32_e32 v6, v6
	v_xor_b32_e32 v7, v1, v4
	s_delay_alu instid0(VALU_DEP_2) | instskip(NEXT) | instid1(VALU_DEP_1)
	v_xor_b32_e32 v6, v6, v4
	v_sub_nc_u64_e32 v[4:5], v[6:7], v[4:5]
	flat_store_b64 v[2:3], v[4:5]
                                        ; implicit-def: $vgpr2_vgpr3
.LBB25_5251:
	s_wait_xcnt 0x0
	s_and_not1_saveexec_b32 s40, s40
	s_cbranch_execz .LBB25_5253
; %bb.5252:
	v_cvt_i32_f32_e32 v1, v162
	flat_store_b32 v[2:3], v1
.LBB25_5253:
	s_wait_xcnt 0x0
	s_or_b32 exec_lo, exec_lo, s40
                                        ; implicit-def: $vgpr162
                                        ; implicit-def: $vgpr2_vgpr3
.LBB25_5254:
	s_and_not1_saveexec_b32 s29, s29
	s_cbranch_execz .LBB25_5256
; %bb.5255:
	v_cvt_i32_f32_e32 v1, v162
	flat_store_b16 v[2:3], v1
.LBB25_5256:
	s_wait_xcnt 0x0
	s_or_b32 exec_lo, exec_lo, s29
                                        ; implicit-def: $vgpr162
                                        ; implicit-def: $vgpr2_vgpr3
                                        ; implicit-def: $vgpr1
.LBB25_5257:
	s_and_not1_saveexec_b32 s28, s28
	s_cbranch_execz .LBB25_5263
; %bb.5258:
	s_mov_b32 s29, exec_lo
	v_cmpx_lt_i16_e32 0, v1
	s_xor_b32 s29, exec_lo, s29
	s_cbranch_execz .LBB25_5260
; %bb.5259:
	v_cvt_i32_f32_e32 v1, v162
                                        ; implicit-def: $vgpr162
	flat_store_b8 v[2:3], v1
                                        ; implicit-def: $vgpr2_vgpr3
.LBB25_5260:
	s_wait_xcnt 0x0
	s_and_not1_saveexec_b32 s29, s29
	s_cbranch_execz .LBB25_5262
; %bb.5261:
	v_trunc_f32_e32 v1, v162
	s_delay_alu instid0(VALU_DEP_1) | instskip(NEXT) | instid1(VALU_DEP_1)
	v_mul_f32_e64 v4, 0x2f800000, |v1|
	v_floor_f32_e32 v4, v4
	s_delay_alu instid0(VALU_DEP_1) | instskip(SKIP_1) | instid1(VALU_DEP_2)
	v_fma_f32 v4, 0xcf800000, v4, |v1|
	v_ashrrev_i32_e32 v1, 31, v1
	v_cvt_u32_f32_e32 v4, v4
	s_delay_alu instid0(VALU_DEP_1) | instskip(NEXT) | instid1(VALU_DEP_1)
	v_xor_b32_e32 v4, v4, v1
	v_sub_nc_u32_e32 v1, v4, v1
	flat_store_b8 v[2:3], v1
.LBB25_5262:
	s_wait_xcnt 0x0
	s_or_b32 exec_lo, exec_lo, s29
.LBB25_5263:
	s_delay_alu instid0(SALU_CYCLE_1)
	s_or_b32 exec_lo, exec_lo, s28
.LBB25_5264:
	s_delay_alu instid0(SALU_CYCLE_1) | instskip(NEXT) | instid1(SALU_CYCLE_1)
	s_or_b32 exec_lo, exec_lo, s27
	s_or_b32 s0, s0, exec_lo
.LBB25_5265:
	s_or_b32 exec_lo, exec_lo, s23
	s_mov_b32 s27, 0
	s_mov_b32 s23, 0
	s_and_saveexec_b32 s28, s0
; %bb.5266:
	v_add_nc_u32_e32 v209, 0x200, v209
	s_mov_b32 s27, exec_lo
	s_delay_alu instid0(VALU_DEP_1)
	v_cmp_lt_i32_e32 vcc_lo, v209, v211
	s_and_b32 s23, vcc_lo, exec_lo
; %bb.5267:
	s_or_b32 exec_lo, exec_lo, s28
	s_delay_alu instid0(SALU_CYCLE_1)
	s_and_not1_b32 s28, s21, exec_lo
	s_and_b32 s26, s26, exec_lo
	s_and_b32 s0, s23, exec_lo
	s_or_b32 s23, s28, s26
	s_or_not1_b32 s27, s27, exec_lo
.LBB25_5268:
	s_or_b32 exec_lo, exec_lo, s24
	s_mov_b32 s26, 0
	s_mov_b32 s28, 0
                                        ; implicit-def: $vgpr4
                                        ; implicit-def: $vgpr2_vgpr3
	s_and_saveexec_b32 s24, s27
	s_cbranch_execz .LBB25_7820
; %bb.5269:
	s_mov_b32 s29, -1
	s_mov_b32 s27, 0
	s_mov_b32 s25, s23
	;; [unrolled: 1-line block ×3, first 2 shown]
	s_and_saveexec_b32 s26, s0
	s_cbranch_execz .LBB25_5397
; %bb.5270:
	v_dual_add_nc_u32 v1, s60, v209 :: v_dual_mov_b32 v3, 0
	s_mov_b32 s0, 0
	s_mov_b32 s28, s23
	s_mov_b32 s25, exec_lo
	s_delay_alu instid0(VALU_DEP_1) | instskip(SKIP_1) | instid1(VALU_DEP_2)
	v_mul_lo_u32 v2, v1, v210
	v_and_b32_e32 v1, 0xff, v85
	v_add_nc_u64_e32 v[2:3], v[212:213], v[2:3]
	s_delay_alu instid0(VALU_DEP_2)
	v_cmpx_lt_i16_e32 10, v1
	s_xor_b32 s25, exec_lo, s25
	s_cbranch_execz .LBB25_5352
; %bb.5271:
	s_mov_b32 s28, s23
	s_mov_b32 s29, exec_lo
	v_cmpx_lt_i16_e32 25, v1
	s_xor_b32 s29, exec_lo, s29
	s_cbranch_execz .LBB25_5307
; %bb.5272:
	s_mov_b32 s40, s23
	s_mov_b32 s28, exec_lo
	;; [unrolled: 6-line block ×3, first 2 shown]
	v_cmpx_lt_i16_e32 43, v1
	s_xor_b32 s40, exec_lo, s40
	s_cbranch_execz .LBB25_5285
; %bb.5274:
	s_mov_b32 s41, 0
	s_mov_b32 s42, s23
	s_mov_b32 s0, exec_lo
	v_cmpx_lt_i16_e32 45, v1
	s_xor_b32 s0, exec_lo, s0
	s_cbranch_execz .LBB25_5278
; %bb.5275:
	s_mov_b32 s43, -1
	s_mov_b32 s42, exec_lo
	v_cmpx_eq_u16_e32 46, v1
	s_cbranch_execz .LBB25_5277
; %bb.5276:
	v_bfe_u32 v1, v160, 16, 1
	v_cmp_o_f32_e32 vcc_lo, v160, v160
	s_mov_b32 s41, exec_lo
	s_xor_b32 s43, exec_lo, -1
	s_delay_alu instid0(VALU_DEP_2) | instskip(NEXT) | instid1(VALU_DEP_1)
	v_add3_u32 v1, v160, v1, 0x7fff
	v_lshrrev_b32_e32 v1, 16, v1
	s_delay_alu instid0(VALU_DEP_1)
	v_cndmask_b32_e32 v1, 0x7fc0, v1, vcc_lo
	flat_store_b32 v[2:3], v1
.LBB25_5277:
	s_wait_xcnt 0x0
	s_or_b32 exec_lo, exec_lo, s42
	s_delay_alu instid0(SALU_CYCLE_1)
	s_and_not1_b32 s42, s23, exec_lo
	s_and_b32 s43, s43, exec_lo
	s_and_b32 s41, s41, exec_lo
	s_or_b32 s42, s42, s43
                                        ; implicit-def: $vgpr1
                                        ; implicit-def: $vgpr2_vgpr3
                                        ; implicit-def: $vgpr160
.LBB25_5278:
	s_and_not1_saveexec_b32 s43, s0
	s_cbranch_execz .LBB25_5284
; %bb.5279:
	s_mov_b32 s45, -1
	s_mov_b32 s0, s41
	s_mov_b32 s44, exec_lo
	v_cmpx_eq_u16_e32 44, v1
	s_cbranch_execz .LBB25_5283
; %bb.5280:
	v_bfe_u32 v4, v160, 23, 8
	v_mov_b32_e32 v1, 0xff
	s_mov_b32 s45, exec_lo
	s_delay_alu instid0(VALU_DEP_2)
	v_cmpx_ne_u32_e32 0xff, v4
	s_cbranch_execz .LBB25_5282
; %bb.5281:
	v_and_b32_e32 v1, 0x400000, v160
	v_and_or_b32 v4, 0x3fffff, v160, v4
	s_delay_alu instid0(VALU_DEP_2) | instskip(NEXT) | instid1(VALU_DEP_2)
	v_cmp_ne_u32_e32 vcc_lo, 0, v1
	v_cmp_ne_u32_e64 s0, 0, v4
	v_lshrrev_b32_e32 v1, 23, v160
	s_and_b32 s0, vcc_lo, s0
	s_delay_alu instid0(SALU_CYCLE_1) | instskip(NEXT) | instid1(VALU_DEP_1)
	v_cndmask_b32_e64 v4, 0, 1, s0
	v_add_nc_u32_e32 v1, v1, v4
.LBB25_5282:
	s_or_b32 exec_lo, exec_lo, s45
	s_delay_alu instid0(SALU_CYCLE_1)
	s_xor_b32 s45, exec_lo, -1
	s_or_b32 s0, s41, exec_lo
	flat_store_b8 v[2:3], v1
.LBB25_5283:
	s_wait_xcnt 0x0
	s_or_b32 exec_lo, exec_lo, s44
	s_delay_alu instid0(SALU_CYCLE_1)
	s_and_not1_b32 s42, s42, exec_lo
	s_and_b32 s44, s45, exec_lo
	s_and_not1_b32 s41, s41, exec_lo
	s_and_b32 s0, s0, exec_lo
	s_or_b32 s42, s42, s44
	s_or_b32 s41, s41, s0
.LBB25_5284:
	s_or_b32 exec_lo, exec_lo, s43
	s_delay_alu instid0(SALU_CYCLE_1) | instskip(SKIP_1) | instid1(SALU_CYCLE_1)
	s_and_not1_b32 s0, s23, exec_lo
	s_and_b32 s42, s42, exec_lo
                                        ; implicit-def: $vgpr1
                                        ; implicit-def: $vgpr160
                                        ; implicit-def: $vgpr2_vgpr3
	s_or_b32 s42, s0, s42
	s_and_b32 s0, s41, exec_lo
.LBB25_5285:
	s_and_not1_saveexec_b32 s40, s40
	s_cbranch_execz .LBB25_5289
; %bb.5286:
	s_mov_b32 s44, -1
	s_mov_b32 s43, s0
	s_mov_b32 s41, exec_lo
	v_cmpx_eq_u16_e32 29, v1
	s_cbranch_execz .LBB25_5288
; %bb.5287:
	v_trunc_f32_e32 v1, v160
	s_xor_b32 s44, exec_lo, -1
	s_or_b32 s43, s0, exec_lo
	s_delay_alu instid0(VALU_DEP_1) | instskip(NEXT) | instid1(VALU_DEP_1)
	v_mul_f32_e32 v4, 0x2f800000, v1
	v_floor_f32_e32 v4, v4
	s_delay_alu instid0(VALU_DEP_1) | instskip(SKIP_1) | instid1(VALU_DEP_2)
	v_fmamk_f32 v1, v4, 0xcf800000, v1
	v_cvt_u32_f32_e32 v5, v4
	v_cvt_u32_f32_e32 v4, v1
	flat_store_b64 v[2:3], v[4:5]
.LBB25_5288:
	s_wait_xcnt 0x0
	s_or_b32 exec_lo, exec_lo, s41
	s_delay_alu instid0(SALU_CYCLE_1)
	s_and_not1_b32 s41, s42, exec_lo
	s_and_b32 s42, s44, exec_lo
	s_and_not1_b32 s0, s0, exec_lo
	s_and_b32 s43, s43, exec_lo
	s_or_b32 s42, s41, s42
	s_or_b32 s0, s0, s43
.LBB25_5289:
	s_or_b32 exec_lo, exec_lo, s40
	s_delay_alu instid0(SALU_CYCLE_1)
	s_and_not1_b32 s40, s23, exec_lo
	s_and_b32 s41, s42, exec_lo
	s_and_b32 s0, s0, exec_lo
	s_or_b32 s40, s40, s41
                                        ; implicit-def: $vgpr2_vgpr3
                                        ; implicit-def: $vgpr1
                                        ; implicit-def: $vgpr160
.LBB25_5290:
	s_and_not1_saveexec_b32 s28, s28
	s_cbranch_execz .LBB25_5306
; %bb.5291:
	s_mov_b32 s41, exec_lo
	v_cmpx_lt_i16_e32 26, v1
	s_xor_b32 s41, exec_lo, s41
	s_cbranch_execz .LBB25_5297
; %bb.5292:
	v_cmp_lt_i16_e32 vcc_lo, 27, v1
	v_cvt_u32_f32_e32 v1, v160
	s_and_saveexec_b32 s42, vcc_lo
	s_delay_alu instid0(SALU_CYCLE_1)
	s_xor_b32 s42, exec_lo, s42
	s_cbranch_execz .LBB25_5294
; %bb.5293:
	flat_store_b32 v[2:3], v1
                                        ; implicit-def: $vgpr2_vgpr3
                                        ; implicit-def: $vgpr1
.LBB25_5294:
	s_wait_xcnt 0x0
	s_and_not1_saveexec_b32 s42, s42
	s_cbranch_execz .LBB25_5296
; %bb.5295:
	flat_store_b16 v[2:3], v1
.LBB25_5296:
	s_wait_xcnt 0x0
	s_or_b32 exec_lo, exec_lo, s42
                                        ; implicit-def: $vgpr2_vgpr3
                                        ; implicit-def: $vgpr160
.LBB25_5297:
	s_and_not1_saveexec_b32 s41, s41
	s_cbranch_execz .LBB25_5305
; %bb.5298:
	v_and_b32_e32 v1, 0x7fffffff, v160
	v_mov_b32_e32 v4, 0x80
	s_mov_b32 s42, exec_lo
	s_delay_alu instid0(VALU_DEP_2)
	v_cmpx_gt_u32_e32 0x43800000, v1
	s_cbranch_execz .LBB25_5304
; %bb.5299:
	v_cmp_lt_u32_e32 vcc_lo, 0x3bffffff, v1
	s_mov_b32 s43, 0
                                        ; implicit-def: $vgpr1
	s_and_saveexec_b32 s44, vcc_lo
	s_delay_alu instid0(SALU_CYCLE_1)
	s_xor_b32 s44, exec_lo, s44
	s_cbranch_execnz .LBB25_7927
; %bb.5300:
	s_and_not1_saveexec_b32 s44, s44
	s_cbranch_execnz .LBB25_7928
.LBB25_5301:
	s_or_b32 exec_lo, exec_lo, s44
	v_mov_b32_e32 v4, 0
	s_and_saveexec_b32 s44, s43
.LBB25_5302:
	v_lshrrev_b32_e32 v4, 24, v160
	s_delay_alu instid0(VALU_DEP_1)
	v_and_or_b32 v4, 0x80, v4, v1
.LBB25_5303:
	s_or_b32 exec_lo, exec_lo, s44
.LBB25_5304:
	s_delay_alu instid0(SALU_CYCLE_1)
	s_or_b32 exec_lo, exec_lo, s42
	flat_store_b8 v[2:3], v4
.LBB25_5305:
	s_wait_xcnt 0x0
	s_or_b32 exec_lo, exec_lo, s41
	s_delay_alu instid0(SALU_CYCLE_1)
	s_or_b32 s0, s0, exec_lo
.LBB25_5306:
	s_or_b32 exec_lo, exec_lo, s28
	s_delay_alu instid0(SALU_CYCLE_1)
	s_and_not1_b32 s28, s23, exec_lo
	s_and_b32 s40, s40, exec_lo
	s_and_b32 s0, s0, exec_lo
	s_or_b32 s28, s28, s40
                                        ; implicit-def: $vgpr1
                                        ; implicit-def: $vgpr160
                                        ; implicit-def: $vgpr2_vgpr3
.LBB25_5307:
	s_and_not1_saveexec_b32 s29, s29
	s_cbranch_execz .LBB25_5351
; %bb.5308:
	s_mov_b32 s41, s0
	s_mov_b32 s40, exec_lo
	v_cmpx_lt_i16_e32 22, v1
	s_xor_b32 s40, exec_lo, s40
	s_cbranch_execz .LBB25_5340
; %bb.5309:
	s_mov_b32 s41, exec_lo
	v_cmpx_lt_i16_e32 23, v1
	s_xor_b32 s41, exec_lo, s41
	s_cbranch_execz .LBB25_5329
; %bb.5310:
	;; [unrolled: 5-line block ×3, first 2 shown]
	v_and_b32_e32 v1, 0x7fffffff, v160
	v_mov_b32_e32 v4, 0x80
	s_mov_b32 s43, exec_lo
	s_delay_alu instid0(VALU_DEP_2)
	v_cmpx_gt_u32_e32 0x47800000, v1
	s_cbranch_execz .LBB25_5317
; %bb.5312:
	v_cmp_lt_u32_e32 vcc_lo, 0x37ffffff, v1
	s_mov_b32 s44, 0
                                        ; implicit-def: $vgpr1
	s_and_saveexec_b32 s45, vcc_lo
	s_delay_alu instid0(SALU_CYCLE_1)
	s_xor_b32 s45, exec_lo, s45
	s_cbranch_execnz .LBB25_7929
; %bb.5313:
	s_and_not1_saveexec_b32 s45, s45
	s_cbranch_execnz .LBB25_7930
.LBB25_5314:
	s_or_b32 exec_lo, exec_lo, s45
	v_mov_b32_e32 v4, 0
	s_and_saveexec_b32 s45, s44
.LBB25_5315:
	v_lshrrev_b32_e32 v4, 24, v160
	s_delay_alu instid0(VALU_DEP_1)
	v_and_or_b32 v4, 0x80, v4, v1
.LBB25_5316:
	s_or_b32 exec_lo, exec_lo, s45
.LBB25_5317:
	s_delay_alu instid0(SALU_CYCLE_1)
	s_or_b32 exec_lo, exec_lo, s43
	flat_store_b8 v[2:3], v4
                                        ; implicit-def: $vgpr160
                                        ; implicit-def: $vgpr2_vgpr3
.LBB25_5318:
	s_wait_xcnt 0x0
	s_and_not1_saveexec_b32 s42, s42
	s_cbranch_execz .LBB25_5328
; %bb.5319:
	v_and_b32_e32 v4, 0x7fffffff, v160
	s_mov_b32 s43, exec_lo
                                        ; implicit-def: $vgpr1
	s_delay_alu instid0(VALU_DEP_1)
	v_cmpx_gt_u32_e32 0x43f00000, v4
	s_xor_b32 s43, exec_lo, s43
	s_cbranch_execz .LBB25_5325
; %bb.5320:
	s_mov_b32 s44, exec_lo
                                        ; implicit-def: $vgpr1
	v_cmpx_lt_u32_e32 0x3c7fffff, v4
	s_xor_b32 s44, exec_lo, s44
; %bb.5321:
	v_bfe_u32 v1, v160, 20, 1
	s_delay_alu instid0(VALU_DEP_1) | instskip(NEXT) | instid1(VALU_DEP_1)
	v_add3_u32 v1, v160, v1, 0x407ffff
	v_and_b32_e32 v4, 0xff00000, v1
	v_lshrrev_b32_e32 v1, 20, v1
	s_delay_alu instid0(VALU_DEP_2) | instskip(NEXT) | instid1(VALU_DEP_2)
	v_cmp_ne_u32_e32 vcc_lo, 0x7f00000, v4
	v_cndmask_b32_e32 v1, 0x7e, v1, vcc_lo
; %bb.5322:
	s_and_not1_saveexec_b32 s44, s44
; %bb.5323:
	v_add_f32_e64 v1, 0x46800000, |v160|
; %bb.5324:
	s_or_b32 exec_lo, exec_lo, s44
                                        ; implicit-def: $vgpr4
.LBB25_5325:
	s_and_not1_saveexec_b32 s43, s43
; %bb.5326:
	v_mov_b32_e32 v1, 0x7f
	v_cmp_lt_u32_e32 vcc_lo, 0x7f800000, v4
	s_delay_alu instid0(VALU_DEP_2)
	v_cndmask_b32_e32 v1, 0x7e, v1, vcc_lo
; %bb.5327:
	s_or_b32 exec_lo, exec_lo, s43
	v_lshrrev_b32_e32 v4, 24, v160
	s_delay_alu instid0(VALU_DEP_1)
	v_and_or_b32 v1, 0x80, v4, v1
	flat_store_b8 v[2:3], v1
.LBB25_5328:
	s_wait_xcnt 0x0
	s_or_b32 exec_lo, exec_lo, s42
                                        ; implicit-def: $vgpr160
                                        ; implicit-def: $vgpr2_vgpr3
.LBB25_5329:
	s_and_not1_saveexec_b32 s41, s41
	s_cbranch_execz .LBB25_5339
; %bb.5330:
	v_and_b32_e32 v4, 0x7fffffff, v160
	s_mov_b32 s42, exec_lo
                                        ; implicit-def: $vgpr1
	s_delay_alu instid0(VALU_DEP_1)
	v_cmpx_gt_u32_e32 0x47800000, v4
	s_xor_b32 s42, exec_lo, s42
	s_cbranch_execz .LBB25_5336
; %bb.5331:
	s_mov_b32 s43, exec_lo
                                        ; implicit-def: $vgpr1
	v_cmpx_lt_u32_e32 0x387fffff, v4
	s_xor_b32 s43, exec_lo, s43
; %bb.5332:
	v_bfe_u32 v1, v160, 21, 1
	s_delay_alu instid0(VALU_DEP_1) | instskip(NEXT) | instid1(VALU_DEP_1)
	v_add3_u32 v1, v160, v1, 0x80fffff
	v_lshrrev_b32_e32 v1, 21, v1
; %bb.5333:
	s_and_not1_saveexec_b32 s43, s43
; %bb.5334:
	v_add_f32_e64 v1, 0x43000000, |v160|
; %bb.5335:
	s_or_b32 exec_lo, exec_lo, s43
                                        ; implicit-def: $vgpr4
.LBB25_5336:
	s_and_not1_saveexec_b32 s42, s42
; %bb.5337:
	v_mov_b32_e32 v1, 0x7f
	v_cmp_lt_u32_e32 vcc_lo, 0x7f800000, v4
	s_delay_alu instid0(VALU_DEP_2)
	v_cndmask_b32_e32 v1, 0x7c, v1, vcc_lo
; %bb.5338:
	s_or_b32 exec_lo, exec_lo, s42
	v_lshrrev_b32_e32 v4, 24, v160
	s_delay_alu instid0(VALU_DEP_1)
	v_and_or_b32 v1, 0x80, v4, v1
	flat_store_b8 v[2:3], v1
.LBB25_5339:
	s_wait_xcnt 0x0
	s_or_b32 exec_lo, exec_lo, s41
	s_delay_alu instid0(SALU_CYCLE_1)
	s_or_b32 s41, s0, exec_lo
                                        ; implicit-def: $vgpr1
                                        ; implicit-def: $vgpr160
                                        ; implicit-def: $vgpr2_vgpr3
.LBB25_5340:
	s_or_saveexec_b32 s40, s40
	s_mov_b32 s42, s28
	s_xor_b32 exec_lo, exec_lo, s40
	s_cbranch_execz .LBB25_5350
; %bb.5341:
	s_mov_b32 s42, s41
	s_mov_b32 s43, s28
	s_mov_b32 s44, exec_lo
	v_cmpx_lt_i16_e32 14, v1
	s_xor_b32 s44, exec_lo, s44
	s_cbranch_execz .LBB25_5345
; %bb.5342:
	s_mov_b32 s45, -1
	s_mov_b32 s42, s41
	s_mov_b32 s43, exec_lo
	v_cmpx_eq_u16_e32 15, v1
	s_cbranch_execz .LBB25_5344
; %bb.5343:
	v_bfe_u32 v1, v160, 16, 1
	v_cmp_o_f32_e32 vcc_lo, v160, v160
	s_xor_b32 s45, exec_lo, -1
	s_or_b32 s42, s41, exec_lo
	s_delay_alu instid0(VALU_DEP_2) | instskip(NEXT) | instid1(VALU_DEP_1)
	v_add3_u32 v1, v160, v1, 0x7fff
	v_lshrrev_b32_e32 v1, 16, v1
	s_delay_alu instid0(VALU_DEP_1)
	v_cndmask_b32_e32 v1, 0x7fc0, v1, vcc_lo
	flat_store_b16 v[2:3], v1
.LBB25_5344:
	s_wait_xcnt 0x0
	s_or_b32 exec_lo, exec_lo, s43
	s_delay_alu instid0(SALU_CYCLE_1)
	s_and_not1_b32 s43, s28, exec_lo
	s_and_b32 s45, s45, exec_lo
	s_and_not1_b32 s46, s41, exec_lo
	s_and_b32 s42, s42, exec_lo
	s_or_b32 s43, s43, s45
	s_or_b32 s42, s46, s42
                                        ; implicit-def: $vgpr1
                                        ; implicit-def: $vgpr160
                                        ; implicit-def: $vgpr2_vgpr3
.LBB25_5345:
	s_and_not1_saveexec_b32 s44, s44
	s_cbranch_execz .LBB25_5349
; %bb.5346:
	s_mov_b32 s46, -1
	s_mov_b32 s45, s42
	s_mov_b32 s47, exec_lo
	v_cmpx_eq_u16_e32 11, v1
	s_cbranch_execz .LBB25_5348
; %bb.5347:
	v_cmp_neq_f32_e32 vcc_lo, 0, v160
	s_xor_b32 s46, exec_lo, -1
	s_or_b32 s45, s42, exec_lo
	v_cndmask_b32_e64 v1, 0, 1, vcc_lo
	flat_store_b8 v[2:3], v1
.LBB25_5348:
	s_wait_xcnt 0x0
	s_or_b32 exec_lo, exec_lo, s47
	s_delay_alu instid0(SALU_CYCLE_1)
	s_and_not1_b32 s43, s43, exec_lo
	s_and_b32 s46, s46, exec_lo
	s_and_not1_b32 s42, s42, exec_lo
	s_and_b32 s45, s45, exec_lo
	s_or_b32 s43, s43, s46
	s_or_b32 s42, s42, s45
.LBB25_5349:
	s_or_b32 exec_lo, exec_lo, s44
	s_delay_alu instid0(SALU_CYCLE_1)
	s_and_not1_b32 s44, s28, exec_lo
	s_and_b32 s43, s43, exec_lo
	s_and_not1_b32 s41, s41, exec_lo
	s_and_b32 s45, s42, exec_lo
	s_or_b32 s42, s44, s43
	s_or_b32 s41, s41, s45
.LBB25_5350:
	s_or_b32 exec_lo, exec_lo, s40
	s_delay_alu instid0(SALU_CYCLE_1)
	s_and_not1_b32 s28, s28, exec_lo
	s_and_b32 s40, s42, exec_lo
	s_and_not1_b32 s0, s0, exec_lo
	s_and_b32 s41, s41, exec_lo
	s_or_b32 s28, s28, s40
	s_or_b32 s0, s0, s41
.LBB25_5351:
	s_or_b32 exec_lo, exec_lo, s29
	s_delay_alu instid0(SALU_CYCLE_1)
	s_and_not1_b32 s29, s23, exec_lo
	s_and_b32 s28, s28, exec_lo
	s_and_b32 s0, s0, exec_lo
	s_or_b32 s28, s29, s28
                                        ; implicit-def: $vgpr1
                                        ; implicit-def: $vgpr160
                                        ; implicit-def: $vgpr2_vgpr3
.LBB25_5352:
	s_and_not1_saveexec_b32 s25, s25
	s_cbranch_execz .LBB25_5394
; %bb.5353:
	s_mov_b32 s29, exec_lo
	v_cmpx_lt_i16_e32 4, v1
	s_xor_b32 s29, exec_lo, s29
	s_cbranch_execz .LBB25_5375
; %bb.5354:
	s_mov_b32 s40, exec_lo
	v_cmpx_lt_i16_e32 7, v1
	s_xor_b32 s40, exec_lo, s40
	;; [unrolled: 5-line block ×4, first 2 shown]
	s_cbranch_execz .LBB25_5358
; %bb.5357:
	v_cvt_f64_f32_e32 v[4:5], v160
	v_mov_b32_e32 v6, 0
                                        ; implicit-def: $vgpr160
	s_delay_alu instid0(VALU_DEP_1)
	v_mov_b32_e32 v7, v6
	flat_store_b128 v[2:3], v[4:7]
                                        ; implicit-def: $vgpr2_vgpr3
.LBB25_5358:
	s_wait_xcnt 0x0
	s_and_not1_saveexec_b32 s42, s42
	s_cbranch_execz .LBB25_5360
; %bb.5359:
	v_mov_b32_e32 v161, 0
	flat_store_b64 v[2:3], v[160:161]
.LBB25_5360:
	s_wait_xcnt 0x0
	s_or_b32 exec_lo, exec_lo, s42
                                        ; implicit-def: $vgpr160
                                        ; implicit-def: $vgpr2_vgpr3
.LBB25_5361:
	s_and_not1_saveexec_b32 s41, s41
	s_cbranch_execz .LBB25_5363
; %bb.5362:
	v_cvt_f16_f32_e64 v1, v160
	s_delay_alu instid0(VALU_DEP_1)
	v_and_b32_e32 v1, 0xffff, v1
	flat_store_b32 v[2:3], v1
.LBB25_5363:
	s_wait_xcnt 0x0
	s_or_b32 exec_lo, exec_lo, s41
                                        ; implicit-def: $vgpr160
                                        ; implicit-def: $vgpr2_vgpr3
                                        ; implicit-def: $vgpr1
.LBB25_5364:
	s_and_not1_saveexec_b32 s40, s40
	s_cbranch_execz .LBB25_5374
; %bb.5365:
	s_mov_b32 s41, exec_lo
	v_cmpx_lt_i16_e32 5, v1
	s_xor_b32 s41, exec_lo, s41
	s_cbranch_execz .LBB25_5371
; %bb.5366:
	s_mov_b32 s42, exec_lo
	v_cmpx_lt_i16_e32 6, v1
	s_xor_b32 s42, exec_lo, s42
	s_cbranch_execz .LBB25_5368
; %bb.5367:
	v_cvt_f64_f32_e32 v[4:5], v160
                                        ; implicit-def: $vgpr160
	flat_store_b64 v[2:3], v[4:5]
                                        ; implicit-def: $vgpr2_vgpr3
.LBB25_5368:
	s_wait_xcnt 0x0
	s_and_not1_saveexec_b32 s42, s42
	s_cbranch_execz .LBB25_5370
; %bb.5369:
	flat_store_b32 v[2:3], v160
.LBB25_5370:
	s_wait_xcnt 0x0
	s_or_b32 exec_lo, exec_lo, s42
                                        ; implicit-def: $vgpr160
                                        ; implicit-def: $vgpr2_vgpr3
.LBB25_5371:
	s_and_not1_saveexec_b32 s41, s41
	s_cbranch_execz .LBB25_5373
; %bb.5372:
	v_cvt_f16_f32_e64 v1, v160
	flat_store_b16 v[2:3], v1
.LBB25_5373:
	s_wait_xcnt 0x0
	s_or_b32 exec_lo, exec_lo, s41
.LBB25_5374:
	s_delay_alu instid0(SALU_CYCLE_1)
	s_or_b32 exec_lo, exec_lo, s40
                                        ; implicit-def: $vgpr1
                                        ; implicit-def: $vgpr160
                                        ; implicit-def: $vgpr2_vgpr3
.LBB25_5375:
	s_and_not1_saveexec_b32 s29, s29
	s_cbranch_execz .LBB25_5393
; %bb.5376:
	s_mov_b32 s40, exec_lo
	v_cmpx_lt_i16_e32 1, v1
	s_xor_b32 s40, exec_lo, s40
	s_cbranch_execz .LBB25_5386
; %bb.5377:
	s_mov_b32 s41, exec_lo
	v_cmpx_lt_i16_e32 2, v1
	s_xor_b32 s41, exec_lo, s41
	s_cbranch_execz .LBB25_5383
; %bb.5378:
	s_mov_b32 s42, exec_lo
	v_cmpx_lt_i16_e32 3, v1
	s_xor_b32 s42, exec_lo, s42
	s_cbranch_execz .LBB25_5380
; %bb.5379:
	v_trunc_f32_e32 v1, v160
                                        ; implicit-def: $vgpr160
	s_delay_alu instid0(VALU_DEP_1) | instskip(NEXT) | instid1(VALU_DEP_1)
	v_mul_f32_e64 v4, 0x2f800000, |v1|
	v_floor_f32_e32 v5, v4
	v_ashrrev_i32_e32 v4, 31, v1
	s_delay_alu instid0(VALU_DEP_2) | instskip(SKIP_1) | instid1(VALU_DEP_3)
	v_fma_f32 v6, 0xcf800000, v5, |v1|
	v_cvt_u32_f32_e32 v1, v5
	v_mov_b32_e32 v5, v4
	s_delay_alu instid0(VALU_DEP_3) | instskip(NEXT) | instid1(VALU_DEP_3)
	v_cvt_u32_f32_e32 v6, v6
	v_xor_b32_e32 v7, v1, v4
	s_delay_alu instid0(VALU_DEP_2) | instskip(NEXT) | instid1(VALU_DEP_1)
	v_xor_b32_e32 v6, v6, v4
	v_sub_nc_u64_e32 v[4:5], v[6:7], v[4:5]
	flat_store_b64 v[2:3], v[4:5]
                                        ; implicit-def: $vgpr2_vgpr3
.LBB25_5380:
	s_wait_xcnt 0x0
	s_and_not1_saveexec_b32 s42, s42
	s_cbranch_execz .LBB25_5382
; %bb.5381:
	v_cvt_i32_f32_e32 v1, v160
	flat_store_b32 v[2:3], v1
.LBB25_5382:
	s_wait_xcnt 0x0
	s_or_b32 exec_lo, exec_lo, s42
                                        ; implicit-def: $vgpr160
                                        ; implicit-def: $vgpr2_vgpr3
.LBB25_5383:
	s_and_not1_saveexec_b32 s41, s41
	s_cbranch_execz .LBB25_5385
; %bb.5384:
	v_cvt_i32_f32_e32 v1, v160
	flat_store_b16 v[2:3], v1
.LBB25_5385:
	s_wait_xcnt 0x0
	s_or_b32 exec_lo, exec_lo, s41
                                        ; implicit-def: $vgpr160
                                        ; implicit-def: $vgpr2_vgpr3
                                        ; implicit-def: $vgpr1
.LBB25_5386:
	s_and_not1_saveexec_b32 s40, s40
	s_cbranch_execz .LBB25_5392
; %bb.5387:
	s_mov_b32 s41, exec_lo
	v_cmpx_lt_i16_e32 0, v1
	s_xor_b32 s41, exec_lo, s41
	s_cbranch_execz .LBB25_5389
; %bb.5388:
	v_cvt_i32_f32_e32 v1, v160
                                        ; implicit-def: $vgpr160
	flat_store_b8 v[2:3], v1
                                        ; implicit-def: $vgpr2_vgpr3
.LBB25_5389:
	s_wait_xcnt 0x0
	s_and_not1_saveexec_b32 s41, s41
	s_cbranch_execz .LBB25_5391
; %bb.5390:
	v_trunc_f32_e32 v1, v160
	s_delay_alu instid0(VALU_DEP_1) | instskip(NEXT) | instid1(VALU_DEP_1)
	v_mul_f32_e64 v4, 0x2f800000, |v1|
	v_floor_f32_e32 v4, v4
	s_delay_alu instid0(VALU_DEP_1) | instskip(SKIP_1) | instid1(VALU_DEP_2)
	v_fma_f32 v4, 0xcf800000, v4, |v1|
	v_ashrrev_i32_e32 v1, 31, v1
	v_cvt_u32_f32_e32 v4, v4
	s_delay_alu instid0(VALU_DEP_1) | instskip(NEXT) | instid1(VALU_DEP_1)
	v_xor_b32_e32 v4, v4, v1
	v_sub_nc_u32_e32 v1, v4, v1
	flat_store_b8 v[2:3], v1
.LBB25_5391:
	s_wait_xcnt 0x0
	s_or_b32 exec_lo, exec_lo, s41
.LBB25_5392:
	s_delay_alu instid0(SALU_CYCLE_1)
	s_or_b32 exec_lo, exec_lo, s40
.LBB25_5393:
	s_delay_alu instid0(SALU_CYCLE_1) | instskip(NEXT) | instid1(SALU_CYCLE_1)
	s_or_b32 exec_lo, exec_lo, s29
	s_or_b32 s0, s0, exec_lo
.LBB25_5394:
	s_or_b32 exec_lo, exec_lo, s25
	s_mov_b32 s29, 0
	s_mov_b32 s25, 0
	s_and_saveexec_b32 s40, s0
; %bb.5395:
	v_add_nc_u32_e32 v209, 0x200, v209
	s_mov_b32 s29, exec_lo
	s_delay_alu instid0(VALU_DEP_1)
	v_cmp_lt_i32_e32 vcc_lo, v209, v211
	s_and_b32 s25, vcc_lo, exec_lo
; %bb.5396:
	s_or_b32 exec_lo, exec_lo, s40
	s_delay_alu instid0(SALU_CYCLE_1)
	s_and_not1_b32 s0, s23, exec_lo
	s_and_b32 s28, s28, exec_lo
	s_and_b32 s40, s25, exec_lo
	s_or_b32 s25, s0, s28
	s_or_not1_b32 s29, s29, exec_lo
.LBB25_5397:
	s_or_b32 exec_lo, exec_lo, s26
	s_mov_b32 s0, 0
	s_mov_b32 s28, 0
                                        ; implicit-def: $vgpr4
                                        ; implicit-def: $vgpr2_vgpr3
	s_and_saveexec_b32 s26, s29
	s_cbranch_execz .LBB25_7819
; %bb.5398:
	s_mov_b32 s41, -1
	s_mov_b32 s29, 0
	s_mov_b32 s27, s25
	s_and_saveexec_b32 s28, s40
	s_cbranch_execz .LBB25_5526
; %bb.5399:
	v_dual_add_nc_u32 v1, s60, v209 :: v_dual_mov_b32 v3, 0
	s_mov_b32 s40, s25
	s_mov_b32 s27, exec_lo
	s_delay_alu instid0(VALU_DEP_1) | instskip(SKIP_1) | instid1(VALU_DEP_2)
	v_mul_lo_u32 v2, v1, v210
	v_and_b32_e32 v1, 0xff, v85
	v_add_nc_u64_e32 v[2:3], v[212:213], v[2:3]
	s_delay_alu instid0(VALU_DEP_2)
	v_cmpx_lt_i16_e32 10, v1
	s_xor_b32 s27, exec_lo, s27
	s_cbranch_execz .LBB25_5481
; %bb.5400:
	s_mov_b32 s40, s25
	s_mov_b32 s41, exec_lo
	v_cmpx_lt_i16_e32 25, v1
	s_xor_b32 s41, exec_lo, s41
	s_cbranch_execz .LBB25_5436
; %bb.5401:
	s_mov_b32 s42, s25
	s_mov_b32 s40, exec_lo
	;; [unrolled: 6-line block ×3, first 2 shown]
	v_cmpx_lt_i16_e32 43, v1
	s_xor_b32 s42, exec_lo, s42
	s_cbranch_execz .LBB25_5414
; %bb.5403:
	s_mov_b32 s43, 0
	s_mov_b32 s44, s25
	s_mov_b32 s0, exec_lo
	v_cmpx_lt_i16_e32 45, v1
	s_xor_b32 s0, exec_lo, s0
	s_cbranch_execz .LBB25_5407
; %bb.5404:
	s_mov_b32 s45, -1
	s_mov_b32 s44, exec_lo
	v_cmpx_eq_u16_e32 46, v1
	s_cbranch_execz .LBB25_5406
; %bb.5405:
	v_bfe_u32 v1, v150, 16, 1
	v_cmp_o_f32_e32 vcc_lo, v150, v150
	s_mov_b32 s43, exec_lo
	s_xor_b32 s45, exec_lo, -1
	s_delay_alu instid0(VALU_DEP_2) | instskip(NEXT) | instid1(VALU_DEP_1)
	v_add3_u32 v1, v150, v1, 0x7fff
	v_lshrrev_b32_e32 v1, 16, v1
	s_delay_alu instid0(VALU_DEP_1)
	v_cndmask_b32_e32 v1, 0x7fc0, v1, vcc_lo
	flat_store_b32 v[2:3], v1
.LBB25_5406:
	s_wait_xcnt 0x0
	s_or_b32 exec_lo, exec_lo, s44
	s_delay_alu instid0(SALU_CYCLE_1)
	s_and_not1_b32 s44, s25, exec_lo
	s_and_b32 s45, s45, exec_lo
	s_and_b32 s43, s43, exec_lo
	s_or_b32 s44, s44, s45
                                        ; implicit-def: $vgpr1
                                        ; implicit-def: $vgpr2_vgpr3
                                        ; implicit-def: $vgpr150
.LBB25_5407:
	s_and_not1_saveexec_b32 s45, s0
	s_cbranch_execz .LBB25_5413
; %bb.5408:
	s_mov_b32 s47, -1
	s_mov_b32 s0, s43
	s_mov_b32 s46, exec_lo
	v_cmpx_eq_u16_e32 44, v1
	s_cbranch_execz .LBB25_5412
; %bb.5409:
	v_bfe_u32 v4, v150, 23, 8
	v_mov_b32_e32 v1, 0xff
	s_mov_b32 s47, exec_lo
	s_delay_alu instid0(VALU_DEP_2)
	v_cmpx_ne_u32_e32 0xff, v4
	s_cbranch_execz .LBB25_5411
; %bb.5410:
	v_and_b32_e32 v1, 0x400000, v150
	v_and_or_b32 v4, 0x3fffff, v150, v4
	s_delay_alu instid0(VALU_DEP_2) | instskip(NEXT) | instid1(VALU_DEP_2)
	v_cmp_ne_u32_e32 vcc_lo, 0, v1
	v_cmp_ne_u32_e64 s0, 0, v4
	v_lshrrev_b32_e32 v1, 23, v150
	s_and_b32 s0, vcc_lo, s0
	s_delay_alu instid0(SALU_CYCLE_1) | instskip(NEXT) | instid1(VALU_DEP_1)
	v_cndmask_b32_e64 v4, 0, 1, s0
	v_add_nc_u32_e32 v1, v1, v4
.LBB25_5411:
	s_or_b32 exec_lo, exec_lo, s47
	s_delay_alu instid0(SALU_CYCLE_1)
	s_xor_b32 s47, exec_lo, -1
	s_or_b32 s0, s43, exec_lo
	flat_store_b8 v[2:3], v1
.LBB25_5412:
	s_wait_xcnt 0x0
	s_or_b32 exec_lo, exec_lo, s46
	s_delay_alu instid0(SALU_CYCLE_1)
	s_and_not1_b32 s44, s44, exec_lo
	s_and_b32 s46, s47, exec_lo
	s_and_not1_b32 s43, s43, exec_lo
	s_and_b32 s0, s0, exec_lo
	s_or_b32 s44, s44, s46
	s_or_b32 s43, s43, s0
.LBB25_5413:
	s_or_b32 exec_lo, exec_lo, s45
	s_delay_alu instid0(SALU_CYCLE_1) | instskip(SKIP_1) | instid1(SALU_CYCLE_1)
	s_and_not1_b32 s0, s25, exec_lo
	s_and_b32 s44, s44, exec_lo
                                        ; implicit-def: $vgpr1
                                        ; implicit-def: $vgpr150
                                        ; implicit-def: $vgpr2_vgpr3
	s_or_b32 s44, s0, s44
	s_and_b32 s0, s43, exec_lo
.LBB25_5414:
	s_and_not1_saveexec_b32 s42, s42
	s_cbranch_execz .LBB25_5418
; %bb.5415:
	s_mov_b32 s46, -1
	s_mov_b32 s45, s0
	s_mov_b32 s43, exec_lo
	v_cmpx_eq_u16_e32 29, v1
	s_cbranch_execz .LBB25_5417
; %bb.5416:
	v_trunc_f32_e32 v1, v150
	s_xor_b32 s46, exec_lo, -1
	s_or_b32 s45, s0, exec_lo
	s_delay_alu instid0(VALU_DEP_1) | instskip(NEXT) | instid1(VALU_DEP_1)
	v_mul_f32_e32 v4, 0x2f800000, v1
	v_floor_f32_e32 v4, v4
	s_delay_alu instid0(VALU_DEP_1) | instskip(SKIP_1) | instid1(VALU_DEP_2)
	v_fmamk_f32 v1, v4, 0xcf800000, v1
	v_cvt_u32_f32_e32 v5, v4
	v_cvt_u32_f32_e32 v4, v1
	flat_store_b64 v[2:3], v[4:5]
.LBB25_5417:
	s_wait_xcnt 0x0
	s_or_b32 exec_lo, exec_lo, s43
	s_delay_alu instid0(SALU_CYCLE_1)
	s_and_not1_b32 s43, s44, exec_lo
	s_and_b32 s44, s46, exec_lo
	s_and_not1_b32 s0, s0, exec_lo
	s_and_b32 s45, s45, exec_lo
	s_or_b32 s44, s43, s44
	s_or_b32 s0, s0, s45
.LBB25_5418:
	s_or_b32 exec_lo, exec_lo, s42
	s_delay_alu instid0(SALU_CYCLE_1)
	s_and_not1_b32 s42, s25, exec_lo
	s_and_b32 s43, s44, exec_lo
	s_and_b32 s0, s0, exec_lo
	s_or_b32 s42, s42, s43
                                        ; implicit-def: $vgpr2_vgpr3
                                        ; implicit-def: $vgpr1
                                        ; implicit-def: $vgpr150
.LBB25_5419:
	s_and_not1_saveexec_b32 s40, s40
	s_cbranch_execz .LBB25_5435
; %bb.5420:
	s_mov_b32 s43, exec_lo
	v_cmpx_lt_i16_e32 26, v1
	s_xor_b32 s43, exec_lo, s43
	s_cbranch_execz .LBB25_5426
; %bb.5421:
	v_cmp_lt_i16_e32 vcc_lo, 27, v1
	v_cvt_u32_f32_e32 v1, v150
	s_and_saveexec_b32 s44, vcc_lo
	s_delay_alu instid0(SALU_CYCLE_1)
	s_xor_b32 s44, exec_lo, s44
	s_cbranch_execz .LBB25_5423
; %bb.5422:
	flat_store_b32 v[2:3], v1
                                        ; implicit-def: $vgpr2_vgpr3
                                        ; implicit-def: $vgpr1
.LBB25_5423:
	s_wait_xcnt 0x0
	s_and_not1_saveexec_b32 s44, s44
	s_cbranch_execz .LBB25_5425
; %bb.5424:
	flat_store_b16 v[2:3], v1
.LBB25_5425:
	s_wait_xcnt 0x0
	s_or_b32 exec_lo, exec_lo, s44
                                        ; implicit-def: $vgpr2_vgpr3
                                        ; implicit-def: $vgpr150
.LBB25_5426:
	s_and_not1_saveexec_b32 s43, s43
	s_cbranch_execz .LBB25_5434
; %bb.5427:
	v_and_b32_e32 v1, 0x7fffffff, v150
	v_mov_b32_e32 v4, 0x80
	s_mov_b32 s44, exec_lo
	s_delay_alu instid0(VALU_DEP_2)
	v_cmpx_gt_u32_e32 0x43800000, v1
	s_cbranch_execz .LBB25_5433
; %bb.5428:
	v_cmp_lt_u32_e32 vcc_lo, 0x3bffffff, v1
	s_mov_b32 s45, 0
                                        ; implicit-def: $vgpr1
	s_and_saveexec_b32 s46, vcc_lo
	s_delay_alu instid0(SALU_CYCLE_1)
	s_xor_b32 s46, exec_lo, s46
	s_cbranch_execnz .LBB25_7931
; %bb.5429:
	s_and_not1_saveexec_b32 s46, s46
	s_cbranch_execnz .LBB25_7932
.LBB25_5430:
	s_or_b32 exec_lo, exec_lo, s46
	v_mov_b32_e32 v4, 0
	s_and_saveexec_b32 s46, s45
.LBB25_5431:
	v_lshrrev_b32_e32 v4, 24, v150
	s_delay_alu instid0(VALU_DEP_1)
	v_and_or_b32 v4, 0x80, v4, v1
.LBB25_5432:
	s_or_b32 exec_lo, exec_lo, s46
.LBB25_5433:
	s_delay_alu instid0(SALU_CYCLE_1)
	s_or_b32 exec_lo, exec_lo, s44
	flat_store_b8 v[2:3], v4
.LBB25_5434:
	s_wait_xcnt 0x0
	s_or_b32 exec_lo, exec_lo, s43
	s_delay_alu instid0(SALU_CYCLE_1)
	s_or_b32 s0, s0, exec_lo
.LBB25_5435:
	s_or_b32 exec_lo, exec_lo, s40
	s_delay_alu instid0(SALU_CYCLE_1)
	s_and_not1_b32 s40, s25, exec_lo
	s_and_b32 s42, s42, exec_lo
	s_and_b32 s0, s0, exec_lo
	s_or_b32 s40, s40, s42
                                        ; implicit-def: $vgpr1
                                        ; implicit-def: $vgpr150
                                        ; implicit-def: $vgpr2_vgpr3
.LBB25_5436:
	s_and_not1_saveexec_b32 s41, s41
	s_cbranch_execz .LBB25_5480
; %bb.5437:
	s_mov_b32 s43, s0
	s_mov_b32 s42, exec_lo
	v_cmpx_lt_i16_e32 22, v1
	s_xor_b32 s42, exec_lo, s42
	s_cbranch_execz .LBB25_5469
; %bb.5438:
	s_mov_b32 s43, exec_lo
	v_cmpx_lt_i16_e32 23, v1
	s_xor_b32 s43, exec_lo, s43
	s_cbranch_execz .LBB25_5458
; %bb.5439:
	;; [unrolled: 5-line block ×3, first 2 shown]
	v_and_b32_e32 v1, 0x7fffffff, v150
	v_mov_b32_e32 v4, 0x80
	s_mov_b32 s45, exec_lo
	s_delay_alu instid0(VALU_DEP_2)
	v_cmpx_gt_u32_e32 0x47800000, v1
	s_cbranch_execz .LBB25_5446
; %bb.5441:
	v_cmp_lt_u32_e32 vcc_lo, 0x37ffffff, v1
	s_mov_b32 s46, 0
                                        ; implicit-def: $vgpr1
	s_and_saveexec_b32 s47, vcc_lo
	s_delay_alu instid0(SALU_CYCLE_1)
	s_xor_b32 s47, exec_lo, s47
	s_cbranch_execnz .LBB25_7933
; %bb.5442:
	s_and_not1_saveexec_b32 s47, s47
	s_cbranch_execnz .LBB25_7934
.LBB25_5443:
	s_or_b32 exec_lo, exec_lo, s47
	v_mov_b32_e32 v4, 0
	s_and_saveexec_b32 s47, s46
.LBB25_5444:
	v_lshrrev_b32_e32 v4, 24, v150
	s_delay_alu instid0(VALU_DEP_1)
	v_and_or_b32 v4, 0x80, v4, v1
.LBB25_5445:
	s_or_b32 exec_lo, exec_lo, s47
.LBB25_5446:
	s_delay_alu instid0(SALU_CYCLE_1)
	s_or_b32 exec_lo, exec_lo, s45
	flat_store_b8 v[2:3], v4
                                        ; implicit-def: $vgpr150
                                        ; implicit-def: $vgpr2_vgpr3
.LBB25_5447:
	s_wait_xcnt 0x0
	s_and_not1_saveexec_b32 s44, s44
	s_cbranch_execz .LBB25_5457
; %bb.5448:
	v_and_b32_e32 v4, 0x7fffffff, v150
	s_mov_b32 s45, exec_lo
                                        ; implicit-def: $vgpr1
	s_delay_alu instid0(VALU_DEP_1)
	v_cmpx_gt_u32_e32 0x43f00000, v4
	s_xor_b32 s45, exec_lo, s45
	s_cbranch_execz .LBB25_5454
; %bb.5449:
	s_mov_b32 s46, exec_lo
                                        ; implicit-def: $vgpr1
	v_cmpx_lt_u32_e32 0x3c7fffff, v4
	s_xor_b32 s46, exec_lo, s46
; %bb.5450:
	v_bfe_u32 v1, v150, 20, 1
	s_delay_alu instid0(VALU_DEP_1) | instskip(NEXT) | instid1(VALU_DEP_1)
	v_add3_u32 v1, v150, v1, 0x407ffff
	v_and_b32_e32 v4, 0xff00000, v1
	v_lshrrev_b32_e32 v1, 20, v1
	s_delay_alu instid0(VALU_DEP_2) | instskip(NEXT) | instid1(VALU_DEP_2)
	v_cmp_ne_u32_e32 vcc_lo, 0x7f00000, v4
	v_cndmask_b32_e32 v1, 0x7e, v1, vcc_lo
; %bb.5451:
	s_and_not1_saveexec_b32 s46, s46
; %bb.5452:
	v_add_f32_e64 v1, 0x46800000, |v150|
; %bb.5453:
	s_or_b32 exec_lo, exec_lo, s46
                                        ; implicit-def: $vgpr4
.LBB25_5454:
	s_and_not1_saveexec_b32 s45, s45
; %bb.5455:
	v_mov_b32_e32 v1, 0x7f
	v_cmp_lt_u32_e32 vcc_lo, 0x7f800000, v4
	s_delay_alu instid0(VALU_DEP_2)
	v_cndmask_b32_e32 v1, 0x7e, v1, vcc_lo
; %bb.5456:
	s_or_b32 exec_lo, exec_lo, s45
	v_lshrrev_b32_e32 v4, 24, v150
	s_delay_alu instid0(VALU_DEP_1)
	v_and_or_b32 v1, 0x80, v4, v1
	flat_store_b8 v[2:3], v1
.LBB25_5457:
	s_wait_xcnt 0x0
	s_or_b32 exec_lo, exec_lo, s44
                                        ; implicit-def: $vgpr150
                                        ; implicit-def: $vgpr2_vgpr3
.LBB25_5458:
	s_and_not1_saveexec_b32 s43, s43
	s_cbranch_execz .LBB25_5468
; %bb.5459:
	v_and_b32_e32 v4, 0x7fffffff, v150
	s_mov_b32 s44, exec_lo
                                        ; implicit-def: $vgpr1
	s_delay_alu instid0(VALU_DEP_1)
	v_cmpx_gt_u32_e32 0x47800000, v4
	s_xor_b32 s44, exec_lo, s44
	s_cbranch_execz .LBB25_5465
; %bb.5460:
	s_mov_b32 s45, exec_lo
                                        ; implicit-def: $vgpr1
	v_cmpx_lt_u32_e32 0x387fffff, v4
	s_xor_b32 s45, exec_lo, s45
; %bb.5461:
	v_bfe_u32 v1, v150, 21, 1
	s_delay_alu instid0(VALU_DEP_1) | instskip(NEXT) | instid1(VALU_DEP_1)
	v_add3_u32 v1, v150, v1, 0x80fffff
	v_lshrrev_b32_e32 v1, 21, v1
; %bb.5462:
	s_and_not1_saveexec_b32 s45, s45
; %bb.5463:
	v_add_f32_e64 v1, 0x43000000, |v150|
; %bb.5464:
	s_or_b32 exec_lo, exec_lo, s45
                                        ; implicit-def: $vgpr4
.LBB25_5465:
	s_and_not1_saveexec_b32 s44, s44
; %bb.5466:
	v_mov_b32_e32 v1, 0x7f
	v_cmp_lt_u32_e32 vcc_lo, 0x7f800000, v4
	s_delay_alu instid0(VALU_DEP_2)
	v_cndmask_b32_e32 v1, 0x7c, v1, vcc_lo
; %bb.5467:
	s_or_b32 exec_lo, exec_lo, s44
	v_lshrrev_b32_e32 v4, 24, v150
	s_delay_alu instid0(VALU_DEP_1)
	v_and_or_b32 v1, 0x80, v4, v1
	flat_store_b8 v[2:3], v1
.LBB25_5468:
	s_wait_xcnt 0x0
	s_or_b32 exec_lo, exec_lo, s43
	s_delay_alu instid0(SALU_CYCLE_1)
	s_or_b32 s43, s0, exec_lo
                                        ; implicit-def: $vgpr1
                                        ; implicit-def: $vgpr150
                                        ; implicit-def: $vgpr2_vgpr3
.LBB25_5469:
	s_or_saveexec_b32 s42, s42
	s_mov_b32 s44, s40
	s_xor_b32 exec_lo, exec_lo, s42
	s_cbranch_execz .LBB25_5479
; %bb.5470:
	s_mov_b32 s44, s43
	s_mov_b32 s45, s40
	s_mov_b32 s46, exec_lo
	v_cmpx_lt_i16_e32 14, v1
	s_xor_b32 s46, exec_lo, s46
	s_cbranch_execz .LBB25_5474
; %bb.5471:
	s_mov_b32 s47, -1
	s_mov_b32 s44, s43
	s_mov_b32 s45, exec_lo
	v_cmpx_eq_u16_e32 15, v1
	s_cbranch_execz .LBB25_5473
; %bb.5472:
	v_bfe_u32 v1, v150, 16, 1
	v_cmp_o_f32_e32 vcc_lo, v150, v150
	s_xor_b32 s47, exec_lo, -1
	s_or_b32 s44, s43, exec_lo
	s_delay_alu instid0(VALU_DEP_2) | instskip(NEXT) | instid1(VALU_DEP_1)
	v_add3_u32 v1, v150, v1, 0x7fff
	v_lshrrev_b32_e32 v1, 16, v1
	s_delay_alu instid0(VALU_DEP_1)
	v_cndmask_b32_e32 v1, 0x7fc0, v1, vcc_lo
	flat_store_b16 v[2:3], v1
.LBB25_5473:
	s_wait_xcnt 0x0
	s_or_b32 exec_lo, exec_lo, s45
	s_delay_alu instid0(SALU_CYCLE_1)
	s_and_not1_b32 s45, s40, exec_lo
	s_and_b32 s47, s47, exec_lo
	s_and_not1_b32 s56, s43, exec_lo
	s_and_b32 s44, s44, exec_lo
	s_or_b32 s45, s45, s47
	s_or_b32 s44, s56, s44
                                        ; implicit-def: $vgpr1
                                        ; implicit-def: $vgpr150
                                        ; implicit-def: $vgpr2_vgpr3
.LBB25_5474:
	s_and_not1_saveexec_b32 s46, s46
	s_cbranch_execz .LBB25_5478
; %bb.5475:
	s_mov_b32 s56, -1
	s_mov_b32 s47, s44
	s_mov_b32 s57, exec_lo
	v_cmpx_eq_u16_e32 11, v1
	s_cbranch_execz .LBB25_5477
; %bb.5476:
	v_cmp_neq_f32_e32 vcc_lo, 0, v150
	s_xor_b32 s56, exec_lo, -1
	s_or_b32 s47, s44, exec_lo
	v_cndmask_b32_e64 v1, 0, 1, vcc_lo
	flat_store_b8 v[2:3], v1
.LBB25_5477:
	s_wait_xcnt 0x0
	s_or_b32 exec_lo, exec_lo, s57
	s_delay_alu instid0(SALU_CYCLE_1)
	s_and_not1_b32 s45, s45, exec_lo
	s_and_b32 s56, s56, exec_lo
	s_and_not1_b32 s44, s44, exec_lo
	s_and_b32 s47, s47, exec_lo
	s_or_b32 s45, s45, s56
	s_or_b32 s44, s44, s47
.LBB25_5478:
	s_or_b32 exec_lo, exec_lo, s46
	s_delay_alu instid0(SALU_CYCLE_1)
	s_and_not1_b32 s46, s40, exec_lo
	s_and_b32 s45, s45, exec_lo
	s_and_not1_b32 s43, s43, exec_lo
	s_and_b32 s47, s44, exec_lo
	s_or_b32 s44, s46, s45
	s_or_b32 s43, s43, s47
.LBB25_5479:
	s_or_b32 exec_lo, exec_lo, s42
	s_delay_alu instid0(SALU_CYCLE_1)
	s_and_not1_b32 s40, s40, exec_lo
	s_and_b32 s42, s44, exec_lo
	s_and_not1_b32 s0, s0, exec_lo
	s_and_b32 s43, s43, exec_lo
	s_or_b32 s40, s40, s42
	s_or_b32 s0, s0, s43
.LBB25_5480:
	s_or_b32 exec_lo, exec_lo, s41
	s_delay_alu instid0(SALU_CYCLE_1)
	s_and_not1_b32 s41, s25, exec_lo
	s_and_b32 s40, s40, exec_lo
	s_and_b32 s0, s0, exec_lo
	s_or_b32 s40, s41, s40
                                        ; implicit-def: $vgpr1
                                        ; implicit-def: $vgpr150
                                        ; implicit-def: $vgpr2_vgpr3
.LBB25_5481:
	s_and_not1_saveexec_b32 s27, s27
	s_cbranch_execz .LBB25_5523
; %bb.5482:
	s_mov_b32 s41, exec_lo
	v_cmpx_lt_i16_e32 4, v1
	s_xor_b32 s41, exec_lo, s41
	s_cbranch_execz .LBB25_5504
; %bb.5483:
	s_mov_b32 s42, exec_lo
	v_cmpx_lt_i16_e32 7, v1
	s_xor_b32 s42, exec_lo, s42
	;; [unrolled: 5-line block ×4, first 2 shown]
	s_cbranch_execz .LBB25_5487
; %bb.5486:
	v_cvt_f64_f32_e32 v[4:5], v150
	v_mov_b32_e32 v6, 0
                                        ; implicit-def: $vgpr150
	s_delay_alu instid0(VALU_DEP_1)
	v_mov_b32_e32 v7, v6
	flat_store_b128 v[2:3], v[4:7]
                                        ; implicit-def: $vgpr2_vgpr3
.LBB25_5487:
	s_wait_xcnt 0x0
	s_and_not1_saveexec_b32 s44, s44
	s_cbranch_execz .LBB25_5489
; %bb.5488:
	v_mov_b32_e32 v151, 0
	flat_store_b64 v[2:3], v[150:151]
.LBB25_5489:
	s_wait_xcnt 0x0
	s_or_b32 exec_lo, exec_lo, s44
                                        ; implicit-def: $vgpr150
                                        ; implicit-def: $vgpr2_vgpr3
.LBB25_5490:
	s_and_not1_saveexec_b32 s43, s43
	s_cbranch_execz .LBB25_5492
; %bb.5491:
	v_cvt_f16_f32_e64 v1, v150
	s_delay_alu instid0(VALU_DEP_1)
	v_and_b32_e32 v1, 0xffff, v1
	flat_store_b32 v[2:3], v1
.LBB25_5492:
	s_wait_xcnt 0x0
	s_or_b32 exec_lo, exec_lo, s43
                                        ; implicit-def: $vgpr150
                                        ; implicit-def: $vgpr2_vgpr3
                                        ; implicit-def: $vgpr1
.LBB25_5493:
	s_and_not1_saveexec_b32 s42, s42
	s_cbranch_execz .LBB25_5503
; %bb.5494:
	s_mov_b32 s43, exec_lo
	v_cmpx_lt_i16_e32 5, v1
	s_xor_b32 s43, exec_lo, s43
	s_cbranch_execz .LBB25_5500
; %bb.5495:
	s_mov_b32 s44, exec_lo
	v_cmpx_lt_i16_e32 6, v1
	s_xor_b32 s44, exec_lo, s44
	s_cbranch_execz .LBB25_5497
; %bb.5496:
	v_cvt_f64_f32_e32 v[4:5], v150
                                        ; implicit-def: $vgpr150
	flat_store_b64 v[2:3], v[4:5]
                                        ; implicit-def: $vgpr2_vgpr3
.LBB25_5497:
	s_wait_xcnt 0x0
	s_and_not1_saveexec_b32 s44, s44
	s_cbranch_execz .LBB25_5499
; %bb.5498:
	flat_store_b32 v[2:3], v150
.LBB25_5499:
	s_wait_xcnt 0x0
	s_or_b32 exec_lo, exec_lo, s44
                                        ; implicit-def: $vgpr150
                                        ; implicit-def: $vgpr2_vgpr3
.LBB25_5500:
	s_and_not1_saveexec_b32 s43, s43
	s_cbranch_execz .LBB25_5502
; %bb.5501:
	v_cvt_f16_f32_e64 v1, v150
	flat_store_b16 v[2:3], v1
.LBB25_5502:
	s_wait_xcnt 0x0
	s_or_b32 exec_lo, exec_lo, s43
.LBB25_5503:
	s_delay_alu instid0(SALU_CYCLE_1)
	s_or_b32 exec_lo, exec_lo, s42
                                        ; implicit-def: $vgpr1
                                        ; implicit-def: $vgpr150
                                        ; implicit-def: $vgpr2_vgpr3
.LBB25_5504:
	s_and_not1_saveexec_b32 s41, s41
	s_cbranch_execz .LBB25_5522
; %bb.5505:
	s_mov_b32 s42, exec_lo
	v_cmpx_lt_i16_e32 1, v1
	s_xor_b32 s42, exec_lo, s42
	s_cbranch_execz .LBB25_5515
; %bb.5506:
	s_mov_b32 s43, exec_lo
	v_cmpx_lt_i16_e32 2, v1
	s_xor_b32 s43, exec_lo, s43
	;; [unrolled: 5-line block ×3, first 2 shown]
	s_cbranch_execz .LBB25_5509
; %bb.5508:
	v_trunc_f32_e32 v1, v150
                                        ; implicit-def: $vgpr150
	s_delay_alu instid0(VALU_DEP_1) | instskip(NEXT) | instid1(VALU_DEP_1)
	v_mul_f32_e64 v4, 0x2f800000, |v1|
	v_floor_f32_e32 v5, v4
	v_ashrrev_i32_e32 v4, 31, v1
	s_delay_alu instid0(VALU_DEP_2) | instskip(SKIP_1) | instid1(VALU_DEP_3)
	v_fma_f32 v6, 0xcf800000, v5, |v1|
	v_cvt_u32_f32_e32 v1, v5
	v_mov_b32_e32 v5, v4
	s_delay_alu instid0(VALU_DEP_3) | instskip(NEXT) | instid1(VALU_DEP_3)
	v_cvt_u32_f32_e32 v6, v6
	v_xor_b32_e32 v7, v1, v4
	s_delay_alu instid0(VALU_DEP_2) | instskip(NEXT) | instid1(VALU_DEP_1)
	v_xor_b32_e32 v6, v6, v4
	v_sub_nc_u64_e32 v[4:5], v[6:7], v[4:5]
	flat_store_b64 v[2:3], v[4:5]
                                        ; implicit-def: $vgpr2_vgpr3
.LBB25_5509:
	s_wait_xcnt 0x0
	s_and_not1_saveexec_b32 s44, s44
	s_cbranch_execz .LBB25_5511
; %bb.5510:
	v_cvt_i32_f32_e32 v1, v150
	flat_store_b32 v[2:3], v1
.LBB25_5511:
	s_wait_xcnt 0x0
	s_or_b32 exec_lo, exec_lo, s44
                                        ; implicit-def: $vgpr150
                                        ; implicit-def: $vgpr2_vgpr3
.LBB25_5512:
	s_and_not1_saveexec_b32 s43, s43
	s_cbranch_execz .LBB25_5514
; %bb.5513:
	v_cvt_i32_f32_e32 v1, v150
	flat_store_b16 v[2:3], v1
.LBB25_5514:
	s_wait_xcnt 0x0
	s_or_b32 exec_lo, exec_lo, s43
                                        ; implicit-def: $vgpr150
                                        ; implicit-def: $vgpr2_vgpr3
                                        ; implicit-def: $vgpr1
.LBB25_5515:
	s_and_not1_saveexec_b32 s42, s42
	s_cbranch_execz .LBB25_5521
; %bb.5516:
	s_mov_b32 s43, exec_lo
	v_cmpx_lt_i16_e32 0, v1
	s_xor_b32 s43, exec_lo, s43
	s_cbranch_execz .LBB25_5518
; %bb.5517:
	v_cvt_i32_f32_e32 v1, v150
                                        ; implicit-def: $vgpr150
	flat_store_b8 v[2:3], v1
                                        ; implicit-def: $vgpr2_vgpr3
.LBB25_5518:
	s_wait_xcnt 0x0
	s_and_not1_saveexec_b32 s43, s43
	s_cbranch_execz .LBB25_5520
; %bb.5519:
	v_trunc_f32_e32 v1, v150
	s_delay_alu instid0(VALU_DEP_1) | instskip(NEXT) | instid1(VALU_DEP_1)
	v_mul_f32_e64 v4, 0x2f800000, |v1|
	v_floor_f32_e32 v4, v4
	s_delay_alu instid0(VALU_DEP_1) | instskip(SKIP_1) | instid1(VALU_DEP_2)
	v_fma_f32 v4, 0xcf800000, v4, |v1|
	v_ashrrev_i32_e32 v1, 31, v1
	v_cvt_u32_f32_e32 v4, v4
	s_delay_alu instid0(VALU_DEP_1) | instskip(NEXT) | instid1(VALU_DEP_1)
	v_xor_b32_e32 v4, v4, v1
	v_sub_nc_u32_e32 v1, v4, v1
	flat_store_b8 v[2:3], v1
.LBB25_5520:
	s_wait_xcnt 0x0
	s_or_b32 exec_lo, exec_lo, s43
.LBB25_5521:
	s_delay_alu instid0(SALU_CYCLE_1)
	s_or_b32 exec_lo, exec_lo, s42
.LBB25_5522:
	s_delay_alu instid0(SALU_CYCLE_1) | instskip(NEXT) | instid1(SALU_CYCLE_1)
	s_or_b32 exec_lo, exec_lo, s41
	s_or_b32 s0, s0, exec_lo
.LBB25_5523:
	s_or_b32 exec_lo, exec_lo, s27
	s_mov_b32 s41, 0
	s_mov_b32 s27, 0
	s_and_saveexec_b32 s42, s0
; %bb.5524:
	v_add_nc_u32_e32 v209, 0x200, v209
	s_mov_b32 s41, exec_lo
	s_delay_alu instid0(VALU_DEP_1)
	v_cmp_lt_i32_e32 vcc_lo, v209, v211
	s_and_b32 s27, vcc_lo, exec_lo
; %bb.5525:
	s_or_b32 exec_lo, exec_lo, s42
	s_delay_alu instid0(SALU_CYCLE_1)
	s_and_not1_b32 s42, s25, exec_lo
	s_and_b32 s40, s40, exec_lo
	s_and_b32 s0, s27, exec_lo
	s_or_b32 s27, s42, s40
	s_or_not1_b32 s41, s41, exec_lo
.LBB25_5526:
	s_or_b32 exec_lo, exec_lo, s28
	s_mov_b32 s40, 0
	s_mov_b32 s42, 0
                                        ; implicit-def: $vgpr4
                                        ; implicit-def: $vgpr2_vgpr3
	s_and_saveexec_b32 s28, s41
	s_cbranch_execz .LBB25_7818
; %bb.5527:
	s_mov_b32 s43, -1
	s_mov_b32 s41, 0
	s_mov_b32 s29, s27
	;; [unrolled: 1-line block ×3, first 2 shown]
	s_and_saveexec_b32 s40, s0
	s_cbranch_execz .LBB25_5655
; %bb.5528:
	v_dual_add_nc_u32 v1, s60, v209 :: v_dual_mov_b32 v3, 0
	s_mov_b32 s0, 0
	s_mov_b32 s42, s27
	s_mov_b32 s29, exec_lo
	s_delay_alu instid0(VALU_DEP_1) | instskip(SKIP_1) | instid1(VALU_DEP_2)
	v_mul_lo_u32 v2, v1, v210
	v_and_b32_e32 v1, 0xff, v85
	v_add_nc_u64_e32 v[2:3], v[212:213], v[2:3]
	s_delay_alu instid0(VALU_DEP_2)
	v_cmpx_lt_i16_e32 10, v1
	s_xor_b32 s29, exec_lo, s29
	s_cbranch_execz .LBB25_5610
; %bb.5529:
	s_mov_b32 s42, s27
	s_mov_b32 s43, exec_lo
	v_cmpx_lt_i16_e32 25, v1
	s_xor_b32 s43, exec_lo, s43
	s_cbranch_execz .LBB25_5565
; %bb.5530:
	s_mov_b32 s44, s27
	s_mov_b32 s42, exec_lo
	;; [unrolled: 6-line block ×3, first 2 shown]
	v_cmpx_lt_i16_e32 43, v1
	s_xor_b32 s44, exec_lo, s44
	s_cbranch_execz .LBB25_5543
; %bb.5532:
	s_mov_b32 s45, 0
	s_mov_b32 s46, s27
	s_mov_b32 s0, exec_lo
	v_cmpx_lt_i16_e32 45, v1
	s_xor_b32 s0, exec_lo, s0
	s_cbranch_execz .LBB25_5536
; %bb.5533:
	s_mov_b32 s47, -1
	s_mov_b32 s46, exec_lo
	v_cmpx_eq_u16_e32 46, v1
	s_cbranch_execz .LBB25_5535
; %bb.5534:
	v_bfe_u32 v1, v148, 16, 1
	v_cmp_o_f32_e32 vcc_lo, v148, v148
	s_mov_b32 s45, exec_lo
	s_xor_b32 s47, exec_lo, -1
	s_delay_alu instid0(VALU_DEP_2) | instskip(NEXT) | instid1(VALU_DEP_1)
	v_add3_u32 v1, v148, v1, 0x7fff
	v_lshrrev_b32_e32 v1, 16, v1
	s_delay_alu instid0(VALU_DEP_1)
	v_cndmask_b32_e32 v1, 0x7fc0, v1, vcc_lo
	flat_store_b32 v[2:3], v1
.LBB25_5535:
	s_wait_xcnt 0x0
	s_or_b32 exec_lo, exec_lo, s46
	s_delay_alu instid0(SALU_CYCLE_1)
	s_and_not1_b32 s46, s27, exec_lo
	s_and_b32 s47, s47, exec_lo
	s_and_b32 s45, s45, exec_lo
	s_or_b32 s46, s46, s47
                                        ; implicit-def: $vgpr1
                                        ; implicit-def: $vgpr2_vgpr3
                                        ; implicit-def: $vgpr148
.LBB25_5536:
	s_and_not1_saveexec_b32 s47, s0
	s_cbranch_execz .LBB25_5542
; %bb.5537:
	s_mov_b32 s57, -1
	s_mov_b32 s0, s45
	s_mov_b32 s56, exec_lo
	v_cmpx_eq_u16_e32 44, v1
	s_cbranch_execz .LBB25_5541
; %bb.5538:
	v_bfe_u32 v4, v148, 23, 8
	v_mov_b32_e32 v1, 0xff
	s_mov_b32 s57, exec_lo
	s_delay_alu instid0(VALU_DEP_2)
	v_cmpx_ne_u32_e32 0xff, v4
	s_cbranch_execz .LBB25_5540
; %bb.5539:
	v_and_b32_e32 v1, 0x400000, v148
	v_and_or_b32 v4, 0x3fffff, v148, v4
	s_delay_alu instid0(VALU_DEP_2) | instskip(NEXT) | instid1(VALU_DEP_2)
	v_cmp_ne_u32_e32 vcc_lo, 0, v1
	v_cmp_ne_u32_e64 s0, 0, v4
	v_lshrrev_b32_e32 v1, 23, v148
	s_and_b32 s0, vcc_lo, s0
	s_delay_alu instid0(SALU_CYCLE_1) | instskip(NEXT) | instid1(VALU_DEP_1)
	v_cndmask_b32_e64 v4, 0, 1, s0
	v_add_nc_u32_e32 v1, v1, v4
.LBB25_5540:
	s_or_b32 exec_lo, exec_lo, s57
	s_delay_alu instid0(SALU_CYCLE_1)
	s_xor_b32 s57, exec_lo, -1
	s_or_b32 s0, s45, exec_lo
	flat_store_b8 v[2:3], v1
.LBB25_5541:
	s_wait_xcnt 0x0
	s_or_b32 exec_lo, exec_lo, s56
	s_delay_alu instid0(SALU_CYCLE_1)
	s_and_not1_b32 s46, s46, exec_lo
	s_and_b32 s56, s57, exec_lo
	s_and_not1_b32 s45, s45, exec_lo
	s_and_b32 s0, s0, exec_lo
	s_or_b32 s46, s46, s56
	s_or_b32 s45, s45, s0
.LBB25_5542:
	s_or_b32 exec_lo, exec_lo, s47
	s_delay_alu instid0(SALU_CYCLE_1) | instskip(SKIP_1) | instid1(SALU_CYCLE_1)
	s_and_not1_b32 s0, s27, exec_lo
	s_and_b32 s46, s46, exec_lo
                                        ; implicit-def: $vgpr1
                                        ; implicit-def: $vgpr148
                                        ; implicit-def: $vgpr2_vgpr3
	s_or_b32 s46, s0, s46
	s_and_b32 s0, s45, exec_lo
.LBB25_5543:
	s_and_not1_saveexec_b32 s44, s44
	s_cbranch_execz .LBB25_5547
; %bb.5544:
	s_mov_b32 s56, -1
	s_mov_b32 s47, s0
	s_mov_b32 s45, exec_lo
	v_cmpx_eq_u16_e32 29, v1
	s_cbranch_execz .LBB25_5546
; %bb.5545:
	v_trunc_f32_e32 v1, v148
	s_xor_b32 s56, exec_lo, -1
	s_or_b32 s47, s0, exec_lo
	s_delay_alu instid0(VALU_DEP_1) | instskip(NEXT) | instid1(VALU_DEP_1)
	v_mul_f32_e32 v4, 0x2f800000, v1
	v_floor_f32_e32 v4, v4
	s_delay_alu instid0(VALU_DEP_1) | instskip(SKIP_1) | instid1(VALU_DEP_2)
	v_fmamk_f32 v1, v4, 0xcf800000, v1
	v_cvt_u32_f32_e32 v5, v4
	v_cvt_u32_f32_e32 v4, v1
	flat_store_b64 v[2:3], v[4:5]
.LBB25_5546:
	s_wait_xcnt 0x0
	s_or_b32 exec_lo, exec_lo, s45
	s_delay_alu instid0(SALU_CYCLE_1)
	s_and_not1_b32 s45, s46, exec_lo
	s_and_b32 s46, s56, exec_lo
	s_and_not1_b32 s0, s0, exec_lo
	s_and_b32 s47, s47, exec_lo
	s_or_b32 s46, s45, s46
	s_or_b32 s0, s0, s47
.LBB25_5547:
	s_or_b32 exec_lo, exec_lo, s44
	s_delay_alu instid0(SALU_CYCLE_1)
	s_and_not1_b32 s44, s27, exec_lo
	s_and_b32 s45, s46, exec_lo
	s_and_b32 s0, s0, exec_lo
	s_or_b32 s44, s44, s45
                                        ; implicit-def: $vgpr2_vgpr3
                                        ; implicit-def: $vgpr1
                                        ; implicit-def: $vgpr148
.LBB25_5548:
	s_and_not1_saveexec_b32 s42, s42
	s_cbranch_execz .LBB25_5564
; %bb.5549:
	s_mov_b32 s45, exec_lo
	v_cmpx_lt_i16_e32 26, v1
	s_xor_b32 s45, exec_lo, s45
	s_cbranch_execz .LBB25_5555
; %bb.5550:
	v_cmp_lt_i16_e32 vcc_lo, 27, v1
	v_cvt_u32_f32_e32 v1, v148
	s_and_saveexec_b32 s46, vcc_lo
	s_delay_alu instid0(SALU_CYCLE_1)
	s_xor_b32 s46, exec_lo, s46
	s_cbranch_execz .LBB25_5552
; %bb.5551:
	flat_store_b32 v[2:3], v1
                                        ; implicit-def: $vgpr2_vgpr3
                                        ; implicit-def: $vgpr1
.LBB25_5552:
	s_wait_xcnt 0x0
	s_and_not1_saveexec_b32 s46, s46
	s_cbranch_execz .LBB25_5554
; %bb.5553:
	flat_store_b16 v[2:3], v1
.LBB25_5554:
	s_wait_xcnt 0x0
	s_or_b32 exec_lo, exec_lo, s46
                                        ; implicit-def: $vgpr2_vgpr3
                                        ; implicit-def: $vgpr148
.LBB25_5555:
	s_and_not1_saveexec_b32 s45, s45
	s_cbranch_execz .LBB25_5563
; %bb.5556:
	v_and_b32_e32 v1, 0x7fffffff, v148
	v_mov_b32_e32 v4, 0x80
	s_mov_b32 s46, exec_lo
	s_delay_alu instid0(VALU_DEP_2)
	v_cmpx_gt_u32_e32 0x43800000, v1
	s_cbranch_execz .LBB25_5562
; %bb.5557:
	v_cmp_lt_u32_e32 vcc_lo, 0x3bffffff, v1
	s_mov_b32 s47, 0
                                        ; implicit-def: $vgpr1
	s_and_saveexec_b32 s56, vcc_lo
	s_delay_alu instid0(SALU_CYCLE_1)
	s_xor_b32 s56, exec_lo, s56
	s_cbranch_execnz .LBB25_7935
; %bb.5558:
	s_and_not1_saveexec_b32 s56, s56
	s_cbranch_execnz .LBB25_7936
.LBB25_5559:
	s_or_b32 exec_lo, exec_lo, s56
	v_mov_b32_e32 v4, 0
	s_and_saveexec_b32 s56, s47
.LBB25_5560:
	v_lshrrev_b32_e32 v4, 24, v148
	s_delay_alu instid0(VALU_DEP_1)
	v_and_or_b32 v4, 0x80, v4, v1
.LBB25_5561:
	s_or_b32 exec_lo, exec_lo, s56
.LBB25_5562:
	s_delay_alu instid0(SALU_CYCLE_1)
	s_or_b32 exec_lo, exec_lo, s46
	flat_store_b8 v[2:3], v4
.LBB25_5563:
	s_wait_xcnt 0x0
	s_or_b32 exec_lo, exec_lo, s45
	s_delay_alu instid0(SALU_CYCLE_1)
	s_or_b32 s0, s0, exec_lo
.LBB25_5564:
	s_or_b32 exec_lo, exec_lo, s42
	s_delay_alu instid0(SALU_CYCLE_1)
	s_and_not1_b32 s42, s27, exec_lo
	s_and_b32 s44, s44, exec_lo
	s_and_b32 s0, s0, exec_lo
	s_or_b32 s42, s42, s44
                                        ; implicit-def: $vgpr1
                                        ; implicit-def: $vgpr148
                                        ; implicit-def: $vgpr2_vgpr3
.LBB25_5565:
	s_and_not1_saveexec_b32 s43, s43
	s_cbranch_execz .LBB25_5609
; %bb.5566:
	s_mov_b32 s45, s0
	s_mov_b32 s44, exec_lo
	v_cmpx_lt_i16_e32 22, v1
	s_xor_b32 s44, exec_lo, s44
	s_cbranch_execz .LBB25_5598
; %bb.5567:
	s_mov_b32 s45, exec_lo
	v_cmpx_lt_i16_e32 23, v1
	s_xor_b32 s45, exec_lo, s45
	s_cbranch_execz .LBB25_5587
; %bb.5568:
	;; [unrolled: 5-line block ×3, first 2 shown]
	v_and_b32_e32 v1, 0x7fffffff, v148
	v_mov_b32_e32 v4, 0x80
	s_mov_b32 s47, exec_lo
	s_delay_alu instid0(VALU_DEP_2)
	v_cmpx_gt_u32_e32 0x47800000, v1
	s_cbranch_execz .LBB25_5575
; %bb.5570:
	v_cmp_lt_u32_e32 vcc_lo, 0x37ffffff, v1
	s_mov_b32 s56, 0
                                        ; implicit-def: $vgpr1
	s_and_saveexec_b32 s57, vcc_lo
	s_delay_alu instid0(SALU_CYCLE_1)
	s_xor_b32 s57, exec_lo, s57
	s_cbranch_execnz .LBB25_7937
; %bb.5571:
	s_and_not1_saveexec_b32 s57, s57
	s_cbranch_execnz .LBB25_7938
.LBB25_5572:
	s_or_b32 exec_lo, exec_lo, s57
	v_mov_b32_e32 v4, 0
	s_and_saveexec_b32 s57, s56
.LBB25_5573:
	v_lshrrev_b32_e32 v4, 24, v148
	s_delay_alu instid0(VALU_DEP_1)
	v_and_or_b32 v4, 0x80, v4, v1
.LBB25_5574:
	s_or_b32 exec_lo, exec_lo, s57
.LBB25_5575:
	s_delay_alu instid0(SALU_CYCLE_1)
	s_or_b32 exec_lo, exec_lo, s47
	flat_store_b8 v[2:3], v4
                                        ; implicit-def: $vgpr148
                                        ; implicit-def: $vgpr2_vgpr3
.LBB25_5576:
	s_wait_xcnt 0x0
	s_and_not1_saveexec_b32 s46, s46
	s_cbranch_execz .LBB25_5586
; %bb.5577:
	v_and_b32_e32 v4, 0x7fffffff, v148
	s_mov_b32 s47, exec_lo
                                        ; implicit-def: $vgpr1
	s_delay_alu instid0(VALU_DEP_1)
	v_cmpx_gt_u32_e32 0x43f00000, v4
	s_xor_b32 s47, exec_lo, s47
	s_cbranch_execz .LBB25_5583
; %bb.5578:
	s_mov_b32 s56, exec_lo
                                        ; implicit-def: $vgpr1
	v_cmpx_lt_u32_e32 0x3c7fffff, v4
	s_xor_b32 s56, exec_lo, s56
; %bb.5579:
	v_bfe_u32 v1, v148, 20, 1
	s_delay_alu instid0(VALU_DEP_1) | instskip(NEXT) | instid1(VALU_DEP_1)
	v_add3_u32 v1, v148, v1, 0x407ffff
	v_and_b32_e32 v4, 0xff00000, v1
	v_lshrrev_b32_e32 v1, 20, v1
	s_delay_alu instid0(VALU_DEP_2) | instskip(NEXT) | instid1(VALU_DEP_2)
	v_cmp_ne_u32_e32 vcc_lo, 0x7f00000, v4
	v_cndmask_b32_e32 v1, 0x7e, v1, vcc_lo
; %bb.5580:
	s_and_not1_saveexec_b32 s56, s56
; %bb.5581:
	v_add_f32_e64 v1, 0x46800000, |v148|
; %bb.5582:
	s_or_b32 exec_lo, exec_lo, s56
                                        ; implicit-def: $vgpr4
.LBB25_5583:
	s_and_not1_saveexec_b32 s47, s47
; %bb.5584:
	v_mov_b32_e32 v1, 0x7f
	v_cmp_lt_u32_e32 vcc_lo, 0x7f800000, v4
	s_delay_alu instid0(VALU_DEP_2)
	v_cndmask_b32_e32 v1, 0x7e, v1, vcc_lo
; %bb.5585:
	s_or_b32 exec_lo, exec_lo, s47
	v_lshrrev_b32_e32 v4, 24, v148
	s_delay_alu instid0(VALU_DEP_1)
	v_and_or_b32 v1, 0x80, v4, v1
	flat_store_b8 v[2:3], v1
.LBB25_5586:
	s_wait_xcnt 0x0
	s_or_b32 exec_lo, exec_lo, s46
                                        ; implicit-def: $vgpr148
                                        ; implicit-def: $vgpr2_vgpr3
.LBB25_5587:
	s_and_not1_saveexec_b32 s45, s45
	s_cbranch_execz .LBB25_5597
; %bb.5588:
	v_and_b32_e32 v4, 0x7fffffff, v148
	s_mov_b32 s46, exec_lo
                                        ; implicit-def: $vgpr1
	s_delay_alu instid0(VALU_DEP_1)
	v_cmpx_gt_u32_e32 0x47800000, v4
	s_xor_b32 s46, exec_lo, s46
	s_cbranch_execz .LBB25_5594
; %bb.5589:
	s_mov_b32 s47, exec_lo
                                        ; implicit-def: $vgpr1
	v_cmpx_lt_u32_e32 0x387fffff, v4
	s_xor_b32 s47, exec_lo, s47
; %bb.5590:
	v_bfe_u32 v1, v148, 21, 1
	s_delay_alu instid0(VALU_DEP_1) | instskip(NEXT) | instid1(VALU_DEP_1)
	v_add3_u32 v1, v148, v1, 0x80fffff
	v_lshrrev_b32_e32 v1, 21, v1
; %bb.5591:
	s_and_not1_saveexec_b32 s47, s47
; %bb.5592:
	v_add_f32_e64 v1, 0x43000000, |v148|
; %bb.5593:
	s_or_b32 exec_lo, exec_lo, s47
                                        ; implicit-def: $vgpr4
.LBB25_5594:
	s_and_not1_saveexec_b32 s46, s46
; %bb.5595:
	v_mov_b32_e32 v1, 0x7f
	v_cmp_lt_u32_e32 vcc_lo, 0x7f800000, v4
	s_delay_alu instid0(VALU_DEP_2)
	v_cndmask_b32_e32 v1, 0x7c, v1, vcc_lo
; %bb.5596:
	s_or_b32 exec_lo, exec_lo, s46
	v_lshrrev_b32_e32 v4, 24, v148
	s_delay_alu instid0(VALU_DEP_1)
	v_and_or_b32 v1, 0x80, v4, v1
	flat_store_b8 v[2:3], v1
.LBB25_5597:
	s_wait_xcnt 0x0
	s_or_b32 exec_lo, exec_lo, s45
	s_delay_alu instid0(SALU_CYCLE_1)
	s_or_b32 s45, s0, exec_lo
                                        ; implicit-def: $vgpr1
                                        ; implicit-def: $vgpr148
                                        ; implicit-def: $vgpr2_vgpr3
.LBB25_5598:
	s_or_saveexec_b32 s44, s44
	s_mov_b32 s46, s42
	s_xor_b32 exec_lo, exec_lo, s44
	s_cbranch_execz .LBB25_5608
; %bb.5599:
	s_mov_b32 s46, s45
	s_mov_b32 s47, s42
	s_mov_b32 s56, exec_lo
	v_cmpx_lt_i16_e32 14, v1
	s_xor_b32 s56, exec_lo, s56
	s_cbranch_execz .LBB25_5603
; %bb.5600:
	s_mov_b32 s57, -1
	s_mov_b32 s46, s45
	s_mov_b32 s47, exec_lo
	v_cmpx_eq_u16_e32 15, v1
	s_cbranch_execz .LBB25_5602
; %bb.5601:
	v_bfe_u32 v1, v148, 16, 1
	v_cmp_o_f32_e32 vcc_lo, v148, v148
	s_xor_b32 s57, exec_lo, -1
	s_or_b32 s46, s45, exec_lo
	s_delay_alu instid0(VALU_DEP_2) | instskip(NEXT) | instid1(VALU_DEP_1)
	v_add3_u32 v1, v148, v1, 0x7fff
	v_lshrrev_b32_e32 v1, 16, v1
	s_delay_alu instid0(VALU_DEP_1)
	v_cndmask_b32_e32 v1, 0x7fc0, v1, vcc_lo
	flat_store_b16 v[2:3], v1
.LBB25_5602:
	s_wait_xcnt 0x0
	s_or_b32 exec_lo, exec_lo, s47
	s_delay_alu instid0(SALU_CYCLE_1)
	s_and_not1_b32 s47, s42, exec_lo
	s_and_b32 s57, s57, exec_lo
	s_and_not1_b32 s58, s45, exec_lo
	s_and_b32 s46, s46, exec_lo
	s_or_b32 s47, s47, s57
	s_or_b32 s46, s58, s46
                                        ; implicit-def: $vgpr1
                                        ; implicit-def: $vgpr148
                                        ; implicit-def: $vgpr2_vgpr3
.LBB25_5603:
	s_and_not1_saveexec_b32 s56, s56
	s_cbranch_execz .LBB25_5607
; %bb.5604:
	s_mov_b32 s58, -1
	s_mov_b32 s57, s46
	s_mov_b32 s59, exec_lo
	v_cmpx_eq_u16_e32 11, v1
	s_cbranch_execz .LBB25_5606
; %bb.5605:
	v_cmp_neq_f32_e32 vcc_lo, 0, v148
	s_xor_b32 s58, exec_lo, -1
	s_or_b32 s57, s46, exec_lo
	v_cndmask_b32_e64 v1, 0, 1, vcc_lo
	flat_store_b8 v[2:3], v1
.LBB25_5606:
	s_wait_xcnt 0x0
	s_or_b32 exec_lo, exec_lo, s59
	s_delay_alu instid0(SALU_CYCLE_1)
	s_and_not1_b32 s47, s47, exec_lo
	s_and_b32 s58, s58, exec_lo
	s_and_not1_b32 s46, s46, exec_lo
	s_and_b32 s57, s57, exec_lo
	s_or_b32 s47, s47, s58
	s_or_b32 s46, s46, s57
.LBB25_5607:
	s_or_b32 exec_lo, exec_lo, s56
	s_delay_alu instid0(SALU_CYCLE_1)
	s_and_not1_b32 s56, s42, exec_lo
	s_and_b32 s47, s47, exec_lo
	s_and_not1_b32 s45, s45, exec_lo
	s_and_b32 s57, s46, exec_lo
	s_or_b32 s46, s56, s47
	s_or_b32 s45, s45, s57
.LBB25_5608:
	s_or_b32 exec_lo, exec_lo, s44
	s_delay_alu instid0(SALU_CYCLE_1)
	s_and_not1_b32 s42, s42, exec_lo
	s_and_b32 s44, s46, exec_lo
	s_and_not1_b32 s0, s0, exec_lo
	s_and_b32 s45, s45, exec_lo
	s_or_b32 s42, s42, s44
	s_or_b32 s0, s0, s45
.LBB25_5609:
	s_or_b32 exec_lo, exec_lo, s43
	s_delay_alu instid0(SALU_CYCLE_1)
	s_and_not1_b32 s43, s27, exec_lo
	s_and_b32 s42, s42, exec_lo
	s_and_b32 s0, s0, exec_lo
	s_or_b32 s42, s43, s42
                                        ; implicit-def: $vgpr1
                                        ; implicit-def: $vgpr148
                                        ; implicit-def: $vgpr2_vgpr3
.LBB25_5610:
	s_and_not1_saveexec_b32 s29, s29
	s_cbranch_execz .LBB25_5652
; %bb.5611:
	s_mov_b32 s43, exec_lo
	v_cmpx_lt_i16_e32 4, v1
	s_xor_b32 s43, exec_lo, s43
	s_cbranch_execz .LBB25_5633
; %bb.5612:
	s_mov_b32 s44, exec_lo
	v_cmpx_lt_i16_e32 7, v1
	s_xor_b32 s44, exec_lo, s44
	;; [unrolled: 5-line block ×4, first 2 shown]
	s_cbranch_execz .LBB25_5616
; %bb.5615:
	v_cvt_f64_f32_e32 v[4:5], v148
	v_mov_b32_e32 v6, 0
                                        ; implicit-def: $vgpr148
	s_delay_alu instid0(VALU_DEP_1)
	v_mov_b32_e32 v7, v6
	flat_store_b128 v[2:3], v[4:7]
                                        ; implicit-def: $vgpr2_vgpr3
.LBB25_5616:
	s_wait_xcnt 0x0
	s_and_not1_saveexec_b32 s46, s46
	s_cbranch_execz .LBB25_5618
; %bb.5617:
	v_mov_b32_e32 v149, 0
	flat_store_b64 v[2:3], v[148:149]
.LBB25_5618:
	s_wait_xcnt 0x0
	s_or_b32 exec_lo, exec_lo, s46
                                        ; implicit-def: $vgpr148
                                        ; implicit-def: $vgpr2_vgpr3
.LBB25_5619:
	s_and_not1_saveexec_b32 s45, s45
	s_cbranch_execz .LBB25_5621
; %bb.5620:
	v_cvt_f16_f32_e64 v1, v148
	s_delay_alu instid0(VALU_DEP_1)
	v_and_b32_e32 v1, 0xffff, v1
	flat_store_b32 v[2:3], v1
.LBB25_5621:
	s_wait_xcnt 0x0
	s_or_b32 exec_lo, exec_lo, s45
                                        ; implicit-def: $vgpr148
                                        ; implicit-def: $vgpr2_vgpr3
                                        ; implicit-def: $vgpr1
.LBB25_5622:
	s_and_not1_saveexec_b32 s44, s44
	s_cbranch_execz .LBB25_5632
; %bb.5623:
	s_mov_b32 s45, exec_lo
	v_cmpx_lt_i16_e32 5, v1
	s_xor_b32 s45, exec_lo, s45
	s_cbranch_execz .LBB25_5629
; %bb.5624:
	s_mov_b32 s46, exec_lo
	v_cmpx_lt_i16_e32 6, v1
	s_xor_b32 s46, exec_lo, s46
	s_cbranch_execz .LBB25_5626
; %bb.5625:
	v_cvt_f64_f32_e32 v[4:5], v148
                                        ; implicit-def: $vgpr148
	flat_store_b64 v[2:3], v[4:5]
                                        ; implicit-def: $vgpr2_vgpr3
.LBB25_5626:
	s_wait_xcnt 0x0
	s_and_not1_saveexec_b32 s46, s46
	s_cbranch_execz .LBB25_5628
; %bb.5627:
	flat_store_b32 v[2:3], v148
.LBB25_5628:
	s_wait_xcnt 0x0
	s_or_b32 exec_lo, exec_lo, s46
                                        ; implicit-def: $vgpr148
                                        ; implicit-def: $vgpr2_vgpr3
.LBB25_5629:
	s_and_not1_saveexec_b32 s45, s45
	s_cbranch_execz .LBB25_5631
; %bb.5630:
	v_cvt_f16_f32_e64 v1, v148
	flat_store_b16 v[2:3], v1
.LBB25_5631:
	s_wait_xcnt 0x0
	s_or_b32 exec_lo, exec_lo, s45
.LBB25_5632:
	s_delay_alu instid0(SALU_CYCLE_1)
	s_or_b32 exec_lo, exec_lo, s44
                                        ; implicit-def: $vgpr1
                                        ; implicit-def: $vgpr148
                                        ; implicit-def: $vgpr2_vgpr3
.LBB25_5633:
	s_and_not1_saveexec_b32 s43, s43
	s_cbranch_execz .LBB25_5651
; %bb.5634:
	s_mov_b32 s44, exec_lo
	v_cmpx_lt_i16_e32 1, v1
	s_xor_b32 s44, exec_lo, s44
	s_cbranch_execz .LBB25_5644
; %bb.5635:
	s_mov_b32 s45, exec_lo
	v_cmpx_lt_i16_e32 2, v1
	s_xor_b32 s45, exec_lo, s45
	;; [unrolled: 5-line block ×3, first 2 shown]
	s_cbranch_execz .LBB25_5638
; %bb.5637:
	v_trunc_f32_e32 v1, v148
                                        ; implicit-def: $vgpr148
	s_delay_alu instid0(VALU_DEP_1) | instskip(NEXT) | instid1(VALU_DEP_1)
	v_mul_f32_e64 v4, 0x2f800000, |v1|
	v_floor_f32_e32 v5, v4
	v_ashrrev_i32_e32 v4, 31, v1
	s_delay_alu instid0(VALU_DEP_2) | instskip(SKIP_1) | instid1(VALU_DEP_3)
	v_fma_f32 v6, 0xcf800000, v5, |v1|
	v_cvt_u32_f32_e32 v1, v5
	v_mov_b32_e32 v5, v4
	s_delay_alu instid0(VALU_DEP_3) | instskip(NEXT) | instid1(VALU_DEP_3)
	v_cvt_u32_f32_e32 v6, v6
	v_xor_b32_e32 v7, v1, v4
	s_delay_alu instid0(VALU_DEP_2) | instskip(NEXT) | instid1(VALU_DEP_1)
	v_xor_b32_e32 v6, v6, v4
	v_sub_nc_u64_e32 v[4:5], v[6:7], v[4:5]
	flat_store_b64 v[2:3], v[4:5]
                                        ; implicit-def: $vgpr2_vgpr3
.LBB25_5638:
	s_wait_xcnt 0x0
	s_and_not1_saveexec_b32 s46, s46
	s_cbranch_execz .LBB25_5640
; %bb.5639:
	v_cvt_i32_f32_e32 v1, v148
	flat_store_b32 v[2:3], v1
.LBB25_5640:
	s_wait_xcnt 0x0
	s_or_b32 exec_lo, exec_lo, s46
                                        ; implicit-def: $vgpr148
                                        ; implicit-def: $vgpr2_vgpr3
.LBB25_5641:
	s_and_not1_saveexec_b32 s45, s45
	s_cbranch_execz .LBB25_5643
; %bb.5642:
	v_cvt_i32_f32_e32 v1, v148
	flat_store_b16 v[2:3], v1
.LBB25_5643:
	s_wait_xcnt 0x0
	s_or_b32 exec_lo, exec_lo, s45
                                        ; implicit-def: $vgpr148
                                        ; implicit-def: $vgpr2_vgpr3
                                        ; implicit-def: $vgpr1
.LBB25_5644:
	s_and_not1_saveexec_b32 s44, s44
	s_cbranch_execz .LBB25_5650
; %bb.5645:
	s_mov_b32 s45, exec_lo
	v_cmpx_lt_i16_e32 0, v1
	s_xor_b32 s45, exec_lo, s45
	s_cbranch_execz .LBB25_5647
; %bb.5646:
	v_cvt_i32_f32_e32 v1, v148
                                        ; implicit-def: $vgpr148
	flat_store_b8 v[2:3], v1
                                        ; implicit-def: $vgpr2_vgpr3
.LBB25_5647:
	s_wait_xcnt 0x0
	s_and_not1_saveexec_b32 s45, s45
	s_cbranch_execz .LBB25_5649
; %bb.5648:
	v_trunc_f32_e32 v1, v148
	s_delay_alu instid0(VALU_DEP_1) | instskip(NEXT) | instid1(VALU_DEP_1)
	v_mul_f32_e64 v4, 0x2f800000, |v1|
	v_floor_f32_e32 v4, v4
	s_delay_alu instid0(VALU_DEP_1) | instskip(SKIP_1) | instid1(VALU_DEP_2)
	v_fma_f32 v4, 0xcf800000, v4, |v1|
	v_ashrrev_i32_e32 v1, 31, v1
	v_cvt_u32_f32_e32 v4, v4
	s_delay_alu instid0(VALU_DEP_1) | instskip(NEXT) | instid1(VALU_DEP_1)
	v_xor_b32_e32 v4, v4, v1
	v_sub_nc_u32_e32 v1, v4, v1
	flat_store_b8 v[2:3], v1
.LBB25_5649:
	s_wait_xcnt 0x0
	s_or_b32 exec_lo, exec_lo, s45
.LBB25_5650:
	s_delay_alu instid0(SALU_CYCLE_1)
	s_or_b32 exec_lo, exec_lo, s44
.LBB25_5651:
	s_delay_alu instid0(SALU_CYCLE_1) | instskip(NEXT) | instid1(SALU_CYCLE_1)
	s_or_b32 exec_lo, exec_lo, s43
	s_or_b32 s0, s0, exec_lo
.LBB25_5652:
	s_or_b32 exec_lo, exec_lo, s29
	s_mov_b32 s43, 0
	s_mov_b32 s29, 0
	s_and_saveexec_b32 s44, s0
; %bb.5653:
	v_add_nc_u32_e32 v209, 0x200, v209
	s_mov_b32 s43, exec_lo
	s_delay_alu instid0(VALU_DEP_1)
	v_cmp_lt_i32_e32 vcc_lo, v209, v211
	s_and_b32 s29, vcc_lo, exec_lo
; %bb.5654:
	s_or_b32 exec_lo, exec_lo, s44
	s_delay_alu instid0(SALU_CYCLE_1)
	s_and_not1_b32 s0, s27, exec_lo
	s_and_b32 s42, s42, exec_lo
	s_and_b32 s44, s29, exec_lo
	s_or_b32 s29, s0, s42
	s_or_not1_b32 s43, s43, exec_lo
.LBB25_5655:
	s_or_b32 exec_lo, exec_lo, s40
	s_mov_b32 s0, 0
	s_mov_b32 s42, 0
                                        ; implicit-def: $vgpr4
                                        ; implicit-def: $vgpr2_vgpr3
	s_and_saveexec_b32 s40, s43
	s_cbranch_execz .LBB25_7817
; %bb.5656:
	s_mov_b32 s45, -1
	s_mov_b32 s43, 0
	s_mov_b32 s41, s29
	s_and_saveexec_b32 s42, s44
	s_cbranch_execz .LBB25_5784
; %bb.5657:
	v_dual_add_nc_u32 v1, s60, v209 :: v_dual_mov_b32 v3, 0
	s_mov_b32 s44, s29
	s_mov_b32 s41, exec_lo
	s_delay_alu instid0(VALU_DEP_1) | instskip(SKIP_1) | instid1(VALU_DEP_2)
	v_mul_lo_u32 v2, v1, v210
	v_and_b32_e32 v1, 0xff, v85
	v_add_nc_u64_e32 v[2:3], v[212:213], v[2:3]
	s_delay_alu instid0(VALU_DEP_2)
	v_cmpx_lt_i16_e32 10, v1
	s_xor_b32 s41, exec_lo, s41
	s_cbranch_execz .LBB25_5739
; %bb.5658:
	s_mov_b32 s44, s29
	s_mov_b32 s45, exec_lo
	v_cmpx_lt_i16_e32 25, v1
	s_xor_b32 s45, exec_lo, s45
	s_cbranch_execz .LBB25_5694
; %bb.5659:
	s_mov_b32 s46, s29
	s_mov_b32 s44, exec_lo
	;; [unrolled: 6-line block ×3, first 2 shown]
	v_cmpx_lt_i16_e32 43, v1
	s_xor_b32 s46, exec_lo, s46
	s_cbranch_execz .LBB25_5672
; %bb.5661:
	s_mov_b32 s47, 0
	s_mov_b32 s56, s29
	s_mov_b32 s0, exec_lo
	v_cmpx_lt_i16_e32 45, v1
	s_xor_b32 s0, exec_lo, s0
	s_cbranch_execz .LBB25_5665
; %bb.5662:
	s_mov_b32 s57, -1
	s_mov_b32 s56, exec_lo
	v_cmpx_eq_u16_e32 46, v1
	s_cbranch_execz .LBB25_5664
; %bb.5663:
	v_bfe_u32 v1, v146, 16, 1
	v_cmp_o_f32_e32 vcc_lo, v146, v146
	s_mov_b32 s47, exec_lo
	s_xor_b32 s57, exec_lo, -1
	s_delay_alu instid0(VALU_DEP_2) | instskip(NEXT) | instid1(VALU_DEP_1)
	v_add3_u32 v1, v146, v1, 0x7fff
	v_lshrrev_b32_e32 v1, 16, v1
	s_delay_alu instid0(VALU_DEP_1)
	v_cndmask_b32_e32 v1, 0x7fc0, v1, vcc_lo
	flat_store_b32 v[2:3], v1
.LBB25_5664:
	s_wait_xcnt 0x0
	s_or_b32 exec_lo, exec_lo, s56
	s_delay_alu instid0(SALU_CYCLE_1)
	s_and_not1_b32 s56, s29, exec_lo
	s_and_b32 s57, s57, exec_lo
	s_and_b32 s47, s47, exec_lo
	s_or_b32 s56, s56, s57
                                        ; implicit-def: $vgpr1
                                        ; implicit-def: $vgpr2_vgpr3
                                        ; implicit-def: $vgpr146
.LBB25_5665:
	s_and_not1_saveexec_b32 s57, s0
	s_cbranch_execz .LBB25_5671
; %bb.5666:
	s_mov_b32 s59, -1
	s_mov_b32 s0, s47
	s_mov_b32 s58, exec_lo
	v_cmpx_eq_u16_e32 44, v1
	s_cbranch_execz .LBB25_5670
; %bb.5667:
	v_bfe_u32 v4, v146, 23, 8
	v_mov_b32_e32 v1, 0xff
	s_mov_b32 s59, exec_lo
	s_delay_alu instid0(VALU_DEP_2)
	v_cmpx_ne_u32_e32 0xff, v4
	s_cbranch_execz .LBB25_5669
; %bb.5668:
	v_and_b32_e32 v1, 0x400000, v146
	v_and_or_b32 v4, 0x3fffff, v146, v4
	s_delay_alu instid0(VALU_DEP_2) | instskip(NEXT) | instid1(VALU_DEP_2)
	v_cmp_ne_u32_e32 vcc_lo, 0, v1
	v_cmp_ne_u32_e64 s0, 0, v4
	v_lshrrev_b32_e32 v1, 23, v146
	s_and_b32 s0, vcc_lo, s0
	s_delay_alu instid0(SALU_CYCLE_1) | instskip(NEXT) | instid1(VALU_DEP_1)
	v_cndmask_b32_e64 v4, 0, 1, s0
	v_add_nc_u32_e32 v1, v1, v4
.LBB25_5669:
	s_or_b32 exec_lo, exec_lo, s59
	s_delay_alu instid0(SALU_CYCLE_1)
	s_xor_b32 s59, exec_lo, -1
	s_or_b32 s0, s47, exec_lo
	flat_store_b8 v[2:3], v1
.LBB25_5670:
	s_wait_xcnt 0x0
	s_or_b32 exec_lo, exec_lo, s58
	s_delay_alu instid0(SALU_CYCLE_1)
	s_and_not1_b32 s56, s56, exec_lo
	s_and_b32 s58, s59, exec_lo
	s_and_not1_b32 s47, s47, exec_lo
	s_and_b32 s0, s0, exec_lo
	s_or_b32 s56, s56, s58
	s_or_b32 s47, s47, s0
.LBB25_5671:
	s_or_b32 exec_lo, exec_lo, s57
	s_delay_alu instid0(SALU_CYCLE_1) | instskip(SKIP_1) | instid1(SALU_CYCLE_1)
	s_and_not1_b32 s0, s29, exec_lo
	s_and_b32 s56, s56, exec_lo
                                        ; implicit-def: $vgpr1
                                        ; implicit-def: $vgpr146
                                        ; implicit-def: $vgpr2_vgpr3
	s_or_b32 s56, s0, s56
	s_and_b32 s0, s47, exec_lo
.LBB25_5672:
	s_and_not1_saveexec_b32 s46, s46
	s_cbranch_execz .LBB25_5676
; %bb.5673:
	s_mov_b32 s58, -1
	s_mov_b32 s57, s0
	s_mov_b32 s47, exec_lo
	v_cmpx_eq_u16_e32 29, v1
	s_cbranch_execz .LBB25_5675
; %bb.5674:
	v_trunc_f32_e32 v1, v146
	s_xor_b32 s58, exec_lo, -1
	s_or_b32 s57, s0, exec_lo
	s_delay_alu instid0(VALU_DEP_1) | instskip(NEXT) | instid1(VALU_DEP_1)
	v_mul_f32_e32 v4, 0x2f800000, v1
	v_floor_f32_e32 v4, v4
	s_delay_alu instid0(VALU_DEP_1) | instskip(SKIP_1) | instid1(VALU_DEP_2)
	v_fmamk_f32 v1, v4, 0xcf800000, v1
	v_cvt_u32_f32_e32 v5, v4
	v_cvt_u32_f32_e32 v4, v1
	flat_store_b64 v[2:3], v[4:5]
.LBB25_5675:
	s_wait_xcnt 0x0
	s_or_b32 exec_lo, exec_lo, s47
	s_delay_alu instid0(SALU_CYCLE_1)
	s_and_not1_b32 s47, s56, exec_lo
	s_and_b32 s56, s58, exec_lo
	s_and_not1_b32 s0, s0, exec_lo
	s_and_b32 s57, s57, exec_lo
	s_or_b32 s56, s47, s56
	s_or_b32 s0, s0, s57
.LBB25_5676:
	s_or_b32 exec_lo, exec_lo, s46
	s_delay_alu instid0(SALU_CYCLE_1)
	s_and_not1_b32 s46, s29, exec_lo
	s_and_b32 s47, s56, exec_lo
	s_and_b32 s0, s0, exec_lo
	s_or_b32 s46, s46, s47
                                        ; implicit-def: $vgpr2_vgpr3
                                        ; implicit-def: $vgpr1
                                        ; implicit-def: $vgpr146
.LBB25_5677:
	s_and_not1_saveexec_b32 s44, s44
	s_cbranch_execz .LBB25_5693
; %bb.5678:
	s_mov_b32 s47, exec_lo
	v_cmpx_lt_i16_e32 26, v1
	s_xor_b32 s47, exec_lo, s47
	s_cbranch_execz .LBB25_5684
; %bb.5679:
	v_cmp_lt_i16_e32 vcc_lo, 27, v1
	v_cvt_u32_f32_e32 v1, v146
	s_and_saveexec_b32 s56, vcc_lo
	s_delay_alu instid0(SALU_CYCLE_1)
	s_xor_b32 s56, exec_lo, s56
	s_cbranch_execz .LBB25_5681
; %bb.5680:
	flat_store_b32 v[2:3], v1
                                        ; implicit-def: $vgpr2_vgpr3
                                        ; implicit-def: $vgpr1
.LBB25_5681:
	s_wait_xcnt 0x0
	s_and_not1_saveexec_b32 s56, s56
	s_cbranch_execz .LBB25_5683
; %bb.5682:
	flat_store_b16 v[2:3], v1
.LBB25_5683:
	s_wait_xcnt 0x0
	s_or_b32 exec_lo, exec_lo, s56
                                        ; implicit-def: $vgpr2_vgpr3
                                        ; implicit-def: $vgpr146
.LBB25_5684:
	s_and_not1_saveexec_b32 s47, s47
	s_cbranch_execz .LBB25_5692
; %bb.5685:
	v_and_b32_e32 v1, 0x7fffffff, v146
	v_mov_b32_e32 v4, 0x80
	s_mov_b32 s56, exec_lo
	s_delay_alu instid0(VALU_DEP_2)
	v_cmpx_gt_u32_e32 0x43800000, v1
	s_cbranch_execz .LBB25_5691
; %bb.5686:
	v_cmp_lt_u32_e32 vcc_lo, 0x3bffffff, v1
	s_mov_b32 s57, 0
                                        ; implicit-def: $vgpr1
	s_and_saveexec_b32 s58, vcc_lo
	s_delay_alu instid0(SALU_CYCLE_1)
	s_xor_b32 s58, exec_lo, s58
	s_cbranch_execnz .LBB25_7939
; %bb.5687:
	s_and_not1_saveexec_b32 s58, s58
	s_cbranch_execnz .LBB25_7940
.LBB25_5688:
	s_or_b32 exec_lo, exec_lo, s58
	v_mov_b32_e32 v4, 0
	s_and_saveexec_b32 s58, s57
.LBB25_5689:
	v_lshrrev_b32_e32 v4, 24, v146
	s_delay_alu instid0(VALU_DEP_1)
	v_and_or_b32 v4, 0x80, v4, v1
.LBB25_5690:
	s_or_b32 exec_lo, exec_lo, s58
.LBB25_5691:
	s_delay_alu instid0(SALU_CYCLE_1)
	s_or_b32 exec_lo, exec_lo, s56
	flat_store_b8 v[2:3], v4
.LBB25_5692:
	s_wait_xcnt 0x0
	s_or_b32 exec_lo, exec_lo, s47
	s_delay_alu instid0(SALU_CYCLE_1)
	s_or_b32 s0, s0, exec_lo
.LBB25_5693:
	s_or_b32 exec_lo, exec_lo, s44
	s_delay_alu instid0(SALU_CYCLE_1)
	s_and_not1_b32 s44, s29, exec_lo
	s_and_b32 s46, s46, exec_lo
	s_and_b32 s0, s0, exec_lo
	s_or_b32 s44, s44, s46
                                        ; implicit-def: $vgpr1
                                        ; implicit-def: $vgpr146
                                        ; implicit-def: $vgpr2_vgpr3
.LBB25_5694:
	s_and_not1_saveexec_b32 s45, s45
	s_cbranch_execz .LBB25_5738
; %bb.5695:
	s_mov_b32 s47, s0
	s_mov_b32 s46, exec_lo
	v_cmpx_lt_i16_e32 22, v1
	s_xor_b32 s46, exec_lo, s46
	s_cbranch_execz .LBB25_5727
; %bb.5696:
	s_mov_b32 s47, exec_lo
	v_cmpx_lt_i16_e32 23, v1
	s_xor_b32 s47, exec_lo, s47
	s_cbranch_execz .LBB25_5716
; %bb.5697:
	;; [unrolled: 5-line block ×3, first 2 shown]
	v_and_b32_e32 v1, 0x7fffffff, v146
	v_mov_b32_e32 v4, 0x80
	s_mov_b32 s57, exec_lo
	s_delay_alu instid0(VALU_DEP_2)
	v_cmpx_gt_u32_e32 0x47800000, v1
	s_cbranch_execz .LBB25_5704
; %bb.5699:
	v_cmp_lt_u32_e32 vcc_lo, 0x37ffffff, v1
	s_mov_b32 s58, 0
                                        ; implicit-def: $vgpr1
	s_and_saveexec_b32 s59, vcc_lo
	s_delay_alu instid0(SALU_CYCLE_1)
	s_xor_b32 s59, exec_lo, s59
	s_cbranch_execnz .LBB25_7941
; %bb.5700:
	s_and_not1_saveexec_b32 s59, s59
	s_cbranch_execnz .LBB25_7942
.LBB25_5701:
	s_or_b32 exec_lo, exec_lo, s59
	v_mov_b32_e32 v4, 0
	s_and_saveexec_b32 s59, s58
.LBB25_5702:
	v_lshrrev_b32_e32 v4, 24, v146
	s_delay_alu instid0(VALU_DEP_1)
	v_and_or_b32 v4, 0x80, v4, v1
.LBB25_5703:
	s_or_b32 exec_lo, exec_lo, s59
.LBB25_5704:
	s_delay_alu instid0(SALU_CYCLE_1)
	s_or_b32 exec_lo, exec_lo, s57
	flat_store_b8 v[2:3], v4
                                        ; implicit-def: $vgpr146
                                        ; implicit-def: $vgpr2_vgpr3
.LBB25_5705:
	s_wait_xcnt 0x0
	s_and_not1_saveexec_b32 s56, s56
	s_cbranch_execz .LBB25_5715
; %bb.5706:
	v_and_b32_e32 v4, 0x7fffffff, v146
	s_mov_b32 s57, exec_lo
                                        ; implicit-def: $vgpr1
	s_delay_alu instid0(VALU_DEP_1)
	v_cmpx_gt_u32_e32 0x43f00000, v4
	s_xor_b32 s57, exec_lo, s57
	s_cbranch_execz .LBB25_5712
; %bb.5707:
	s_mov_b32 s58, exec_lo
                                        ; implicit-def: $vgpr1
	v_cmpx_lt_u32_e32 0x3c7fffff, v4
	s_xor_b32 s58, exec_lo, s58
; %bb.5708:
	v_bfe_u32 v1, v146, 20, 1
	s_delay_alu instid0(VALU_DEP_1) | instskip(NEXT) | instid1(VALU_DEP_1)
	v_add3_u32 v1, v146, v1, 0x407ffff
	v_and_b32_e32 v4, 0xff00000, v1
	v_lshrrev_b32_e32 v1, 20, v1
	s_delay_alu instid0(VALU_DEP_2) | instskip(NEXT) | instid1(VALU_DEP_2)
	v_cmp_ne_u32_e32 vcc_lo, 0x7f00000, v4
	v_cndmask_b32_e32 v1, 0x7e, v1, vcc_lo
; %bb.5709:
	s_and_not1_saveexec_b32 s58, s58
; %bb.5710:
	v_add_f32_e64 v1, 0x46800000, |v146|
; %bb.5711:
	s_or_b32 exec_lo, exec_lo, s58
                                        ; implicit-def: $vgpr4
.LBB25_5712:
	s_and_not1_saveexec_b32 s57, s57
; %bb.5713:
	v_mov_b32_e32 v1, 0x7f
	v_cmp_lt_u32_e32 vcc_lo, 0x7f800000, v4
	s_delay_alu instid0(VALU_DEP_2)
	v_cndmask_b32_e32 v1, 0x7e, v1, vcc_lo
; %bb.5714:
	s_or_b32 exec_lo, exec_lo, s57
	v_lshrrev_b32_e32 v4, 24, v146
	s_delay_alu instid0(VALU_DEP_1)
	v_and_or_b32 v1, 0x80, v4, v1
	flat_store_b8 v[2:3], v1
.LBB25_5715:
	s_wait_xcnt 0x0
	s_or_b32 exec_lo, exec_lo, s56
                                        ; implicit-def: $vgpr146
                                        ; implicit-def: $vgpr2_vgpr3
.LBB25_5716:
	s_and_not1_saveexec_b32 s47, s47
	s_cbranch_execz .LBB25_5726
; %bb.5717:
	v_and_b32_e32 v4, 0x7fffffff, v146
	s_mov_b32 s56, exec_lo
                                        ; implicit-def: $vgpr1
	s_delay_alu instid0(VALU_DEP_1)
	v_cmpx_gt_u32_e32 0x47800000, v4
	s_xor_b32 s56, exec_lo, s56
	s_cbranch_execz .LBB25_5723
; %bb.5718:
	s_mov_b32 s57, exec_lo
                                        ; implicit-def: $vgpr1
	v_cmpx_lt_u32_e32 0x387fffff, v4
	s_xor_b32 s57, exec_lo, s57
; %bb.5719:
	v_bfe_u32 v1, v146, 21, 1
	s_delay_alu instid0(VALU_DEP_1) | instskip(NEXT) | instid1(VALU_DEP_1)
	v_add3_u32 v1, v146, v1, 0x80fffff
	v_lshrrev_b32_e32 v1, 21, v1
; %bb.5720:
	s_and_not1_saveexec_b32 s57, s57
; %bb.5721:
	v_add_f32_e64 v1, 0x43000000, |v146|
; %bb.5722:
	s_or_b32 exec_lo, exec_lo, s57
                                        ; implicit-def: $vgpr4
.LBB25_5723:
	s_and_not1_saveexec_b32 s56, s56
; %bb.5724:
	v_mov_b32_e32 v1, 0x7f
	v_cmp_lt_u32_e32 vcc_lo, 0x7f800000, v4
	s_delay_alu instid0(VALU_DEP_2)
	v_cndmask_b32_e32 v1, 0x7c, v1, vcc_lo
; %bb.5725:
	s_or_b32 exec_lo, exec_lo, s56
	v_lshrrev_b32_e32 v4, 24, v146
	s_delay_alu instid0(VALU_DEP_1)
	v_and_or_b32 v1, 0x80, v4, v1
	flat_store_b8 v[2:3], v1
.LBB25_5726:
	s_wait_xcnt 0x0
	s_or_b32 exec_lo, exec_lo, s47
	s_delay_alu instid0(SALU_CYCLE_1)
	s_or_b32 s47, s0, exec_lo
                                        ; implicit-def: $vgpr1
                                        ; implicit-def: $vgpr146
                                        ; implicit-def: $vgpr2_vgpr3
.LBB25_5727:
	s_or_saveexec_b32 s46, s46
	s_mov_b32 s56, s44
	s_xor_b32 exec_lo, exec_lo, s46
	s_cbranch_execz .LBB25_5737
; %bb.5728:
	s_mov_b32 s56, s47
	s_mov_b32 s57, s44
	s_mov_b32 s58, exec_lo
	v_cmpx_lt_i16_e32 14, v1
	s_xor_b32 s58, exec_lo, s58
	s_cbranch_execz .LBB25_5732
; %bb.5729:
	s_mov_b32 s59, -1
	s_mov_b32 s56, s47
	s_mov_b32 s57, exec_lo
	v_cmpx_eq_u16_e32 15, v1
	s_cbranch_execz .LBB25_5731
; %bb.5730:
	v_bfe_u32 v1, v146, 16, 1
	v_cmp_o_f32_e32 vcc_lo, v146, v146
	s_xor_b32 s59, exec_lo, -1
	s_or_b32 s56, s47, exec_lo
	s_delay_alu instid0(VALU_DEP_2) | instskip(NEXT) | instid1(VALU_DEP_1)
	v_add3_u32 v1, v146, v1, 0x7fff
	v_lshrrev_b32_e32 v1, 16, v1
	s_delay_alu instid0(VALU_DEP_1)
	v_cndmask_b32_e32 v1, 0x7fc0, v1, vcc_lo
	flat_store_b16 v[2:3], v1
.LBB25_5731:
	s_wait_xcnt 0x0
	s_or_b32 exec_lo, exec_lo, s57
	s_delay_alu instid0(SALU_CYCLE_1)
	s_and_not1_b32 s57, s44, exec_lo
	s_and_b32 s59, s59, exec_lo
	s_and_not1_b32 s63, s47, exec_lo
	s_and_b32 s56, s56, exec_lo
	s_or_b32 s57, s57, s59
	s_or_b32 s56, s63, s56
                                        ; implicit-def: $vgpr1
                                        ; implicit-def: $vgpr146
                                        ; implicit-def: $vgpr2_vgpr3
.LBB25_5732:
	s_and_not1_saveexec_b32 s58, s58
	s_cbranch_execz .LBB25_5736
; %bb.5733:
	s_mov_b32 s63, -1
	s_mov_b32 s59, s56
	s_mov_b32 s72, exec_lo
	v_cmpx_eq_u16_e32 11, v1
	s_cbranch_execz .LBB25_5735
; %bb.5734:
	v_cmp_neq_f32_e32 vcc_lo, 0, v146
	s_xor_b32 s63, exec_lo, -1
	s_or_b32 s59, s56, exec_lo
	v_cndmask_b32_e64 v1, 0, 1, vcc_lo
	flat_store_b8 v[2:3], v1
.LBB25_5735:
	s_wait_xcnt 0x0
	s_or_b32 exec_lo, exec_lo, s72
	s_delay_alu instid0(SALU_CYCLE_1)
	s_and_not1_b32 s57, s57, exec_lo
	s_and_b32 s63, s63, exec_lo
	s_and_not1_b32 s56, s56, exec_lo
	s_and_b32 s59, s59, exec_lo
	s_or_b32 s57, s57, s63
	s_or_b32 s56, s56, s59
.LBB25_5736:
	s_or_b32 exec_lo, exec_lo, s58
	s_delay_alu instid0(SALU_CYCLE_1)
	s_and_not1_b32 s58, s44, exec_lo
	s_and_b32 s57, s57, exec_lo
	s_and_not1_b32 s47, s47, exec_lo
	s_and_b32 s59, s56, exec_lo
	s_or_b32 s56, s58, s57
	s_or_b32 s47, s47, s59
.LBB25_5737:
	s_or_b32 exec_lo, exec_lo, s46
	s_delay_alu instid0(SALU_CYCLE_1)
	s_and_not1_b32 s44, s44, exec_lo
	s_and_b32 s46, s56, exec_lo
	s_and_not1_b32 s0, s0, exec_lo
	s_and_b32 s47, s47, exec_lo
	s_or_b32 s44, s44, s46
	s_or_b32 s0, s0, s47
.LBB25_5738:
	s_or_b32 exec_lo, exec_lo, s45
	s_delay_alu instid0(SALU_CYCLE_1)
	s_and_not1_b32 s45, s29, exec_lo
	s_and_b32 s44, s44, exec_lo
	s_and_b32 s0, s0, exec_lo
	s_or_b32 s44, s45, s44
                                        ; implicit-def: $vgpr1
                                        ; implicit-def: $vgpr146
                                        ; implicit-def: $vgpr2_vgpr3
.LBB25_5739:
	s_and_not1_saveexec_b32 s41, s41
	s_cbranch_execz .LBB25_5781
; %bb.5740:
	s_mov_b32 s45, exec_lo
	v_cmpx_lt_i16_e32 4, v1
	s_xor_b32 s45, exec_lo, s45
	s_cbranch_execz .LBB25_5762
; %bb.5741:
	s_mov_b32 s46, exec_lo
	v_cmpx_lt_i16_e32 7, v1
	s_xor_b32 s46, exec_lo, s46
	;; [unrolled: 5-line block ×4, first 2 shown]
	s_cbranch_execz .LBB25_5745
; %bb.5744:
	v_cvt_f64_f32_e32 v[4:5], v146
	v_mov_b32_e32 v6, 0
                                        ; implicit-def: $vgpr146
	s_delay_alu instid0(VALU_DEP_1)
	v_mov_b32_e32 v7, v6
	flat_store_b128 v[2:3], v[4:7]
                                        ; implicit-def: $vgpr2_vgpr3
.LBB25_5745:
	s_wait_xcnt 0x0
	s_and_not1_saveexec_b32 s56, s56
	s_cbranch_execz .LBB25_5747
; %bb.5746:
	v_mov_b32_e32 v147, 0
	flat_store_b64 v[2:3], v[146:147]
.LBB25_5747:
	s_wait_xcnt 0x0
	s_or_b32 exec_lo, exec_lo, s56
                                        ; implicit-def: $vgpr146
                                        ; implicit-def: $vgpr2_vgpr3
.LBB25_5748:
	s_and_not1_saveexec_b32 s47, s47
	s_cbranch_execz .LBB25_5750
; %bb.5749:
	v_cvt_f16_f32_e64 v1, v146
	s_delay_alu instid0(VALU_DEP_1)
	v_and_b32_e32 v1, 0xffff, v1
	flat_store_b32 v[2:3], v1
.LBB25_5750:
	s_wait_xcnt 0x0
	s_or_b32 exec_lo, exec_lo, s47
                                        ; implicit-def: $vgpr146
                                        ; implicit-def: $vgpr2_vgpr3
                                        ; implicit-def: $vgpr1
.LBB25_5751:
	s_and_not1_saveexec_b32 s46, s46
	s_cbranch_execz .LBB25_5761
; %bb.5752:
	s_mov_b32 s47, exec_lo
	v_cmpx_lt_i16_e32 5, v1
	s_xor_b32 s47, exec_lo, s47
	s_cbranch_execz .LBB25_5758
; %bb.5753:
	s_mov_b32 s56, exec_lo
	v_cmpx_lt_i16_e32 6, v1
	s_xor_b32 s56, exec_lo, s56
	s_cbranch_execz .LBB25_5755
; %bb.5754:
	v_cvt_f64_f32_e32 v[4:5], v146
                                        ; implicit-def: $vgpr146
	flat_store_b64 v[2:3], v[4:5]
                                        ; implicit-def: $vgpr2_vgpr3
.LBB25_5755:
	s_wait_xcnt 0x0
	s_and_not1_saveexec_b32 s56, s56
	s_cbranch_execz .LBB25_5757
; %bb.5756:
	flat_store_b32 v[2:3], v146
.LBB25_5757:
	s_wait_xcnt 0x0
	s_or_b32 exec_lo, exec_lo, s56
                                        ; implicit-def: $vgpr146
                                        ; implicit-def: $vgpr2_vgpr3
.LBB25_5758:
	s_and_not1_saveexec_b32 s47, s47
	s_cbranch_execz .LBB25_5760
; %bb.5759:
	v_cvt_f16_f32_e64 v1, v146
	flat_store_b16 v[2:3], v1
.LBB25_5760:
	s_wait_xcnt 0x0
	s_or_b32 exec_lo, exec_lo, s47
.LBB25_5761:
	s_delay_alu instid0(SALU_CYCLE_1)
	s_or_b32 exec_lo, exec_lo, s46
                                        ; implicit-def: $vgpr1
                                        ; implicit-def: $vgpr146
                                        ; implicit-def: $vgpr2_vgpr3
.LBB25_5762:
	s_and_not1_saveexec_b32 s45, s45
	s_cbranch_execz .LBB25_5780
; %bb.5763:
	s_mov_b32 s46, exec_lo
	v_cmpx_lt_i16_e32 1, v1
	s_xor_b32 s46, exec_lo, s46
	s_cbranch_execz .LBB25_5773
; %bb.5764:
	s_mov_b32 s47, exec_lo
	v_cmpx_lt_i16_e32 2, v1
	s_xor_b32 s47, exec_lo, s47
	;; [unrolled: 5-line block ×3, first 2 shown]
	s_cbranch_execz .LBB25_5767
; %bb.5766:
	v_trunc_f32_e32 v1, v146
                                        ; implicit-def: $vgpr146
	s_delay_alu instid0(VALU_DEP_1) | instskip(NEXT) | instid1(VALU_DEP_1)
	v_mul_f32_e64 v4, 0x2f800000, |v1|
	v_floor_f32_e32 v5, v4
	v_ashrrev_i32_e32 v4, 31, v1
	s_delay_alu instid0(VALU_DEP_2) | instskip(SKIP_1) | instid1(VALU_DEP_3)
	v_fma_f32 v6, 0xcf800000, v5, |v1|
	v_cvt_u32_f32_e32 v1, v5
	v_mov_b32_e32 v5, v4
	s_delay_alu instid0(VALU_DEP_3) | instskip(NEXT) | instid1(VALU_DEP_3)
	v_cvt_u32_f32_e32 v6, v6
	v_xor_b32_e32 v7, v1, v4
	s_delay_alu instid0(VALU_DEP_2) | instskip(NEXT) | instid1(VALU_DEP_1)
	v_xor_b32_e32 v6, v6, v4
	v_sub_nc_u64_e32 v[4:5], v[6:7], v[4:5]
	flat_store_b64 v[2:3], v[4:5]
                                        ; implicit-def: $vgpr2_vgpr3
.LBB25_5767:
	s_wait_xcnt 0x0
	s_and_not1_saveexec_b32 s56, s56
	s_cbranch_execz .LBB25_5769
; %bb.5768:
	v_cvt_i32_f32_e32 v1, v146
	flat_store_b32 v[2:3], v1
.LBB25_5769:
	s_wait_xcnt 0x0
	s_or_b32 exec_lo, exec_lo, s56
                                        ; implicit-def: $vgpr146
                                        ; implicit-def: $vgpr2_vgpr3
.LBB25_5770:
	s_and_not1_saveexec_b32 s47, s47
	s_cbranch_execz .LBB25_5772
; %bb.5771:
	v_cvt_i32_f32_e32 v1, v146
	flat_store_b16 v[2:3], v1
.LBB25_5772:
	s_wait_xcnt 0x0
	s_or_b32 exec_lo, exec_lo, s47
                                        ; implicit-def: $vgpr146
                                        ; implicit-def: $vgpr2_vgpr3
                                        ; implicit-def: $vgpr1
.LBB25_5773:
	s_and_not1_saveexec_b32 s46, s46
	s_cbranch_execz .LBB25_5779
; %bb.5774:
	s_mov_b32 s47, exec_lo
	v_cmpx_lt_i16_e32 0, v1
	s_xor_b32 s47, exec_lo, s47
	s_cbranch_execz .LBB25_5776
; %bb.5775:
	v_cvt_i32_f32_e32 v1, v146
                                        ; implicit-def: $vgpr146
	flat_store_b8 v[2:3], v1
                                        ; implicit-def: $vgpr2_vgpr3
.LBB25_5776:
	s_wait_xcnt 0x0
	s_and_not1_saveexec_b32 s47, s47
	s_cbranch_execz .LBB25_5778
; %bb.5777:
	v_trunc_f32_e32 v1, v146
	s_delay_alu instid0(VALU_DEP_1) | instskip(NEXT) | instid1(VALU_DEP_1)
	v_mul_f32_e64 v4, 0x2f800000, |v1|
	v_floor_f32_e32 v4, v4
	s_delay_alu instid0(VALU_DEP_1) | instskip(SKIP_1) | instid1(VALU_DEP_2)
	v_fma_f32 v4, 0xcf800000, v4, |v1|
	v_ashrrev_i32_e32 v1, 31, v1
	v_cvt_u32_f32_e32 v4, v4
	s_delay_alu instid0(VALU_DEP_1) | instskip(NEXT) | instid1(VALU_DEP_1)
	v_xor_b32_e32 v4, v4, v1
	v_sub_nc_u32_e32 v1, v4, v1
	flat_store_b8 v[2:3], v1
.LBB25_5778:
	s_wait_xcnt 0x0
	s_or_b32 exec_lo, exec_lo, s47
.LBB25_5779:
	s_delay_alu instid0(SALU_CYCLE_1)
	s_or_b32 exec_lo, exec_lo, s46
.LBB25_5780:
	s_delay_alu instid0(SALU_CYCLE_1) | instskip(NEXT) | instid1(SALU_CYCLE_1)
	s_or_b32 exec_lo, exec_lo, s45
	s_or_b32 s0, s0, exec_lo
.LBB25_5781:
	s_or_b32 exec_lo, exec_lo, s41
	s_mov_b32 s45, 0
	s_mov_b32 s41, 0
	s_and_saveexec_b32 s46, s0
; %bb.5782:
	v_add_nc_u32_e32 v209, 0x200, v209
	s_mov_b32 s45, exec_lo
	s_delay_alu instid0(VALU_DEP_1)
	v_cmp_lt_i32_e32 vcc_lo, v209, v211
	s_and_b32 s41, vcc_lo, exec_lo
; %bb.5783:
	s_or_b32 exec_lo, exec_lo, s46
	s_delay_alu instid0(SALU_CYCLE_1)
	s_and_not1_b32 s46, s29, exec_lo
	s_and_b32 s44, s44, exec_lo
	s_and_b32 s0, s41, exec_lo
	s_or_b32 s41, s46, s44
	s_or_not1_b32 s45, s45, exec_lo
.LBB25_5784:
	s_or_b32 exec_lo, exec_lo, s42
	s_mov_b32 s44, 0
	s_mov_b32 s46, 0
                                        ; implicit-def: $vgpr4
                                        ; implicit-def: $vgpr2_vgpr3
	s_and_saveexec_b32 s42, s45
	s_cbranch_execz .LBB25_7816
; %bb.5785:
	s_mov_b32 s47, -1
	s_mov_b32 s45, 0
	s_mov_b32 s43, s41
	;; [unrolled: 1-line block ×3, first 2 shown]
	s_and_saveexec_b32 s44, s0
	s_cbranch_execz .LBB25_5913
; %bb.5786:
	v_dual_add_nc_u32 v1, s60, v209 :: v_dual_mov_b32 v3, 0
	s_mov_b32 s0, 0
	s_mov_b32 s46, s41
	s_mov_b32 s43, exec_lo
	s_delay_alu instid0(VALU_DEP_1) | instskip(SKIP_1) | instid1(VALU_DEP_2)
	v_mul_lo_u32 v2, v1, v210
	v_and_b32_e32 v1, 0xff, v85
	v_add_nc_u64_e32 v[2:3], v[212:213], v[2:3]
	s_delay_alu instid0(VALU_DEP_2)
	v_cmpx_lt_i16_e32 10, v1
	s_xor_b32 s43, exec_lo, s43
	s_cbranch_execz .LBB25_5868
; %bb.5787:
	s_mov_b32 s46, s41
	s_mov_b32 s47, exec_lo
	v_cmpx_lt_i16_e32 25, v1
	s_xor_b32 s47, exec_lo, s47
	s_cbranch_execz .LBB25_5823
; %bb.5788:
	s_mov_b32 s56, s41
	s_mov_b32 s46, exec_lo
	;; [unrolled: 6-line block ×3, first 2 shown]
	v_cmpx_lt_i16_e32 43, v1
	s_xor_b32 s56, exec_lo, s56
	s_cbranch_execz .LBB25_5801
; %bb.5790:
	s_mov_b32 s57, 0
	s_mov_b32 s58, s41
	s_mov_b32 s0, exec_lo
	v_cmpx_lt_i16_e32 45, v1
	s_xor_b32 s0, exec_lo, s0
	s_cbranch_execz .LBB25_5794
; %bb.5791:
	s_mov_b32 s59, -1
	s_mov_b32 s58, exec_lo
	v_cmpx_eq_u16_e32 46, v1
	s_cbranch_execz .LBB25_5793
; %bb.5792:
	v_bfe_u32 v1, v144, 16, 1
	v_cmp_o_f32_e32 vcc_lo, v144, v144
	s_mov_b32 s57, exec_lo
	s_xor_b32 s59, exec_lo, -1
	s_delay_alu instid0(VALU_DEP_2) | instskip(NEXT) | instid1(VALU_DEP_1)
	v_add3_u32 v1, v144, v1, 0x7fff
	v_lshrrev_b32_e32 v1, 16, v1
	s_delay_alu instid0(VALU_DEP_1)
	v_cndmask_b32_e32 v1, 0x7fc0, v1, vcc_lo
	flat_store_b32 v[2:3], v1
.LBB25_5793:
	s_wait_xcnt 0x0
	s_or_b32 exec_lo, exec_lo, s58
	s_delay_alu instid0(SALU_CYCLE_1)
	s_and_not1_b32 s58, s41, exec_lo
	s_and_b32 s59, s59, exec_lo
	s_and_b32 s57, s57, exec_lo
	s_or_b32 s58, s58, s59
                                        ; implicit-def: $vgpr1
                                        ; implicit-def: $vgpr2_vgpr3
                                        ; implicit-def: $vgpr144
.LBB25_5794:
	s_and_not1_saveexec_b32 s59, s0
	s_cbranch_execz .LBB25_5800
; %bb.5795:
	s_mov_b32 s72, -1
	s_mov_b32 s0, s57
	s_mov_b32 s63, exec_lo
	v_cmpx_eq_u16_e32 44, v1
	s_cbranch_execz .LBB25_5799
; %bb.5796:
	v_bfe_u32 v4, v144, 23, 8
	v_mov_b32_e32 v1, 0xff
	s_mov_b32 s72, exec_lo
	s_delay_alu instid0(VALU_DEP_2)
	v_cmpx_ne_u32_e32 0xff, v4
	s_cbranch_execz .LBB25_5798
; %bb.5797:
	v_and_b32_e32 v1, 0x400000, v144
	v_and_or_b32 v4, 0x3fffff, v144, v4
	s_delay_alu instid0(VALU_DEP_2) | instskip(NEXT) | instid1(VALU_DEP_2)
	v_cmp_ne_u32_e32 vcc_lo, 0, v1
	v_cmp_ne_u32_e64 s0, 0, v4
	v_lshrrev_b32_e32 v1, 23, v144
	s_and_b32 s0, vcc_lo, s0
	s_delay_alu instid0(SALU_CYCLE_1) | instskip(NEXT) | instid1(VALU_DEP_1)
	v_cndmask_b32_e64 v4, 0, 1, s0
	v_add_nc_u32_e32 v1, v1, v4
.LBB25_5798:
	s_or_b32 exec_lo, exec_lo, s72
	s_delay_alu instid0(SALU_CYCLE_1)
	s_xor_b32 s72, exec_lo, -1
	s_or_b32 s0, s57, exec_lo
	flat_store_b8 v[2:3], v1
.LBB25_5799:
	s_wait_xcnt 0x0
	s_or_b32 exec_lo, exec_lo, s63
	s_delay_alu instid0(SALU_CYCLE_1)
	s_and_not1_b32 s58, s58, exec_lo
	s_and_b32 s63, s72, exec_lo
	s_and_not1_b32 s57, s57, exec_lo
	s_and_b32 s0, s0, exec_lo
	s_or_b32 s58, s58, s63
	s_or_b32 s57, s57, s0
.LBB25_5800:
	s_or_b32 exec_lo, exec_lo, s59
	s_delay_alu instid0(SALU_CYCLE_1) | instskip(SKIP_1) | instid1(SALU_CYCLE_1)
	s_and_not1_b32 s0, s41, exec_lo
	s_and_b32 s58, s58, exec_lo
                                        ; implicit-def: $vgpr1
                                        ; implicit-def: $vgpr144
                                        ; implicit-def: $vgpr2_vgpr3
	s_or_b32 s58, s0, s58
	s_and_b32 s0, s57, exec_lo
.LBB25_5801:
	s_and_not1_saveexec_b32 s56, s56
	s_cbranch_execz .LBB25_5805
; %bb.5802:
	s_mov_b32 s63, -1
	s_mov_b32 s59, s0
	s_mov_b32 s57, exec_lo
	v_cmpx_eq_u16_e32 29, v1
	s_cbranch_execz .LBB25_5804
; %bb.5803:
	v_trunc_f32_e32 v1, v144
	s_xor_b32 s63, exec_lo, -1
	s_or_b32 s59, s0, exec_lo
	s_delay_alu instid0(VALU_DEP_1) | instskip(NEXT) | instid1(VALU_DEP_1)
	v_mul_f32_e32 v4, 0x2f800000, v1
	v_floor_f32_e32 v4, v4
	s_delay_alu instid0(VALU_DEP_1) | instskip(SKIP_1) | instid1(VALU_DEP_2)
	v_fmamk_f32 v1, v4, 0xcf800000, v1
	v_cvt_u32_f32_e32 v5, v4
	v_cvt_u32_f32_e32 v4, v1
	flat_store_b64 v[2:3], v[4:5]
.LBB25_5804:
	s_wait_xcnt 0x0
	s_or_b32 exec_lo, exec_lo, s57
	s_delay_alu instid0(SALU_CYCLE_1)
	s_and_not1_b32 s57, s58, exec_lo
	s_and_b32 s58, s63, exec_lo
	s_and_not1_b32 s0, s0, exec_lo
	s_and_b32 s59, s59, exec_lo
	s_or_b32 s58, s57, s58
	s_or_b32 s0, s0, s59
.LBB25_5805:
	s_or_b32 exec_lo, exec_lo, s56
	s_delay_alu instid0(SALU_CYCLE_1)
	s_and_not1_b32 s56, s41, exec_lo
	s_and_b32 s57, s58, exec_lo
	s_and_b32 s0, s0, exec_lo
	s_or_b32 s56, s56, s57
                                        ; implicit-def: $vgpr2_vgpr3
                                        ; implicit-def: $vgpr1
                                        ; implicit-def: $vgpr144
.LBB25_5806:
	s_and_not1_saveexec_b32 s46, s46
	s_cbranch_execz .LBB25_5822
; %bb.5807:
	s_mov_b32 s57, exec_lo
	v_cmpx_lt_i16_e32 26, v1
	s_xor_b32 s57, exec_lo, s57
	s_cbranch_execz .LBB25_5813
; %bb.5808:
	v_cmp_lt_i16_e32 vcc_lo, 27, v1
	v_cvt_u32_f32_e32 v1, v144
	s_and_saveexec_b32 s58, vcc_lo
	s_delay_alu instid0(SALU_CYCLE_1)
	s_xor_b32 s58, exec_lo, s58
	s_cbranch_execz .LBB25_5810
; %bb.5809:
	flat_store_b32 v[2:3], v1
                                        ; implicit-def: $vgpr2_vgpr3
                                        ; implicit-def: $vgpr1
.LBB25_5810:
	s_wait_xcnt 0x0
	s_and_not1_saveexec_b32 s58, s58
	s_cbranch_execz .LBB25_5812
; %bb.5811:
	flat_store_b16 v[2:3], v1
.LBB25_5812:
	s_wait_xcnt 0x0
	s_or_b32 exec_lo, exec_lo, s58
                                        ; implicit-def: $vgpr2_vgpr3
                                        ; implicit-def: $vgpr144
.LBB25_5813:
	s_and_not1_saveexec_b32 s57, s57
	s_cbranch_execz .LBB25_5821
; %bb.5814:
	v_and_b32_e32 v1, 0x7fffffff, v144
	v_mov_b32_e32 v4, 0x80
	s_mov_b32 s58, exec_lo
	s_delay_alu instid0(VALU_DEP_2)
	v_cmpx_gt_u32_e32 0x43800000, v1
	s_cbranch_execz .LBB25_5820
; %bb.5815:
	v_cmp_lt_u32_e32 vcc_lo, 0x3bffffff, v1
	s_mov_b32 s59, 0
                                        ; implicit-def: $vgpr1
	s_and_saveexec_b32 s63, vcc_lo
	s_delay_alu instid0(SALU_CYCLE_1)
	s_xor_b32 s63, exec_lo, s63
	s_cbranch_execnz .LBB25_7943
; %bb.5816:
	s_and_not1_saveexec_b32 s63, s63
	s_cbranch_execnz .LBB25_7944
.LBB25_5817:
	s_or_b32 exec_lo, exec_lo, s63
	v_mov_b32_e32 v4, 0
	s_and_saveexec_b32 s63, s59
.LBB25_5818:
	v_lshrrev_b32_e32 v4, 24, v144
	s_delay_alu instid0(VALU_DEP_1)
	v_and_or_b32 v4, 0x80, v4, v1
.LBB25_5819:
	s_or_b32 exec_lo, exec_lo, s63
.LBB25_5820:
	s_delay_alu instid0(SALU_CYCLE_1)
	s_or_b32 exec_lo, exec_lo, s58
	flat_store_b8 v[2:3], v4
.LBB25_5821:
	s_wait_xcnt 0x0
	s_or_b32 exec_lo, exec_lo, s57
	s_delay_alu instid0(SALU_CYCLE_1)
	s_or_b32 s0, s0, exec_lo
.LBB25_5822:
	s_or_b32 exec_lo, exec_lo, s46
	s_delay_alu instid0(SALU_CYCLE_1)
	s_and_not1_b32 s46, s41, exec_lo
	s_and_b32 s56, s56, exec_lo
	s_and_b32 s0, s0, exec_lo
	s_or_b32 s46, s46, s56
                                        ; implicit-def: $vgpr1
                                        ; implicit-def: $vgpr144
                                        ; implicit-def: $vgpr2_vgpr3
.LBB25_5823:
	s_and_not1_saveexec_b32 s47, s47
	s_cbranch_execz .LBB25_5867
; %bb.5824:
	s_mov_b32 s57, s0
	s_mov_b32 s56, exec_lo
	v_cmpx_lt_i16_e32 22, v1
	s_xor_b32 s56, exec_lo, s56
	s_cbranch_execz .LBB25_5856
; %bb.5825:
	s_mov_b32 s57, exec_lo
	v_cmpx_lt_i16_e32 23, v1
	s_xor_b32 s57, exec_lo, s57
	s_cbranch_execz .LBB25_5845
; %bb.5826:
	;; [unrolled: 5-line block ×3, first 2 shown]
	v_and_b32_e32 v1, 0x7fffffff, v144
	v_mov_b32_e32 v4, 0x80
	s_mov_b32 s59, exec_lo
	s_delay_alu instid0(VALU_DEP_2)
	v_cmpx_gt_u32_e32 0x47800000, v1
	s_cbranch_execz .LBB25_5833
; %bb.5828:
	v_cmp_lt_u32_e32 vcc_lo, 0x37ffffff, v1
	s_mov_b32 s63, 0
                                        ; implicit-def: $vgpr1
	s_and_saveexec_b32 s72, vcc_lo
	s_delay_alu instid0(SALU_CYCLE_1)
	s_xor_b32 s72, exec_lo, s72
	s_cbranch_execnz .LBB25_7945
; %bb.5829:
	s_and_not1_saveexec_b32 s72, s72
	s_cbranch_execnz .LBB25_7946
.LBB25_5830:
	s_or_b32 exec_lo, exec_lo, s72
	v_mov_b32_e32 v4, 0
	s_and_saveexec_b32 s72, s63
.LBB25_5831:
	v_lshrrev_b32_e32 v4, 24, v144
	s_delay_alu instid0(VALU_DEP_1)
	v_and_or_b32 v4, 0x80, v4, v1
.LBB25_5832:
	s_or_b32 exec_lo, exec_lo, s72
.LBB25_5833:
	s_delay_alu instid0(SALU_CYCLE_1)
	s_or_b32 exec_lo, exec_lo, s59
	flat_store_b8 v[2:3], v4
                                        ; implicit-def: $vgpr144
                                        ; implicit-def: $vgpr2_vgpr3
.LBB25_5834:
	s_wait_xcnt 0x0
	s_and_not1_saveexec_b32 s58, s58
	s_cbranch_execz .LBB25_5844
; %bb.5835:
	v_and_b32_e32 v4, 0x7fffffff, v144
	s_mov_b32 s59, exec_lo
                                        ; implicit-def: $vgpr1
	s_delay_alu instid0(VALU_DEP_1)
	v_cmpx_gt_u32_e32 0x43f00000, v4
	s_xor_b32 s59, exec_lo, s59
	s_cbranch_execz .LBB25_5841
; %bb.5836:
	s_mov_b32 s63, exec_lo
                                        ; implicit-def: $vgpr1
	v_cmpx_lt_u32_e32 0x3c7fffff, v4
	s_xor_b32 s63, exec_lo, s63
; %bb.5837:
	v_bfe_u32 v1, v144, 20, 1
	s_delay_alu instid0(VALU_DEP_1) | instskip(NEXT) | instid1(VALU_DEP_1)
	v_add3_u32 v1, v144, v1, 0x407ffff
	v_and_b32_e32 v4, 0xff00000, v1
	v_lshrrev_b32_e32 v1, 20, v1
	s_delay_alu instid0(VALU_DEP_2) | instskip(NEXT) | instid1(VALU_DEP_2)
	v_cmp_ne_u32_e32 vcc_lo, 0x7f00000, v4
	v_cndmask_b32_e32 v1, 0x7e, v1, vcc_lo
; %bb.5838:
	s_and_not1_saveexec_b32 s63, s63
; %bb.5839:
	v_add_f32_e64 v1, 0x46800000, |v144|
; %bb.5840:
	s_or_b32 exec_lo, exec_lo, s63
                                        ; implicit-def: $vgpr4
.LBB25_5841:
	s_and_not1_saveexec_b32 s59, s59
; %bb.5842:
	v_mov_b32_e32 v1, 0x7f
	v_cmp_lt_u32_e32 vcc_lo, 0x7f800000, v4
	s_delay_alu instid0(VALU_DEP_2)
	v_cndmask_b32_e32 v1, 0x7e, v1, vcc_lo
; %bb.5843:
	s_or_b32 exec_lo, exec_lo, s59
	v_lshrrev_b32_e32 v4, 24, v144
	s_delay_alu instid0(VALU_DEP_1)
	v_and_or_b32 v1, 0x80, v4, v1
	flat_store_b8 v[2:3], v1
.LBB25_5844:
	s_wait_xcnt 0x0
	s_or_b32 exec_lo, exec_lo, s58
                                        ; implicit-def: $vgpr144
                                        ; implicit-def: $vgpr2_vgpr3
.LBB25_5845:
	s_and_not1_saveexec_b32 s57, s57
	s_cbranch_execz .LBB25_5855
; %bb.5846:
	v_and_b32_e32 v4, 0x7fffffff, v144
	s_mov_b32 s58, exec_lo
                                        ; implicit-def: $vgpr1
	s_delay_alu instid0(VALU_DEP_1)
	v_cmpx_gt_u32_e32 0x47800000, v4
	s_xor_b32 s58, exec_lo, s58
	s_cbranch_execz .LBB25_5852
; %bb.5847:
	s_mov_b32 s59, exec_lo
                                        ; implicit-def: $vgpr1
	v_cmpx_lt_u32_e32 0x387fffff, v4
	s_xor_b32 s59, exec_lo, s59
; %bb.5848:
	v_bfe_u32 v1, v144, 21, 1
	s_delay_alu instid0(VALU_DEP_1) | instskip(NEXT) | instid1(VALU_DEP_1)
	v_add3_u32 v1, v144, v1, 0x80fffff
	v_lshrrev_b32_e32 v1, 21, v1
; %bb.5849:
	s_and_not1_saveexec_b32 s59, s59
; %bb.5850:
	v_add_f32_e64 v1, 0x43000000, |v144|
; %bb.5851:
	s_or_b32 exec_lo, exec_lo, s59
                                        ; implicit-def: $vgpr4
.LBB25_5852:
	s_and_not1_saveexec_b32 s58, s58
; %bb.5853:
	v_mov_b32_e32 v1, 0x7f
	v_cmp_lt_u32_e32 vcc_lo, 0x7f800000, v4
	s_delay_alu instid0(VALU_DEP_2)
	v_cndmask_b32_e32 v1, 0x7c, v1, vcc_lo
; %bb.5854:
	s_or_b32 exec_lo, exec_lo, s58
	v_lshrrev_b32_e32 v4, 24, v144
	s_delay_alu instid0(VALU_DEP_1)
	v_and_or_b32 v1, 0x80, v4, v1
	flat_store_b8 v[2:3], v1
.LBB25_5855:
	s_wait_xcnt 0x0
	s_or_b32 exec_lo, exec_lo, s57
	s_delay_alu instid0(SALU_CYCLE_1)
	s_or_b32 s57, s0, exec_lo
                                        ; implicit-def: $vgpr1
                                        ; implicit-def: $vgpr144
                                        ; implicit-def: $vgpr2_vgpr3
.LBB25_5856:
	s_or_saveexec_b32 s56, s56
	s_mov_b32 s58, s46
	s_xor_b32 exec_lo, exec_lo, s56
	s_cbranch_execz .LBB25_5866
; %bb.5857:
	s_mov_b32 s58, s57
	s_mov_b32 s59, s46
	s_mov_b32 s63, exec_lo
	v_cmpx_lt_i16_e32 14, v1
	s_xor_b32 s63, exec_lo, s63
	s_cbranch_execz .LBB25_5861
; %bb.5858:
	s_mov_b32 s72, -1
	s_mov_b32 s58, s57
	s_mov_b32 s59, exec_lo
	v_cmpx_eq_u16_e32 15, v1
	s_cbranch_execz .LBB25_5860
; %bb.5859:
	v_bfe_u32 v1, v144, 16, 1
	v_cmp_o_f32_e32 vcc_lo, v144, v144
	s_xor_b32 s72, exec_lo, -1
	s_or_b32 s58, s57, exec_lo
	s_delay_alu instid0(VALU_DEP_2) | instskip(NEXT) | instid1(VALU_DEP_1)
	v_add3_u32 v1, v144, v1, 0x7fff
	v_lshrrev_b32_e32 v1, 16, v1
	s_delay_alu instid0(VALU_DEP_1)
	v_cndmask_b32_e32 v1, 0x7fc0, v1, vcc_lo
	flat_store_b16 v[2:3], v1
.LBB25_5860:
	s_wait_xcnt 0x0
	s_or_b32 exec_lo, exec_lo, s59
	s_delay_alu instid0(SALU_CYCLE_1)
	s_and_not1_b32 s59, s46, exec_lo
	s_and_b32 s72, s72, exec_lo
	s_and_not1_b32 s73, s57, exec_lo
	s_and_b32 s58, s58, exec_lo
	s_or_b32 s59, s59, s72
	s_or_b32 s58, s73, s58
                                        ; implicit-def: $vgpr1
                                        ; implicit-def: $vgpr144
                                        ; implicit-def: $vgpr2_vgpr3
.LBB25_5861:
	s_and_not1_saveexec_b32 s63, s63
	s_cbranch_execz .LBB25_5865
; %bb.5862:
	s_mov_b32 s73, -1
	s_mov_b32 s72, s58
	s_mov_b32 s74, exec_lo
	v_cmpx_eq_u16_e32 11, v1
	s_cbranch_execz .LBB25_5864
; %bb.5863:
	v_cmp_neq_f32_e32 vcc_lo, 0, v144
	s_xor_b32 s73, exec_lo, -1
	s_or_b32 s72, s58, exec_lo
	v_cndmask_b32_e64 v1, 0, 1, vcc_lo
	flat_store_b8 v[2:3], v1
.LBB25_5864:
	s_wait_xcnt 0x0
	s_or_b32 exec_lo, exec_lo, s74
	s_delay_alu instid0(SALU_CYCLE_1)
	s_and_not1_b32 s59, s59, exec_lo
	s_and_b32 s73, s73, exec_lo
	s_and_not1_b32 s58, s58, exec_lo
	s_and_b32 s72, s72, exec_lo
	s_or_b32 s59, s59, s73
	s_or_b32 s58, s58, s72
.LBB25_5865:
	s_or_b32 exec_lo, exec_lo, s63
	s_delay_alu instid0(SALU_CYCLE_1)
	s_and_not1_b32 s63, s46, exec_lo
	s_and_b32 s59, s59, exec_lo
	s_and_not1_b32 s57, s57, exec_lo
	s_and_b32 s72, s58, exec_lo
	s_or_b32 s58, s63, s59
	s_or_b32 s57, s57, s72
.LBB25_5866:
	s_or_b32 exec_lo, exec_lo, s56
	s_delay_alu instid0(SALU_CYCLE_1)
	s_and_not1_b32 s46, s46, exec_lo
	s_and_b32 s56, s58, exec_lo
	s_and_not1_b32 s0, s0, exec_lo
	s_and_b32 s57, s57, exec_lo
	s_or_b32 s46, s46, s56
	s_or_b32 s0, s0, s57
.LBB25_5867:
	s_or_b32 exec_lo, exec_lo, s47
	s_delay_alu instid0(SALU_CYCLE_1)
	s_and_not1_b32 s47, s41, exec_lo
	s_and_b32 s46, s46, exec_lo
	s_and_b32 s0, s0, exec_lo
	s_or_b32 s46, s47, s46
                                        ; implicit-def: $vgpr1
                                        ; implicit-def: $vgpr144
                                        ; implicit-def: $vgpr2_vgpr3
.LBB25_5868:
	s_and_not1_saveexec_b32 s43, s43
	s_cbranch_execz .LBB25_5910
; %bb.5869:
	s_mov_b32 s47, exec_lo
	v_cmpx_lt_i16_e32 4, v1
	s_xor_b32 s47, exec_lo, s47
	s_cbranch_execz .LBB25_5891
; %bb.5870:
	s_mov_b32 s56, exec_lo
	v_cmpx_lt_i16_e32 7, v1
	s_xor_b32 s56, exec_lo, s56
	s_cbranch_execz .LBB25_5880
; %bb.5871:
	s_mov_b32 s57, exec_lo
	v_cmpx_lt_i16_e32 8, v1
	s_xor_b32 s57, exec_lo, s57
	s_cbranch_execz .LBB25_5877
; %bb.5872:
	s_mov_b32 s58, exec_lo
	v_cmpx_lt_i16_e32 9, v1
	s_xor_b32 s58, exec_lo, s58
	s_cbranch_execz .LBB25_5874
; %bb.5873:
	v_cvt_f64_f32_e32 v[4:5], v144
	v_mov_b32_e32 v6, 0
                                        ; implicit-def: $vgpr144
	s_delay_alu instid0(VALU_DEP_1)
	v_mov_b32_e32 v7, v6
	flat_store_b128 v[2:3], v[4:7]
                                        ; implicit-def: $vgpr2_vgpr3
.LBB25_5874:
	s_wait_xcnt 0x0
	s_and_not1_saveexec_b32 s58, s58
	s_cbranch_execz .LBB25_5876
; %bb.5875:
	v_mov_b32_e32 v145, 0
	flat_store_b64 v[2:3], v[144:145]
.LBB25_5876:
	s_wait_xcnt 0x0
	s_or_b32 exec_lo, exec_lo, s58
                                        ; implicit-def: $vgpr144
                                        ; implicit-def: $vgpr2_vgpr3
.LBB25_5877:
	s_and_not1_saveexec_b32 s57, s57
	s_cbranch_execz .LBB25_5879
; %bb.5878:
	v_cvt_f16_f32_e64 v1, v144
	s_delay_alu instid0(VALU_DEP_1)
	v_and_b32_e32 v1, 0xffff, v1
	flat_store_b32 v[2:3], v1
.LBB25_5879:
	s_wait_xcnt 0x0
	s_or_b32 exec_lo, exec_lo, s57
                                        ; implicit-def: $vgpr144
                                        ; implicit-def: $vgpr2_vgpr3
                                        ; implicit-def: $vgpr1
.LBB25_5880:
	s_and_not1_saveexec_b32 s56, s56
	s_cbranch_execz .LBB25_5890
; %bb.5881:
	s_mov_b32 s57, exec_lo
	v_cmpx_lt_i16_e32 5, v1
	s_xor_b32 s57, exec_lo, s57
	s_cbranch_execz .LBB25_5887
; %bb.5882:
	s_mov_b32 s58, exec_lo
	v_cmpx_lt_i16_e32 6, v1
	s_xor_b32 s58, exec_lo, s58
	s_cbranch_execz .LBB25_5884
; %bb.5883:
	v_cvt_f64_f32_e32 v[4:5], v144
                                        ; implicit-def: $vgpr144
	flat_store_b64 v[2:3], v[4:5]
                                        ; implicit-def: $vgpr2_vgpr3
.LBB25_5884:
	s_wait_xcnt 0x0
	s_and_not1_saveexec_b32 s58, s58
	s_cbranch_execz .LBB25_5886
; %bb.5885:
	flat_store_b32 v[2:3], v144
.LBB25_5886:
	s_wait_xcnt 0x0
	s_or_b32 exec_lo, exec_lo, s58
                                        ; implicit-def: $vgpr144
                                        ; implicit-def: $vgpr2_vgpr3
.LBB25_5887:
	s_and_not1_saveexec_b32 s57, s57
	s_cbranch_execz .LBB25_5889
; %bb.5888:
	v_cvt_f16_f32_e64 v1, v144
	flat_store_b16 v[2:3], v1
.LBB25_5889:
	s_wait_xcnt 0x0
	s_or_b32 exec_lo, exec_lo, s57
.LBB25_5890:
	s_delay_alu instid0(SALU_CYCLE_1)
	s_or_b32 exec_lo, exec_lo, s56
                                        ; implicit-def: $vgpr1
                                        ; implicit-def: $vgpr144
                                        ; implicit-def: $vgpr2_vgpr3
.LBB25_5891:
	s_and_not1_saveexec_b32 s47, s47
	s_cbranch_execz .LBB25_5909
; %bb.5892:
	s_mov_b32 s56, exec_lo
	v_cmpx_lt_i16_e32 1, v1
	s_xor_b32 s56, exec_lo, s56
	s_cbranch_execz .LBB25_5902
; %bb.5893:
	s_mov_b32 s57, exec_lo
	v_cmpx_lt_i16_e32 2, v1
	s_xor_b32 s57, exec_lo, s57
	;; [unrolled: 5-line block ×3, first 2 shown]
	s_cbranch_execz .LBB25_5896
; %bb.5895:
	v_trunc_f32_e32 v1, v144
                                        ; implicit-def: $vgpr144
	s_delay_alu instid0(VALU_DEP_1) | instskip(NEXT) | instid1(VALU_DEP_1)
	v_mul_f32_e64 v4, 0x2f800000, |v1|
	v_floor_f32_e32 v5, v4
	v_ashrrev_i32_e32 v4, 31, v1
	s_delay_alu instid0(VALU_DEP_2) | instskip(SKIP_1) | instid1(VALU_DEP_3)
	v_fma_f32 v6, 0xcf800000, v5, |v1|
	v_cvt_u32_f32_e32 v1, v5
	v_mov_b32_e32 v5, v4
	s_delay_alu instid0(VALU_DEP_3) | instskip(NEXT) | instid1(VALU_DEP_3)
	v_cvt_u32_f32_e32 v6, v6
	v_xor_b32_e32 v7, v1, v4
	s_delay_alu instid0(VALU_DEP_2) | instskip(NEXT) | instid1(VALU_DEP_1)
	v_xor_b32_e32 v6, v6, v4
	v_sub_nc_u64_e32 v[4:5], v[6:7], v[4:5]
	flat_store_b64 v[2:3], v[4:5]
                                        ; implicit-def: $vgpr2_vgpr3
.LBB25_5896:
	s_wait_xcnt 0x0
	s_and_not1_saveexec_b32 s58, s58
	s_cbranch_execz .LBB25_5898
; %bb.5897:
	v_cvt_i32_f32_e32 v1, v144
	flat_store_b32 v[2:3], v1
.LBB25_5898:
	s_wait_xcnt 0x0
	s_or_b32 exec_lo, exec_lo, s58
                                        ; implicit-def: $vgpr144
                                        ; implicit-def: $vgpr2_vgpr3
.LBB25_5899:
	s_and_not1_saveexec_b32 s57, s57
	s_cbranch_execz .LBB25_5901
; %bb.5900:
	v_cvt_i32_f32_e32 v1, v144
	flat_store_b16 v[2:3], v1
.LBB25_5901:
	s_wait_xcnt 0x0
	s_or_b32 exec_lo, exec_lo, s57
                                        ; implicit-def: $vgpr144
                                        ; implicit-def: $vgpr2_vgpr3
                                        ; implicit-def: $vgpr1
.LBB25_5902:
	s_and_not1_saveexec_b32 s56, s56
	s_cbranch_execz .LBB25_5908
; %bb.5903:
	s_mov_b32 s57, exec_lo
	v_cmpx_lt_i16_e32 0, v1
	s_xor_b32 s57, exec_lo, s57
	s_cbranch_execz .LBB25_5905
; %bb.5904:
	v_cvt_i32_f32_e32 v1, v144
                                        ; implicit-def: $vgpr144
	flat_store_b8 v[2:3], v1
                                        ; implicit-def: $vgpr2_vgpr3
.LBB25_5905:
	s_wait_xcnt 0x0
	s_and_not1_saveexec_b32 s57, s57
	s_cbranch_execz .LBB25_5907
; %bb.5906:
	v_trunc_f32_e32 v1, v144
	s_delay_alu instid0(VALU_DEP_1) | instskip(NEXT) | instid1(VALU_DEP_1)
	v_mul_f32_e64 v4, 0x2f800000, |v1|
	v_floor_f32_e32 v4, v4
	s_delay_alu instid0(VALU_DEP_1) | instskip(SKIP_1) | instid1(VALU_DEP_2)
	v_fma_f32 v4, 0xcf800000, v4, |v1|
	v_ashrrev_i32_e32 v1, 31, v1
	v_cvt_u32_f32_e32 v4, v4
	s_delay_alu instid0(VALU_DEP_1) | instskip(NEXT) | instid1(VALU_DEP_1)
	v_xor_b32_e32 v4, v4, v1
	v_sub_nc_u32_e32 v1, v4, v1
	flat_store_b8 v[2:3], v1
.LBB25_5907:
	s_wait_xcnt 0x0
	s_or_b32 exec_lo, exec_lo, s57
.LBB25_5908:
	s_delay_alu instid0(SALU_CYCLE_1)
	s_or_b32 exec_lo, exec_lo, s56
.LBB25_5909:
	s_delay_alu instid0(SALU_CYCLE_1) | instskip(NEXT) | instid1(SALU_CYCLE_1)
	s_or_b32 exec_lo, exec_lo, s47
	s_or_b32 s0, s0, exec_lo
.LBB25_5910:
	s_or_b32 exec_lo, exec_lo, s43
	s_mov_b32 s47, 0
	s_mov_b32 s43, 0
	s_and_saveexec_b32 s56, s0
; %bb.5911:
	v_add_nc_u32_e32 v209, 0x200, v209
	s_mov_b32 s47, exec_lo
	s_delay_alu instid0(VALU_DEP_1)
	v_cmp_lt_i32_e32 vcc_lo, v209, v211
	s_and_b32 s43, vcc_lo, exec_lo
; %bb.5912:
	s_or_b32 exec_lo, exec_lo, s56
	s_delay_alu instid0(SALU_CYCLE_1)
	s_and_not1_b32 s0, s41, exec_lo
	s_and_b32 s46, s46, exec_lo
	s_and_b32 s56, s43, exec_lo
	s_or_b32 s43, s0, s46
	s_or_not1_b32 s47, s47, exec_lo
.LBB25_5913:
	s_or_b32 exec_lo, exec_lo, s44
	s_mov_b32 s0, 0
	s_mov_b32 s46, 0
                                        ; implicit-def: $vgpr4
                                        ; implicit-def: $vgpr2_vgpr3
	s_and_saveexec_b32 s44, s47
	s_cbranch_execz .LBB25_7815
; %bb.5914:
	s_mov_b32 s57, -1
	s_mov_b32 s47, 0
	s_mov_b32 s45, s43
	s_and_saveexec_b32 s46, s56
	s_cbranch_execz .LBB25_6042
; %bb.5915:
	v_dual_add_nc_u32 v1, s60, v209 :: v_dual_mov_b32 v3, 0
	s_mov_b32 s56, s43
	s_mov_b32 s45, exec_lo
	s_delay_alu instid0(VALU_DEP_1) | instskip(SKIP_1) | instid1(VALU_DEP_2)
	v_mul_lo_u32 v2, v1, v210
	v_and_b32_e32 v1, 0xff, v85
	v_add_nc_u64_e32 v[2:3], v[212:213], v[2:3]
	s_delay_alu instid0(VALU_DEP_2)
	v_cmpx_lt_i16_e32 10, v1
	s_xor_b32 s45, exec_lo, s45
	s_cbranch_execz .LBB25_5997
; %bb.5916:
	s_mov_b32 s56, s43
	s_mov_b32 s57, exec_lo
	v_cmpx_lt_i16_e32 25, v1
	s_xor_b32 s57, exec_lo, s57
	s_cbranch_execz .LBB25_5952
; %bb.5917:
	s_mov_b32 s58, s43
	s_mov_b32 s56, exec_lo
	;; [unrolled: 6-line block ×3, first 2 shown]
	v_cmpx_lt_i16_e32 43, v1
	s_xor_b32 s58, exec_lo, s58
	s_cbranch_execz .LBB25_5930
; %bb.5919:
	s_mov_b32 s59, 0
	s_mov_b32 s63, s43
	s_mov_b32 s0, exec_lo
	v_cmpx_lt_i16_e32 45, v1
	s_xor_b32 s0, exec_lo, s0
	s_cbranch_execz .LBB25_5923
; %bb.5920:
	s_mov_b32 s72, -1
	s_mov_b32 s63, exec_lo
	v_cmpx_eq_u16_e32 46, v1
	s_cbranch_execz .LBB25_5922
; %bb.5921:
	v_bfe_u32 v1, v134, 16, 1
	v_cmp_o_f32_e32 vcc_lo, v134, v134
	s_mov_b32 s59, exec_lo
	s_xor_b32 s72, exec_lo, -1
	s_delay_alu instid0(VALU_DEP_2) | instskip(NEXT) | instid1(VALU_DEP_1)
	v_add3_u32 v1, v134, v1, 0x7fff
	v_lshrrev_b32_e32 v1, 16, v1
	s_delay_alu instid0(VALU_DEP_1)
	v_cndmask_b32_e32 v1, 0x7fc0, v1, vcc_lo
	flat_store_b32 v[2:3], v1
.LBB25_5922:
	s_wait_xcnt 0x0
	s_or_b32 exec_lo, exec_lo, s63
	s_delay_alu instid0(SALU_CYCLE_1)
	s_and_not1_b32 s63, s43, exec_lo
	s_and_b32 s72, s72, exec_lo
	s_and_b32 s59, s59, exec_lo
	s_or_b32 s63, s63, s72
                                        ; implicit-def: $vgpr1
                                        ; implicit-def: $vgpr2_vgpr3
                                        ; implicit-def: $vgpr134
.LBB25_5923:
	s_and_not1_saveexec_b32 s72, s0
	s_cbranch_execz .LBB25_5929
; %bb.5924:
	s_mov_b32 s74, -1
	s_mov_b32 s0, s59
	s_mov_b32 s73, exec_lo
	v_cmpx_eq_u16_e32 44, v1
	s_cbranch_execz .LBB25_5928
; %bb.5925:
	v_bfe_u32 v4, v134, 23, 8
	v_mov_b32_e32 v1, 0xff
	s_mov_b32 s74, exec_lo
	s_delay_alu instid0(VALU_DEP_2)
	v_cmpx_ne_u32_e32 0xff, v4
	s_cbranch_execz .LBB25_5927
; %bb.5926:
	v_and_b32_e32 v1, 0x400000, v134
	v_and_or_b32 v4, 0x3fffff, v134, v4
	s_delay_alu instid0(VALU_DEP_2) | instskip(NEXT) | instid1(VALU_DEP_2)
	v_cmp_ne_u32_e32 vcc_lo, 0, v1
	v_cmp_ne_u32_e64 s0, 0, v4
	v_lshrrev_b32_e32 v1, 23, v134
	s_and_b32 s0, vcc_lo, s0
	s_delay_alu instid0(SALU_CYCLE_1) | instskip(NEXT) | instid1(VALU_DEP_1)
	v_cndmask_b32_e64 v4, 0, 1, s0
	v_add_nc_u32_e32 v1, v1, v4
.LBB25_5927:
	s_or_b32 exec_lo, exec_lo, s74
	s_delay_alu instid0(SALU_CYCLE_1)
	s_xor_b32 s74, exec_lo, -1
	s_or_b32 s0, s59, exec_lo
	flat_store_b8 v[2:3], v1
.LBB25_5928:
	s_wait_xcnt 0x0
	s_or_b32 exec_lo, exec_lo, s73
	s_delay_alu instid0(SALU_CYCLE_1)
	s_and_not1_b32 s63, s63, exec_lo
	s_and_b32 s73, s74, exec_lo
	s_and_not1_b32 s59, s59, exec_lo
	s_and_b32 s0, s0, exec_lo
	s_or_b32 s63, s63, s73
	s_or_b32 s59, s59, s0
.LBB25_5929:
	s_or_b32 exec_lo, exec_lo, s72
	s_delay_alu instid0(SALU_CYCLE_1) | instskip(SKIP_1) | instid1(SALU_CYCLE_1)
	s_and_not1_b32 s0, s43, exec_lo
	s_and_b32 s63, s63, exec_lo
                                        ; implicit-def: $vgpr1
                                        ; implicit-def: $vgpr134
                                        ; implicit-def: $vgpr2_vgpr3
	s_or_b32 s63, s0, s63
	s_and_b32 s0, s59, exec_lo
.LBB25_5930:
	s_and_not1_saveexec_b32 s58, s58
	s_cbranch_execz .LBB25_5934
; %bb.5931:
	s_mov_b32 s73, -1
	s_mov_b32 s72, s0
	s_mov_b32 s59, exec_lo
	v_cmpx_eq_u16_e32 29, v1
	s_cbranch_execz .LBB25_5933
; %bb.5932:
	v_trunc_f32_e32 v1, v134
	s_xor_b32 s73, exec_lo, -1
	s_or_b32 s72, s0, exec_lo
	s_delay_alu instid0(VALU_DEP_1) | instskip(NEXT) | instid1(VALU_DEP_1)
	v_mul_f32_e32 v4, 0x2f800000, v1
	v_floor_f32_e32 v4, v4
	s_delay_alu instid0(VALU_DEP_1) | instskip(SKIP_1) | instid1(VALU_DEP_2)
	v_fmamk_f32 v1, v4, 0xcf800000, v1
	v_cvt_u32_f32_e32 v5, v4
	v_cvt_u32_f32_e32 v4, v1
	flat_store_b64 v[2:3], v[4:5]
.LBB25_5933:
	s_wait_xcnt 0x0
	s_or_b32 exec_lo, exec_lo, s59
	s_delay_alu instid0(SALU_CYCLE_1)
	s_and_not1_b32 s59, s63, exec_lo
	s_and_b32 s63, s73, exec_lo
	s_and_not1_b32 s0, s0, exec_lo
	s_and_b32 s72, s72, exec_lo
	s_or_b32 s63, s59, s63
	s_or_b32 s0, s0, s72
.LBB25_5934:
	s_or_b32 exec_lo, exec_lo, s58
	s_delay_alu instid0(SALU_CYCLE_1)
	s_and_not1_b32 s58, s43, exec_lo
	s_and_b32 s59, s63, exec_lo
	s_and_b32 s0, s0, exec_lo
	s_or_b32 s58, s58, s59
                                        ; implicit-def: $vgpr2_vgpr3
                                        ; implicit-def: $vgpr1
                                        ; implicit-def: $vgpr134
.LBB25_5935:
	s_and_not1_saveexec_b32 s56, s56
	s_cbranch_execz .LBB25_5951
; %bb.5936:
	s_mov_b32 s59, exec_lo
	v_cmpx_lt_i16_e32 26, v1
	s_xor_b32 s59, exec_lo, s59
	s_cbranch_execz .LBB25_5942
; %bb.5937:
	v_cmp_lt_i16_e32 vcc_lo, 27, v1
	v_cvt_u32_f32_e32 v1, v134
	s_and_saveexec_b32 s63, vcc_lo
	s_delay_alu instid0(SALU_CYCLE_1)
	s_xor_b32 s63, exec_lo, s63
	s_cbranch_execz .LBB25_5939
; %bb.5938:
	flat_store_b32 v[2:3], v1
                                        ; implicit-def: $vgpr2_vgpr3
                                        ; implicit-def: $vgpr1
.LBB25_5939:
	s_wait_xcnt 0x0
	s_and_not1_saveexec_b32 s63, s63
	s_cbranch_execz .LBB25_5941
; %bb.5940:
	flat_store_b16 v[2:3], v1
.LBB25_5941:
	s_wait_xcnt 0x0
	s_or_b32 exec_lo, exec_lo, s63
                                        ; implicit-def: $vgpr2_vgpr3
                                        ; implicit-def: $vgpr134
.LBB25_5942:
	s_and_not1_saveexec_b32 s59, s59
	s_cbranch_execz .LBB25_5950
; %bb.5943:
	v_and_b32_e32 v1, 0x7fffffff, v134
	v_mov_b32_e32 v4, 0x80
	s_mov_b32 s63, exec_lo
	s_delay_alu instid0(VALU_DEP_2)
	v_cmpx_gt_u32_e32 0x43800000, v1
	s_cbranch_execz .LBB25_5949
; %bb.5944:
	v_cmp_lt_u32_e32 vcc_lo, 0x3bffffff, v1
	s_mov_b32 s72, 0
                                        ; implicit-def: $vgpr1
	s_and_saveexec_b32 s73, vcc_lo
	s_delay_alu instid0(SALU_CYCLE_1)
	s_xor_b32 s73, exec_lo, s73
	s_cbranch_execnz .LBB25_7947
; %bb.5945:
	s_and_not1_saveexec_b32 s73, s73
	s_cbranch_execnz .LBB25_7948
.LBB25_5946:
	s_or_b32 exec_lo, exec_lo, s73
	v_mov_b32_e32 v4, 0
	s_and_saveexec_b32 s73, s72
.LBB25_5947:
	v_lshrrev_b32_e32 v4, 24, v134
	s_delay_alu instid0(VALU_DEP_1)
	v_and_or_b32 v4, 0x80, v4, v1
.LBB25_5948:
	s_or_b32 exec_lo, exec_lo, s73
.LBB25_5949:
	s_delay_alu instid0(SALU_CYCLE_1)
	s_or_b32 exec_lo, exec_lo, s63
	flat_store_b8 v[2:3], v4
.LBB25_5950:
	s_wait_xcnt 0x0
	s_or_b32 exec_lo, exec_lo, s59
	s_delay_alu instid0(SALU_CYCLE_1)
	s_or_b32 s0, s0, exec_lo
.LBB25_5951:
	s_or_b32 exec_lo, exec_lo, s56
	s_delay_alu instid0(SALU_CYCLE_1)
	s_and_not1_b32 s56, s43, exec_lo
	s_and_b32 s58, s58, exec_lo
	s_and_b32 s0, s0, exec_lo
	s_or_b32 s56, s56, s58
                                        ; implicit-def: $vgpr1
                                        ; implicit-def: $vgpr134
                                        ; implicit-def: $vgpr2_vgpr3
.LBB25_5952:
	s_and_not1_saveexec_b32 s57, s57
	s_cbranch_execz .LBB25_5996
; %bb.5953:
	s_mov_b32 s59, s0
	s_mov_b32 s58, exec_lo
	v_cmpx_lt_i16_e32 22, v1
	s_xor_b32 s58, exec_lo, s58
	s_cbranch_execz .LBB25_5985
; %bb.5954:
	s_mov_b32 s59, exec_lo
	v_cmpx_lt_i16_e32 23, v1
	s_xor_b32 s59, exec_lo, s59
	s_cbranch_execz .LBB25_5974
; %bb.5955:
	;; [unrolled: 5-line block ×3, first 2 shown]
	v_and_b32_e32 v1, 0x7fffffff, v134
	v_mov_b32_e32 v4, 0x80
	s_mov_b32 s72, exec_lo
	s_delay_alu instid0(VALU_DEP_2)
	v_cmpx_gt_u32_e32 0x47800000, v1
	s_cbranch_execz .LBB25_5962
; %bb.5957:
	v_cmp_lt_u32_e32 vcc_lo, 0x37ffffff, v1
	s_mov_b32 s73, 0
                                        ; implicit-def: $vgpr1
	s_and_saveexec_b32 s74, vcc_lo
	s_delay_alu instid0(SALU_CYCLE_1)
	s_xor_b32 s74, exec_lo, s74
	s_cbranch_execnz .LBB25_7949
; %bb.5958:
	s_and_not1_saveexec_b32 s74, s74
	s_cbranch_execnz .LBB25_7950
.LBB25_5959:
	s_or_b32 exec_lo, exec_lo, s74
	v_mov_b32_e32 v4, 0
	s_and_saveexec_b32 s74, s73
.LBB25_5960:
	v_lshrrev_b32_e32 v4, 24, v134
	s_delay_alu instid0(VALU_DEP_1)
	v_and_or_b32 v4, 0x80, v4, v1
.LBB25_5961:
	s_or_b32 exec_lo, exec_lo, s74
.LBB25_5962:
	s_delay_alu instid0(SALU_CYCLE_1)
	s_or_b32 exec_lo, exec_lo, s72
	flat_store_b8 v[2:3], v4
                                        ; implicit-def: $vgpr134
                                        ; implicit-def: $vgpr2_vgpr3
.LBB25_5963:
	s_wait_xcnt 0x0
	s_and_not1_saveexec_b32 s63, s63
	s_cbranch_execz .LBB25_5973
; %bb.5964:
	v_and_b32_e32 v4, 0x7fffffff, v134
	s_mov_b32 s72, exec_lo
                                        ; implicit-def: $vgpr1
	s_delay_alu instid0(VALU_DEP_1)
	v_cmpx_gt_u32_e32 0x43f00000, v4
	s_xor_b32 s72, exec_lo, s72
	s_cbranch_execz .LBB25_5970
; %bb.5965:
	s_mov_b32 s73, exec_lo
                                        ; implicit-def: $vgpr1
	v_cmpx_lt_u32_e32 0x3c7fffff, v4
	s_xor_b32 s73, exec_lo, s73
; %bb.5966:
	v_bfe_u32 v1, v134, 20, 1
	s_delay_alu instid0(VALU_DEP_1) | instskip(NEXT) | instid1(VALU_DEP_1)
	v_add3_u32 v1, v134, v1, 0x407ffff
	v_and_b32_e32 v4, 0xff00000, v1
	v_lshrrev_b32_e32 v1, 20, v1
	s_delay_alu instid0(VALU_DEP_2) | instskip(NEXT) | instid1(VALU_DEP_2)
	v_cmp_ne_u32_e32 vcc_lo, 0x7f00000, v4
	v_cndmask_b32_e32 v1, 0x7e, v1, vcc_lo
; %bb.5967:
	s_and_not1_saveexec_b32 s73, s73
; %bb.5968:
	v_add_f32_e64 v1, 0x46800000, |v134|
; %bb.5969:
	s_or_b32 exec_lo, exec_lo, s73
                                        ; implicit-def: $vgpr4
.LBB25_5970:
	s_and_not1_saveexec_b32 s72, s72
; %bb.5971:
	v_mov_b32_e32 v1, 0x7f
	v_cmp_lt_u32_e32 vcc_lo, 0x7f800000, v4
	s_delay_alu instid0(VALU_DEP_2)
	v_cndmask_b32_e32 v1, 0x7e, v1, vcc_lo
; %bb.5972:
	s_or_b32 exec_lo, exec_lo, s72
	v_lshrrev_b32_e32 v4, 24, v134
	s_delay_alu instid0(VALU_DEP_1)
	v_and_or_b32 v1, 0x80, v4, v1
	flat_store_b8 v[2:3], v1
.LBB25_5973:
	s_wait_xcnt 0x0
	s_or_b32 exec_lo, exec_lo, s63
                                        ; implicit-def: $vgpr134
                                        ; implicit-def: $vgpr2_vgpr3
.LBB25_5974:
	s_and_not1_saveexec_b32 s59, s59
	s_cbranch_execz .LBB25_5984
; %bb.5975:
	v_and_b32_e32 v4, 0x7fffffff, v134
	s_mov_b32 s63, exec_lo
                                        ; implicit-def: $vgpr1
	s_delay_alu instid0(VALU_DEP_1)
	v_cmpx_gt_u32_e32 0x47800000, v4
	s_xor_b32 s63, exec_lo, s63
	s_cbranch_execz .LBB25_5981
; %bb.5976:
	s_mov_b32 s72, exec_lo
                                        ; implicit-def: $vgpr1
	v_cmpx_lt_u32_e32 0x387fffff, v4
	s_xor_b32 s72, exec_lo, s72
; %bb.5977:
	v_bfe_u32 v1, v134, 21, 1
	s_delay_alu instid0(VALU_DEP_1) | instskip(NEXT) | instid1(VALU_DEP_1)
	v_add3_u32 v1, v134, v1, 0x80fffff
	v_lshrrev_b32_e32 v1, 21, v1
; %bb.5978:
	s_and_not1_saveexec_b32 s72, s72
; %bb.5979:
	v_add_f32_e64 v1, 0x43000000, |v134|
; %bb.5980:
	s_or_b32 exec_lo, exec_lo, s72
                                        ; implicit-def: $vgpr4
.LBB25_5981:
	s_and_not1_saveexec_b32 s63, s63
; %bb.5982:
	v_mov_b32_e32 v1, 0x7f
	v_cmp_lt_u32_e32 vcc_lo, 0x7f800000, v4
	s_delay_alu instid0(VALU_DEP_2)
	v_cndmask_b32_e32 v1, 0x7c, v1, vcc_lo
; %bb.5983:
	s_or_b32 exec_lo, exec_lo, s63
	v_lshrrev_b32_e32 v4, 24, v134
	s_delay_alu instid0(VALU_DEP_1)
	v_and_or_b32 v1, 0x80, v4, v1
	flat_store_b8 v[2:3], v1
.LBB25_5984:
	s_wait_xcnt 0x0
	s_or_b32 exec_lo, exec_lo, s59
	s_delay_alu instid0(SALU_CYCLE_1)
	s_or_b32 s59, s0, exec_lo
                                        ; implicit-def: $vgpr1
                                        ; implicit-def: $vgpr134
                                        ; implicit-def: $vgpr2_vgpr3
.LBB25_5985:
	s_or_saveexec_b32 s58, s58
	s_mov_b32 s63, s56
	s_xor_b32 exec_lo, exec_lo, s58
	s_cbranch_execz .LBB25_5995
; %bb.5986:
	s_mov_b32 s63, s59
	s_mov_b32 s72, s56
	s_mov_b32 s73, exec_lo
	v_cmpx_lt_i16_e32 14, v1
	s_xor_b32 s73, exec_lo, s73
	s_cbranch_execz .LBB25_5990
; %bb.5987:
	s_mov_b32 s74, -1
	s_mov_b32 s63, s59
	s_mov_b32 s72, exec_lo
	v_cmpx_eq_u16_e32 15, v1
	s_cbranch_execz .LBB25_5989
; %bb.5988:
	v_bfe_u32 v1, v134, 16, 1
	v_cmp_o_f32_e32 vcc_lo, v134, v134
	s_xor_b32 s74, exec_lo, -1
	s_or_b32 s63, s59, exec_lo
	s_delay_alu instid0(VALU_DEP_2) | instskip(NEXT) | instid1(VALU_DEP_1)
	v_add3_u32 v1, v134, v1, 0x7fff
	v_lshrrev_b32_e32 v1, 16, v1
	s_delay_alu instid0(VALU_DEP_1)
	v_cndmask_b32_e32 v1, 0x7fc0, v1, vcc_lo
	flat_store_b16 v[2:3], v1
.LBB25_5989:
	s_wait_xcnt 0x0
	s_or_b32 exec_lo, exec_lo, s72
	s_delay_alu instid0(SALU_CYCLE_1)
	s_and_not1_b32 s72, s56, exec_lo
	s_and_b32 s74, s74, exec_lo
	s_and_not1_b32 s75, s59, exec_lo
	s_and_b32 s63, s63, exec_lo
	s_or_b32 s72, s72, s74
	s_or_b32 s63, s75, s63
                                        ; implicit-def: $vgpr1
                                        ; implicit-def: $vgpr134
                                        ; implicit-def: $vgpr2_vgpr3
.LBB25_5990:
	s_and_not1_saveexec_b32 s73, s73
	s_cbranch_execz .LBB25_5994
; %bb.5991:
	s_mov_b32 s75, -1
	s_mov_b32 s74, s63
	s_mov_b32 s76, exec_lo
	v_cmpx_eq_u16_e32 11, v1
	s_cbranch_execz .LBB25_5993
; %bb.5992:
	v_cmp_neq_f32_e32 vcc_lo, 0, v134
	s_xor_b32 s75, exec_lo, -1
	s_or_b32 s74, s63, exec_lo
	v_cndmask_b32_e64 v1, 0, 1, vcc_lo
	flat_store_b8 v[2:3], v1
.LBB25_5993:
	s_wait_xcnt 0x0
	s_or_b32 exec_lo, exec_lo, s76
	s_delay_alu instid0(SALU_CYCLE_1)
	s_and_not1_b32 s72, s72, exec_lo
	s_and_b32 s75, s75, exec_lo
	s_and_not1_b32 s63, s63, exec_lo
	s_and_b32 s74, s74, exec_lo
	s_or_b32 s72, s72, s75
	s_or_b32 s63, s63, s74
.LBB25_5994:
	s_or_b32 exec_lo, exec_lo, s73
	s_delay_alu instid0(SALU_CYCLE_1)
	s_and_not1_b32 s73, s56, exec_lo
	s_and_b32 s72, s72, exec_lo
	s_and_not1_b32 s59, s59, exec_lo
	s_and_b32 s74, s63, exec_lo
	s_or_b32 s63, s73, s72
	s_or_b32 s59, s59, s74
.LBB25_5995:
	s_or_b32 exec_lo, exec_lo, s58
	s_delay_alu instid0(SALU_CYCLE_1)
	s_and_not1_b32 s56, s56, exec_lo
	s_and_b32 s58, s63, exec_lo
	s_and_not1_b32 s0, s0, exec_lo
	s_and_b32 s59, s59, exec_lo
	s_or_b32 s56, s56, s58
	s_or_b32 s0, s0, s59
.LBB25_5996:
	s_or_b32 exec_lo, exec_lo, s57
	s_delay_alu instid0(SALU_CYCLE_1)
	s_and_not1_b32 s57, s43, exec_lo
	s_and_b32 s56, s56, exec_lo
	s_and_b32 s0, s0, exec_lo
	s_or_b32 s56, s57, s56
                                        ; implicit-def: $vgpr1
                                        ; implicit-def: $vgpr134
                                        ; implicit-def: $vgpr2_vgpr3
.LBB25_5997:
	s_and_not1_saveexec_b32 s45, s45
	s_cbranch_execz .LBB25_6039
; %bb.5998:
	s_mov_b32 s57, exec_lo
	v_cmpx_lt_i16_e32 4, v1
	s_xor_b32 s57, exec_lo, s57
	s_cbranch_execz .LBB25_6020
; %bb.5999:
	s_mov_b32 s58, exec_lo
	v_cmpx_lt_i16_e32 7, v1
	s_xor_b32 s58, exec_lo, s58
	;; [unrolled: 5-line block ×4, first 2 shown]
	s_cbranch_execz .LBB25_6003
; %bb.6002:
	v_cvt_f64_f32_e32 v[4:5], v134
	v_mov_b32_e32 v6, 0
                                        ; implicit-def: $vgpr134
	s_delay_alu instid0(VALU_DEP_1)
	v_mov_b32_e32 v7, v6
	flat_store_b128 v[2:3], v[4:7]
                                        ; implicit-def: $vgpr2_vgpr3
.LBB25_6003:
	s_wait_xcnt 0x0
	s_and_not1_saveexec_b32 s63, s63
	s_cbranch_execz .LBB25_6005
; %bb.6004:
	v_mov_b32_e32 v135, 0
	flat_store_b64 v[2:3], v[134:135]
.LBB25_6005:
	s_wait_xcnt 0x0
	s_or_b32 exec_lo, exec_lo, s63
                                        ; implicit-def: $vgpr134
                                        ; implicit-def: $vgpr2_vgpr3
.LBB25_6006:
	s_and_not1_saveexec_b32 s59, s59
	s_cbranch_execz .LBB25_6008
; %bb.6007:
	v_cvt_f16_f32_e64 v1, v134
	s_delay_alu instid0(VALU_DEP_1)
	v_and_b32_e32 v1, 0xffff, v1
	flat_store_b32 v[2:3], v1
.LBB25_6008:
	s_wait_xcnt 0x0
	s_or_b32 exec_lo, exec_lo, s59
                                        ; implicit-def: $vgpr134
                                        ; implicit-def: $vgpr2_vgpr3
                                        ; implicit-def: $vgpr1
.LBB25_6009:
	s_and_not1_saveexec_b32 s58, s58
	s_cbranch_execz .LBB25_6019
; %bb.6010:
	s_mov_b32 s59, exec_lo
	v_cmpx_lt_i16_e32 5, v1
	s_xor_b32 s59, exec_lo, s59
	s_cbranch_execz .LBB25_6016
; %bb.6011:
	s_mov_b32 s63, exec_lo
	v_cmpx_lt_i16_e32 6, v1
	s_xor_b32 s63, exec_lo, s63
	s_cbranch_execz .LBB25_6013
; %bb.6012:
	v_cvt_f64_f32_e32 v[4:5], v134
                                        ; implicit-def: $vgpr134
	flat_store_b64 v[2:3], v[4:5]
                                        ; implicit-def: $vgpr2_vgpr3
.LBB25_6013:
	s_wait_xcnt 0x0
	s_and_not1_saveexec_b32 s63, s63
	s_cbranch_execz .LBB25_6015
; %bb.6014:
	flat_store_b32 v[2:3], v134
.LBB25_6015:
	s_wait_xcnt 0x0
	s_or_b32 exec_lo, exec_lo, s63
                                        ; implicit-def: $vgpr134
                                        ; implicit-def: $vgpr2_vgpr3
.LBB25_6016:
	s_and_not1_saveexec_b32 s59, s59
	s_cbranch_execz .LBB25_6018
; %bb.6017:
	v_cvt_f16_f32_e64 v1, v134
	flat_store_b16 v[2:3], v1
.LBB25_6018:
	s_wait_xcnt 0x0
	s_or_b32 exec_lo, exec_lo, s59
.LBB25_6019:
	s_delay_alu instid0(SALU_CYCLE_1)
	s_or_b32 exec_lo, exec_lo, s58
                                        ; implicit-def: $vgpr1
                                        ; implicit-def: $vgpr134
                                        ; implicit-def: $vgpr2_vgpr3
.LBB25_6020:
	s_and_not1_saveexec_b32 s57, s57
	s_cbranch_execz .LBB25_6038
; %bb.6021:
	s_mov_b32 s58, exec_lo
	v_cmpx_lt_i16_e32 1, v1
	s_xor_b32 s58, exec_lo, s58
	s_cbranch_execz .LBB25_6031
; %bb.6022:
	s_mov_b32 s59, exec_lo
	v_cmpx_lt_i16_e32 2, v1
	s_xor_b32 s59, exec_lo, s59
	;; [unrolled: 5-line block ×3, first 2 shown]
	s_cbranch_execz .LBB25_6025
; %bb.6024:
	v_trunc_f32_e32 v1, v134
                                        ; implicit-def: $vgpr134
	s_delay_alu instid0(VALU_DEP_1) | instskip(NEXT) | instid1(VALU_DEP_1)
	v_mul_f32_e64 v4, 0x2f800000, |v1|
	v_floor_f32_e32 v5, v4
	v_ashrrev_i32_e32 v4, 31, v1
	s_delay_alu instid0(VALU_DEP_2) | instskip(SKIP_1) | instid1(VALU_DEP_3)
	v_fma_f32 v6, 0xcf800000, v5, |v1|
	v_cvt_u32_f32_e32 v1, v5
	v_mov_b32_e32 v5, v4
	s_delay_alu instid0(VALU_DEP_3) | instskip(NEXT) | instid1(VALU_DEP_3)
	v_cvt_u32_f32_e32 v6, v6
	v_xor_b32_e32 v7, v1, v4
	s_delay_alu instid0(VALU_DEP_2) | instskip(NEXT) | instid1(VALU_DEP_1)
	v_xor_b32_e32 v6, v6, v4
	v_sub_nc_u64_e32 v[4:5], v[6:7], v[4:5]
	flat_store_b64 v[2:3], v[4:5]
                                        ; implicit-def: $vgpr2_vgpr3
.LBB25_6025:
	s_wait_xcnt 0x0
	s_and_not1_saveexec_b32 s63, s63
	s_cbranch_execz .LBB25_6027
; %bb.6026:
	v_cvt_i32_f32_e32 v1, v134
	flat_store_b32 v[2:3], v1
.LBB25_6027:
	s_wait_xcnt 0x0
	s_or_b32 exec_lo, exec_lo, s63
                                        ; implicit-def: $vgpr134
                                        ; implicit-def: $vgpr2_vgpr3
.LBB25_6028:
	s_and_not1_saveexec_b32 s59, s59
	s_cbranch_execz .LBB25_6030
; %bb.6029:
	v_cvt_i32_f32_e32 v1, v134
	flat_store_b16 v[2:3], v1
.LBB25_6030:
	s_wait_xcnt 0x0
	s_or_b32 exec_lo, exec_lo, s59
                                        ; implicit-def: $vgpr134
                                        ; implicit-def: $vgpr2_vgpr3
                                        ; implicit-def: $vgpr1
.LBB25_6031:
	s_and_not1_saveexec_b32 s58, s58
	s_cbranch_execz .LBB25_6037
; %bb.6032:
	s_mov_b32 s59, exec_lo
	v_cmpx_lt_i16_e32 0, v1
	s_xor_b32 s59, exec_lo, s59
	s_cbranch_execz .LBB25_6034
; %bb.6033:
	v_cvt_i32_f32_e32 v1, v134
                                        ; implicit-def: $vgpr134
	flat_store_b8 v[2:3], v1
                                        ; implicit-def: $vgpr2_vgpr3
.LBB25_6034:
	s_wait_xcnt 0x0
	s_and_not1_saveexec_b32 s59, s59
	s_cbranch_execz .LBB25_6036
; %bb.6035:
	v_trunc_f32_e32 v1, v134
	s_delay_alu instid0(VALU_DEP_1) | instskip(NEXT) | instid1(VALU_DEP_1)
	v_mul_f32_e64 v4, 0x2f800000, |v1|
	v_floor_f32_e32 v4, v4
	s_delay_alu instid0(VALU_DEP_1) | instskip(SKIP_1) | instid1(VALU_DEP_2)
	v_fma_f32 v4, 0xcf800000, v4, |v1|
	v_ashrrev_i32_e32 v1, 31, v1
	v_cvt_u32_f32_e32 v4, v4
	s_delay_alu instid0(VALU_DEP_1) | instskip(NEXT) | instid1(VALU_DEP_1)
	v_xor_b32_e32 v4, v4, v1
	v_sub_nc_u32_e32 v1, v4, v1
	flat_store_b8 v[2:3], v1
.LBB25_6036:
	s_wait_xcnt 0x0
	s_or_b32 exec_lo, exec_lo, s59
.LBB25_6037:
	s_delay_alu instid0(SALU_CYCLE_1)
	s_or_b32 exec_lo, exec_lo, s58
.LBB25_6038:
	s_delay_alu instid0(SALU_CYCLE_1) | instskip(NEXT) | instid1(SALU_CYCLE_1)
	s_or_b32 exec_lo, exec_lo, s57
	s_or_b32 s0, s0, exec_lo
.LBB25_6039:
	s_or_b32 exec_lo, exec_lo, s45
	s_mov_b32 s57, 0
	s_mov_b32 s45, 0
	s_and_saveexec_b32 s58, s0
; %bb.6040:
	v_add_nc_u32_e32 v209, 0x200, v209
	s_mov_b32 s57, exec_lo
	s_delay_alu instid0(VALU_DEP_1)
	v_cmp_lt_i32_e32 vcc_lo, v209, v211
	s_and_b32 s45, vcc_lo, exec_lo
; %bb.6041:
	s_or_b32 exec_lo, exec_lo, s58
	s_delay_alu instid0(SALU_CYCLE_1)
	s_and_not1_b32 s58, s43, exec_lo
	s_and_b32 s56, s56, exec_lo
	s_and_b32 s0, s45, exec_lo
	s_or_b32 s45, s58, s56
	s_or_not1_b32 s57, s57, exec_lo
.LBB25_6042:
	s_or_b32 exec_lo, exec_lo, s46
	s_mov_b32 s56, 0
	s_mov_b32 s58, 0
                                        ; implicit-def: $vgpr4
                                        ; implicit-def: $vgpr2_vgpr3
	s_and_saveexec_b32 s46, s57
	s_cbranch_execz .LBB25_7814
; %bb.6043:
	s_mov_b32 s59, -1
	s_mov_b32 s57, 0
	s_mov_b32 s47, s45
	;; [unrolled: 1-line block ×3, first 2 shown]
	s_and_saveexec_b32 s56, s0
	s_cbranch_execz .LBB25_6171
; %bb.6044:
	v_dual_add_nc_u32 v1, s60, v209 :: v_dual_mov_b32 v3, 0
	s_mov_b32 s0, 0
	s_mov_b32 s58, s45
	s_mov_b32 s47, exec_lo
	s_delay_alu instid0(VALU_DEP_1) | instskip(SKIP_1) | instid1(VALU_DEP_2)
	v_mul_lo_u32 v2, v1, v210
	v_and_b32_e32 v1, 0xff, v85
	v_add_nc_u64_e32 v[2:3], v[212:213], v[2:3]
	s_delay_alu instid0(VALU_DEP_2)
	v_cmpx_lt_i16_e32 10, v1
	s_xor_b32 s47, exec_lo, s47
	s_cbranch_execz .LBB25_6126
; %bb.6045:
	s_mov_b32 s58, s45
	s_mov_b32 s59, exec_lo
	v_cmpx_lt_i16_e32 25, v1
	s_xor_b32 s59, exec_lo, s59
	s_cbranch_execz .LBB25_6081
; %bb.6046:
	s_mov_b32 s63, s45
	s_mov_b32 s58, exec_lo
	;; [unrolled: 6-line block ×3, first 2 shown]
	v_cmpx_lt_i16_e32 43, v1
	s_xor_b32 s63, exec_lo, s63
	s_cbranch_execz .LBB25_6059
; %bb.6048:
	s_mov_b32 s72, 0
	s_mov_b32 s73, s45
	s_mov_b32 s0, exec_lo
	v_cmpx_lt_i16_e32 45, v1
	s_xor_b32 s0, exec_lo, s0
	s_cbranch_execz .LBB25_6052
; %bb.6049:
	s_mov_b32 s74, -1
	s_mov_b32 s73, exec_lo
	v_cmpx_eq_u16_e32 46, v1
	s_cbranch_execz .LBB25_6051
; %bb.6050:
	v_bfe_u32 v1, v132, 16, 1
	v_cmp_o_f32_e32 vcc_lo, v132, v132
	s_mov_b32 s72, exec_lo
	s_xor_b32 s74, exec_lo, -1
	s_delay_alu instid0(VALU_DEP_2) | instskip(NEXT) | instid1(VALU_DEP_1)
	v_add3_u32 v1, v132, v1, 0x7fff
	v_lshrrev_b32_e32 v1, 16, v1
	s_delay_alu instid0(VALU_DEP_1)
	v_cndmask_b32_e32 v1, 0x7fc0, v1, vcc_lo
	flat_store_b32 v[2:3], v1
.LBB25_6051:
	s_wait_xcnt 0x0
	s_or_b32 exec_lo, exec_lo, s73
	s_delay_alu instid0(SALU_CYCLE_1)
	s_and_not1_b32 s73, s45, exec_lo
	s_and_b32 s74, s74, exec_lo
	s_and_b32 s72, s72, exec_lo
	s_or_b32 s73, s73, s74
                                        ; implicit-def: $vgpr1
                                        ; implicit-def: $vgpr2_vgpr3
                                        ; implicit-def: $vgpr132
.LBB25_6052:
	s_and_not1_saveexec_b32 s74, s0
	s_cbranch_execz .LBB25_6058
; %bb.6053:
	s_mov_b32 s76, -1
	s_mov_b32 s0, s72
	s_mov_b32 s75, exec_lo
	v_cmpx_eq_u16_e32 44, v1
	s_cbranch_execz .LBB25_6057
; %bb.6054:
	v_bfe_u32 v4, v132, 23, 8
	v_mov_b32_e32 v1, 0xff
	s_mov_b32 s76, exec_lo
	s_delay_alu instid0(VALU_DEP_2)
	v_cmpx_ne_u32_e32 0xff, v4
	s_cbranch_execz .LBB25_6056
; %bb.6055:
	v_and_b32_e32 v1, 0x400000, v132
	v_and_or_b32 v4, 0x3fffff, v132, v4
	s_delay_alu instid0(VALU_DEP_2) | instskip(NEXT) | instid1(VALU_DEP_2)
	v_cmp_ne_u32_e32 vcc_lo, 0, v1
	v_cmp_ne_u32_e64 s0, 0, v4
	v_lshrrev_b32_e32 v1, 23, v132
	s_and_b32 s0, vcc_lo, s0
	s_delay_alu instid0(SALU_CYCLE_1) | instskip(NEXT) | instid1(VALU_DEP_1)
	v_cndmask_b32_e64 v4, 0, 1, s0
	v_add_nc_u32_e32 v1, v1, v4
.LBB25_6056:
	s_or_b32 exec_lo, exec_lo, s76
	s_delay_alu instid0(SALU_CYCLE_1)
	s_xor_b32 s76, exec_lo, -1
	s_or_b32 s0, s72, exec_lo
	flat_store_b8 v[2:3], v1
.LBB25_6057:
	s_wait_xcnt 0x0
	s_or_b32 exec_lo, exec_lo, s75
	s_delay_alu instid0(SALU_CYCLE_1)
	s_and_not1_b32 s73, s73, exec_lo
	s_and_b32 s75, s76, exec_lo
	s_and_not1_b32 s72, s72, exec_lo
	s_and_b32 s0, s0, exec_lo
	s_or_b32 s73, s73, s75
	s_or_b32 s72, s72, s0
.LBB25_6058:
	s_or_b32 exec_lo, exec_lo, s74
	s_delay_alu instid0(SALU_CYCLE_1) | instskip(SKIP_1) | instid1(SALU_CYCLE_1)
	s_and_not1_b32 s0, s45, exec_lo
	s_and_b32 s73, s73, exec_lo
                                        ; implicit-def: $vgpr1
                                        ; implicit-def: $vgpr132
                                        ; implicit-def: $vgpr2_vgpr3
	s_or_b32 s73, s0, s73
	s_and_b32 s0, s72, exec_lo
.LBB25_6059:
	s_and_not1_saveexec_b32 s63, s63
	s_cbranch_execz .LBB25_6063
; %bb.6060:
	s_mov_b32 s75, -1
	s_mov_b32 s74, s0
	s_mov_b32 s72, exec_lo
	v_cmpx_eq_u16_e32 29, v1
	s_cbranch_execz .LBB25_6062
; %bb.6061:
	v_trunc_f32_e32 v1, v132
	s_xor_b32 s75, exec_lo, -1
	s_or_b32 s74, s0, exec_lo
	s_delay_alu instid0(VALU_DEP_1) | instskip(NEXT) | instid1(VALU_DEP_1)
	v_mul_f32_e32 v4, 0x2f800000, v1
	v_floor_f32_e32 v4, v4
	s_delay_alu instid0(VALU_DEP_1) | instskip(SKIP_1) | instid1(VALU_DEP_2)
	v_fmamk_f32 v1, v4, 0xcf800000, v1
	v_cvt_u32_f32_e32 v5, v4
	v_cvt_u32_f32_e32 v4, v1
	flat_store_b64 v[2:3], v[4:5]
.LBB25_6062:
	s_wait_xcnt 0x0
	s_or_b32 exec_lo, exec_lo, s72
	s_delay_alu instid0(SALU_CYCLE_1)
	s_and_not1_b32 s72, s73, exec_lo
	s_and_b32 s73, s75, exec_lo
	s_and_not1_b32 s0, s0, exec_lo
	s_and_b32 s74, s74, exec_lo
	s_or_b32 s73, s72, s73
	s_or_b32 s0, s0, s74
.LBB25_6063:
	s_or_b32 exec_lo, exec_lo, s63
	s_delay_alu instid0(SALU_CYCLE_1)
	s_and_not1_b32 s63, s45, exec_lo
	s_and_b32 s72, s73, exec_lo
	s_and_b32 s0, s0, exec_lo
	s_or_b32 s63, s63, s72
                                        ; implicit-def: $vgpr2_vgpr3
                                        ; implicit-def: $vgpr1
                                        ; implicit-def: $vgpr132
.LBB25_6064:
	s_and_not1_saveexec_b32 s58, s58
	s_cbranch_execz .LBB25_6080
; %bb.6065:
	s_mov_b32 s72, exec_lo
	v_cmpx_lt_i16_e32 26, v1
	s_xor_b32 s72, exec_lo, s72
	s_cbranch_execz .LBB25_6071
; %bb.6066:
	v_cmp_lt_i16_e32 vcc_lo, 27, v1
	v_cvt_u32_f32_e32 v1, v132
	s_and_saveexec_b32 s73, vcc_lo
	s_delay_alu instid0(SALU_CYCLE_1)
	s_xor_b32 s73, exec_lo, s73
	s_cbranch_execz .LBB25_6068
; %bb.6067:
	flat_store_b32 v[2:3], v1
                                        ; implicit-def: $vgpr2_vgpr3
                                        ; implicit-def: $vgpr1
.LBB25_6068:
	s_wait_xcnt 0x0
	s_and_not1_saveexec_b32 s73, s73
	s_cbranch_execz .LBB25_6070
; %bb.6069:
	flat_store_b16 v[2:3], v1
.LBB25_6070:
	s_wait_xcnt 0x0
	s_or_b32 exec_lo, exec_lo, s73
                                        ; implicit-def: $vgpr2_vgpr3
                                        ; implicit-def: $vgpr132
.LBB25_6071:
	s_and_not1_saveexec_b32 s72, s72
	s_cbranch_execz .LBB25_6079
; %bb.6072:
	v_and_b32_e32 v1, 0x7fffffff, v132
	v_mov_b32_e32 v4, 0x80
	s_mov_b32 s73, exec_lo
	s_delay_alu instid0(VALU_DEP_2)
	v_cmpx_gt_u32_e32 0x43800000, v1
	s_cbranch_execz .LBB25_6078
; %bb.6073:
	v_cmp_lt_u32_e32 vcc_lo, 0x3bffffff, v1
	s_mov_b32 s74, 0
                                        ; implicit-def: $vgpr1
	s_and_saveexec_b32 s75, vcc_lo
	s_delay_alu instid0(SALU_CYCLE_1)
	s_xor_b32 s75, exec_lo, s75
	s_cbranch_execnz .LBB25_7951
; %bb.6074:
	s_and_not1_saveexec_b32 s75, s75
	s_cbranch_execnz .LBB25_7952
.LBB25_6075:
	s_or_b32 exec_lo, exec_lo, s75
	v_mov_b32_e32 v4, 0
	s_and_saveexec_b32 s75, s74
.LBB25_6076:
	v_lshrrev_b32_e32 v4, 24, v132
	s_delay_alu instid0(VALU_DEP_1)
	v_and_or_b32 v4, 0x80, v4, v1
.LBB25_6077:
	s_or_b32 exec_lo, exec_lo, s75
.LBB25_6078:
	s_delay_alu instid0(SALU_CYCLE_1)
	s_or_b32 exec_lo, exec_lo, s73
	flat_store_b8 v[2:3], v4
.LBB25_6079:
	s_wait_xcnt 0x0
	s_or_b32 exec_lo, exec_lo, s72
	s_delay_alu instid0(SALU_CYCLE_1)
	s_or_b32 s0, s0, exec_lo
.LBB25_6080:
	s_or_b32 exec_lo, exec_lo, s58
	s_delay_alu instid0(SALU_CYCLE_1)
	s_and_not1_b32 s58, s45, exec_lo
	s_and_b32 s63, s63, exec_lo
	s_and_b32 s0, s0, exec_lo
	s_or_b32 s58, s58, s63
                                        ; implicit-def: $vgpr1
                                        ; implicit-def: $vgpr132
                                        ; implicit-def: $vgpr2_vgpr3
.LBB25_6081:
	s_and_not1_saveexec_b32 s59, s59
	s_cbranch_execz .LBB25_6125
; %bb.6082:
	s_mov_b32 s72, s0
	s_mov_b32 s63, exec_lo
	v_cmpx_lt_i16_e32 22, v1
	s_xor_b32 s63, exec_lo, s63
	s_cbranch_execz .LBB25_6114
; %bb.6083:
	s_mov_b32 s72, exec_lo
	v_cmpx_lt_i16_e32 23, v1
	s_xor_b32 s72, exec_lo, s72
	s_cbranch_execz .LBB25_6103
; %bb.6084:
	;; [unrolled: 5-line block ×3, first 2 shown]
	v_and_b32_e32 v1, 0x7fffffff, v132
	v_mov_b32_e32 v4, 0x80
	s_mov_b32 s74, exec_lo
	s_delay_alu instid0(VALU_DEP_2)
	v_cmpx_gt_u32_e32 0x47800000, v1
	s_cbranch_execz .LBB25_6091
; %bb.6086:
	v_cmp_lt_u32_e32 vcc_lo, 0x37ffffff, v1
	s_mov_b32 s75, 0
                                        ; implicit-def: $vgpr1
	s_and_saveexec_b32 s76, vcc_lo
	s_delay_alu instid0(SALU_CYCLE_1)
	s_xor_b32 s76, exec_lo, s76
	s_cbranch_execnz .LBB25_7953
; %bb.6087:
	s_and_not1_saveexec_b32 s76, s76
	s_cbranch_execnz .LBB25_7954
.LBB25_6088:
	s_or_b32 exec_lo, exec_lo, s76
	v_mov_b32_e32 v4, 0
	s_and_saveexec_b32 s76, s75
.LBB25_6089:
	v_lshrrev_b32_e32 v4, 24, v132
	s_delay_alu instid0(VALU_DEP_1)
	v_and_or_b32 v4, 0x80, v4, v1
.LBB25_6090:
	s_or_b32 exec_lo, exec_lo, s76
.LBB25_6091:
	s_delay_alu instid0(SALU_CYCLE_1)
	s_or_b32 exec_lo, exec_lo, s74
	flat_store_b8 v[2:3], v4
                                        ; implicit-def: $vgpr132
                                        ; implicit-def: $vgpr2_vgpr3
.LBB25_6092:
	s_wait_xcnt 0x0
	s_and_not1_saveexec_b32 s73, s73
	s_cbranch_execz .LBB25_6102
; %bb.6093:
	v_and_b32_e32 v4, 0x7fffffff, v132
	s_mov_b32 s74, exec_lo
                                        ; implicit-def: $vgpr1
	s_delay_alu instid0(VALU_DEP_1)
	v_cmpx_gt_u32_e32 0x43f00000, v4
	s_xor_b32 s74, exec_lo, s74
	s_cbranch_execz .LBB25_6099
; %bb.6094:
	s_mov_b32 s75, exec_lo
                                        ; implicit-def: $vgpr1
	v_cmpx_lt_u32_e32 0x3c7fffff, v4
	s_xor_b32 s75, exec_lo, s75
; %bb.6095:
	v_bfe_u32 v1, v132, 20, 1
	s_delay_alu instid0(VALU_DEP_1) | instskip(NEXT) | instid1(VALU_DEP_1)
	v_add3_u32 v1, v132, v1, 0x407ffff
	v_and_b32_e32 v4, 0xff00000, v1
	v_lshrrev_b32_e32 v1, 20, v1
	s_delay_alu instid0(VALU_DEP_2) | instskip(NEXT) | instid1(VALU_DEP_2)
	v_cmp_ne_u32_e32 vcc_lo, 0x7f00000, v4
	v_cndmask_b32_e32 v1, 0x7e, v1, vcc_lo
; %bb.6096:
	s_and_not1_saveexec_b32 s75, s75
; %bb.6097:
	v_add_f32_e64 v1, 0x46800000, |v132|
; %bb.6098:
	s_or_b32 exec_lo, exec_lo, s75
                                        ; implicit-def: $vgpr4
.LBB25_6099:
	s_and_not1_saveexec_b32 s74, s74
; %bb.6100:
	v_mov_b32_e32 v1, 0x7f
	v_cmp_lt_u32_e32 vcc_lo, 0x7f800000, v4
	s_delay_alu instid0(VALU_DEP_2)
	v_cndmask_b32_e32 v1, 0x7e, v1, vcc_lo
; %bb.6101:
	s_or_b32 exec_lo, exec_lo, s74
	v_lshrrev_b32_e32 v4, 24, v132
	s_delay_alu instid0(VALU_DEP_1)
	v_and_or_b32 v1, 0x80, v4, v1
	flat_store_b8 v[2:3], v1
.LBB25_6102:
	s_wait_xcnt 0x0
	s_or_b32 exec_lo, exec_lo, s73
                                        ; implicit-def: $vgpr132
                                        ; implicit-def: $vgpr2_vgpr3
.LBB25_6103:
	s_and_not1_saveexec_b32 s72, s72
	s_cbranch_execz .LBB25_6113
; %bb.6104:
	v_and_b32_e32 v4, 0x7fffffff, v132
	s_mov_b32 s73, exec_lo
                                        ; implicit-def: $vgpr1
	s_delay_alu instid0(VALU_DEP_1)
	v_cmpx_gt_u32_e32 0x47800000, v4
	s_xor_b32 s73, exec_lo, s73
	s_cbranch_execz .LBB25_6110
; %bb.6105:
	s_mov_b32 s74, exec_lo
                                        ; implicit-def: $vgpr1
	v_cmpx_lt_u32_e32 0x387fffff, v4
	s_xor_b32 s74, exec_lo, s74
; %bb.6106:
	v_bfe_u32 v1, v132, 21, 1
	s_delay_alu instid0(VALU_DEP_1) | instskip(NEXT) | instid1(VALU_DEP_1)
	v_add3_u32 v1, v132, v1, 0x80fffff
	v_lshrrev_b32_e32 v1, 21, v1
; %bb.6107:
	s_and_not1_saveexec_b32 s74, s74
; %bb.6108:
	v_add_f32_e64 v1, 0x43000000, |v132|
; %bb.6109:
	s_or_b32 exec_lo, exec_lo, s74
                                        ; implicit-def: $vgpr4
.LBB25_6110:
	s_and_not1_saveexec_b32 s73, s73
; %bb.6111:
	v_mov_b32_e32 v1, 0x7f
	v_cmp_lt_u32_e32 vcc_lo, 0x7f800000, v4
	s_delay_alu instid0(VALU_DEP_2)
	v_cndmask_b32_e32 v1, 0x7c, v1, vcc_lo
; %bb.6112:
	s_or_b32 exec_lo, exec_lo, s73
	v_lshrrev_b32_e32 v4, 24, v132
	s_delay_alu instid0(VALU_DEP_1)
	v_and_or_b32 v1, 0x80, v4, v1
	flat_store_b8 v[2:3], v1
.LBB25_6113:
	s_wait_xcnt 0x0
	s_or_b32 exec_lo, exec_lo, s72
	s_delay_alu instid0(SALU_CYCLE_1)
	s_or_b32 s72, s0, exec_lo
                                        ; implicit-def: $vgpr1
                                        ; implicit-def: $vgpr132
                                        ; implicit-def: $vgpr2_vgpr3
.LBB25_6114:
	s_or_saveexec_b32 s63, s63
	s_mov_b32 s73, s58
	s_xor_b32 exec_lo, exec_lo, s63
	s_cbranch_execz .LBB25_6124
; %bb.6115:
	s_mov_b32 s73, s72
	s_mov_b32 s74, s58
	s_mov_b32 s75, exec_lo
	v_cmpx_lt_i16_e32 14, v1
	s_xor_b32 s75, exec_lo, s75
	s_cbranch_execz .LBB25_6119
; %bb.6116:
	s_mov_b32 s76, -1
	s_mov_b32 s73, s72
	s_mov_b32 s74, exec_lo
	v_cmpx_eq_u16_e32 15, v1
	s_cbranch_execz .LBB25_6118
; %bb.6117:
	v_bfe_u32 v1, v132, 16, 1
	v_cmp_o_f32_e32 vcc_lo, v132, v132
	s_xor_b32 s76, exec_lo, -1
	s_or_b32 s73, s72, exec_lo
	s_delay_alu instid0(VALU_DEP_2) | instskip(NEXT) | instid1(VALU_DEP_1)
	v_add3_u32 v1, v132, v1, 0x7fff
	v_lshrrev_b32_e32 v1, 16, v1
	s_delay_alu instid0(VALU_DEP_1)
	v_cndmask_b32_e32 v1, 0x7fc0, v1, vcc_lo
	flat_store_b16 v[2:3], v1
.LBB25_6118:
	s_wait_xcnt 0x0
	s_or_b32 exec_lo, exec_lo, s74
	s_delay_alu instid0(SALU_CYCLE_1)
	s_and_not1_b32 s74, s58, exec_lo
	s_and_b32 s76, s76, exec_lo
	s_and_not1_b32 s77, s72, exec_lo
	s_and_b32 s73, s73, exec_lo
	s_or_b32 s74, s74, s76
	s_or_b32 s73, s77, s73
                                        ; implicit-def: $vgpr1
                                        ; implicit-def: $vgpr132
                                        ; implicit-def: $vgpr2_vgpr3
.LBB25_6119:
	s_and_not1_saveexec_b32 s75, s75
	s_cbranch_execz .LBB25_6123
; %bb.6120:
	s_mov_b32 s77, -1
	s_mov_b32 s76, s73
	s_mov_b32 s78, exec_lo
	v_cmpx_eq_u16_e32 11, v1
	s_cbranch_execz .LBB25_6122
; %bb.6121:
	v_cmp_neq_f32_e32 vcc_lo, 0, v132
	s_xor_b32 s77, exec_lo, -1
	s_or_b32 s76, s73, exec_lo
	v_cndmask_b32_e64 v1, 0, 1, vcc_lo
	flat_store_b8 v[2:3], v1
.LBB25_6122:
	s_wait_xcnt 0x0
	s_or_b32 exec_lo, exec_lo, s78
	s_delay_alu instid0(SALU_CYCLE_1)
	s_and_not1_b32 s74, s74, exec_lo
	s_and_b32 s77, s77, exec_lo
	s_and_not1_b32 s73, s73, exec_lo
	s_and_b32 s76, s76, exec_lo
	s_or_b32 s74, s74, s77
	s_or_b32 s73, s73, s76
.LBB25_6123:
	s_or_b32 exec_lo, exec_lo, s75
	s_delay_alu instid0(SALU_CYCLE_1)
	s_and_not1_b32 s75, s58, exec_lo
	s_and_b32 s74, s74, exec_lo
	s_and_not1_b32 s72, s72, exec_lo
	s_and_b32 s76, s73, exec_lo
	s_or_b32 s73, s75, s74
	s_or_b32 s72, s72, s76
.LBB25_6124:
	s_or_b32 exec_lo, exec_lo, s63
	s_delay_alu instid0(SALU_CYCLE_1)
	s_and_not1_b32 s58, s58, exec_lo
	s_and_b32 s63, s73, exec_lo
	s_and_not1_b32 s0, s0, exec_lo
	s_and_b32 s72, s72, exec_lo
	s_or_b32 s58, s58, s63
	s_or_b32 s0, s0, s72
.LBB25_6125:
	s_or_b32 exec_lo, exec_lo, s59
	s_delay_alu instid0(SALU_CYCLE_1)
	s_and_not1_b32 s59, s45, exec_lo
	s_and_b32 s58, s58, exec_lo
	s_and_b32 s0, s0, exec_lo
	s_or_b32 s58, s59, s58
                                        ; implicit-def: $vgpr1
                                        ; implicit-def: $vgpr132
                                        ; implicit-def: $vgpr2_vgpr3
.LBB25_6126:
	s_and_not1_saveexec_b32 s47, s47
	s_cbranch_execz .LBB25_6168
; %bb.6127:
	s_mov_b32 s59, exec_lo
	v_cmpx_lt_i16_e32 4, v1
	s_xor_b32 s59, exec_lo, s59
	s_cbranch_execz .LBB25_6149
; %bb.6128:
	s_mov_b32 s63, exec_lo
	v_cmpx_lt_i16_e32 7, v1
	s_xor_b32 s63, exec_lo, s63
	;; [unrolled: 5-line block ×4, first 2 shown]
	s_cbranch_execz .LBB25_6132
; %bb.6131:
	v_cvt_f64_f32_e32 v[4:5], v132
	v_mov_b32_e32 v6, 0
                                        ; implicit-def: $vgpr132
	s_delay_alu instid0(VALU_DEP_1)
	v_mov_b32_e32 v7, v6
	flat_store_b128 v[2:3], v[4:7]
                                        ; implicit-def: $vgpr2_vgpr3
.LBB25_6132:
	s_wait_xcnt 0x0
	s_and_not1_saveexec_b32 s73, s73
	s_cbranch_execz .LBB25_6134
; %bb.6133:
	v_mov_b32_e32 v133, 0
	flat_store_b64 v[2:3], v[132:133]
.LBB25_6134:
	s_wait_xcnt 0x0
	s_or_b32 exec_lo, exec_lo, s73
                                        ; implicit-def: $vgpr132
                                        ; implicit-def: $vgpr2_vgpr3
.LBB25_6135:
	s_and_not1_saveexec_b32 s72, s72
	s_cbranch_execz .LBB25_6137
; %bb.6136:
	v_cvt_f16_f32_e64 v1, v132
	s_delay_alu instid0(VALU_DEP_1)
	v_and_b32_e32 v1, 0xffff, v1
	flat_store_b32 v[2:3], v1
.LBB25_6137:
	s_wait_xcnt 0x0
	s_or_b32 exec_lo, exec_lo, s72
                                        ; implicit-def: $vgpr132
                                        ; implicit-def: $vgpr2_vgpr3
                                        ; implicit-def: $vgpr1
.LBB25_6138:
	s_and_not1_saveexec_b32 s63, s63
	s_cbranch_execz .LBB25_6148
; %bb.6139:
	s_mov_b32 s72, exec_lo
	v_cmpx_lt_i16_e32 5, v1
	s_xor_b32 s72, exec_lo, s72
	s_cbranch_execz .LBB25_6145
; %bb.6140:
	s_mov_b32 s73, exec_lo
	v_cmpx_lt_i16_e32 6, v1
	s_xor_b32 s73, exec_lo, s73
	s_cbranch_execz .LBB25_6142
; %bb.6141:
	v_cvt_f64_f32_e32 v[4:5], v132
                                        ; implicit-def: $vgpr132
	flat_store_b64 v[2:3], v[4:5]
                                        ; implicit-def: $vgpr2_vgpr3
.LBB25_6142:
	s_wait_xcnt 0x0
	s_and_not1_saveexec_b32 s73, s73
	s_cbranch_execz .LBB25_6144
; %bb.6143:
	flat_store_b32 v[2:3], v132
.LBB25_6144:
	s_wait_xcnt 0x0
	s_or_b32 exec_lo, exec_lo, s73
                                        ; implicit-def: $vgpr132
                                        ; implicit-def: $vgpr2_vgpr3
.LBB25_6145:
	s_and_not1_saveexec_b32 s72, s72
	s_cbranch_execz .LBB25_6147
; %bb.6146:
	v_cvt_f16_f32_e64 v1, v132
	flat_store_b16 v[2:3], v1
.LBB25_6147:
	s_wait_xcnt 0x0
	s_or_b32 exec_lo, exec_lo, s72
.LBB25_6148:
	s_delay_alu instid0(SALU_CYCLE_1)
	s_or_b32 exec_lo, exec_lo, s63
                                        ; implicit-def: $vgpr1
                                        ; implicit-def: $vgpr132
                                        ; implicit-def: $vgpr2_vgpr3
.LBB25_6149:
	s_and_not1_saveexec_b32 s59, s59
	s_cbranch_execz .LBB25_6167
; %bb.6150:
	s_mov_b32 s63, exec_lo
	v_cmpx_lt_i16_e32 1, v1
	s_xor_b32 s63, exec_lo, s63
	s_cbranch_execz .LBB25_6160
; %bb.6151:
	s_mov_b32 s72, exec_lo
	v_cmpx_lt_i16_e32 2, v1
	s_xor_b32 s72, exec_lo, s72
	;; [unrolled: 5-line block ×3, first 2 shown]
	s_cbranch_execz .LBB25_6154
; %bb.6153:
	v_trunc_f32_e32 v1, v132
                                        ; implicit-def: $vgpr132
	s_delay_alu instid0(VALU_DEP_1) | instskip(NEXT) | instid1(VALU_DEP_1)
	v_mul_f32_e64 v4, 0x2f800000, |v1|
	v_floor_f32_e32 v5, v4
	v_ashrrev_i32_e32 v4, 31, v1
	s_delay_alu instid0(VALU_DEP_2) | instskip(SKIP_1) | instid1(VALU_DEP_3)
	v_fma_f32 v6, 0xcf800000, v5, |v1|
	v_cvt_u32_f32_e32 v1, v5
	v_mov_b32_e32 v5, v4
	s_delay_alu instid0(VALU_DEP_3) | instskip(NEXT) | instid1(VALU_DEP_3)
	v_cvt_u32_f32_e32 v6, v6
	v_xor_b32_e32 v7, v1, v4
	s_delay_alu instid0(VALU_DEP_2) | instskip(NEXT) | instid1(VALU_DEP_1)
	v_xor_b32_e32 v6, v6, v4
	v_sub_nc_u64_e32 v[4:5], v[6:7], v[4:5]
	flat_store_b64 v[2:3], v[4:5]
                                        ; implicit-def: $vgpr2_vgpr3
.LBB25_6154:
	s_wait_xcnt 0x0
	s_and_not1_saveexec_b32 s73, s73
	s_cbranch_execz .LBB25_6156
; %bb.6155:
	v_cvt_i32_f32_e32 v1, v132
	flat_store_b32 v[2:3], v1
.LBB25_6156:
	s_wait_xcnt 0x0
	s_or_b32 exec_lo, exec_lo, s73
                                        ; implicit-def: $vgpr132
                                        ; implicit-def: $vgpr2_vgpr3
.LBB25_6157:
	s_and_not1_saveexec_b32 s72, s72
	s_cbranch_execz .LBB25_6159
; %bb.6158:
	v_cvt_i32_f32_e32 v1, v132
	flat_store_b16 v[2:3], v1
.LBB25_6159:
	s_wait_xcnt 0x0
	s_or_b32 exec_lo, exec_lo, s72
                                        ; implicit-def: $vgpr132
                                        ; implicit-def: $vgpr2_vgpr3
                                        ; implicit-def: $vgpr1
.LBB25_6160:
	s_and_not1_saveexec_b32 s63, s63
	s_cbranch_execz .LBB25_6166
; %bb.6161:
	s_mov_b32 s72, exec_lo
	v_cmpx_lt_i16_e32 0, v1
	s_xor_b32 s72, exec_lo, s72
	s_cbranch_execz .LBB25_6163
; %bb.6162:
	v_cvt_i32_f32_e32 v1, v132
                                        ; implicit-def: $vgpr132
	flat_store_b8 v[2:3], v1
                                        ; implicit-def: $vgpr2_vgpr3
.LBB25_6163:
	s_wait_xcnt 0x0
	s_and_not1_saveexec_b32 s72, s72
	s_cbranch_execz .LBB25_6165
; %bb.6164:
	v_trunc_f32_e32 v1, v132
	s_delay_alu instid0(VALU_DEP_1) | instskip(NEXT) | instid1(VALU_DEP_1)
	v_mul_f32_e64 v4, 0x2f800000, |v1|
	v_floor_f32_e32 v4, v4
	s_delay_alu instid0(VALU_DEP_1) | instskip(SKIP_1) | instid1(VALU_DEP_2)
	v_fma_f32 v4, 0xcf800000, v4, |v1|
	v_ashrrev_i32_e32 v1, 31, v1
	v_cvt_u32_f32_e32 v4, v4
	s_delay_alu instid0(VALU_DEP_1) | instskip(NEXT) | instid1(VALU_DEP_1)
	v_xor_b32_e32 v4, v4, v1
	v_sub_nc_u32_e32 v1, v4, v1
	flat_store_b8 v[2:3], v1
.LBB25_6165:
	s_wait_xcnt 0x0
	s_or_b32 exec_lo, exec_lo, s72
.LBB25_6166:
	s_delay_alu instid0(SALU_CYCLE_1)
	s_or_b32 exec_lo, exec_lo, s63
.LBB25_6167:
	s_delay_alu instid0(SALU_CYCLE_1) | instskip(NEXT) | instid1(SALU_CYCLE_1)
	s_or_b32 exec_lo, exec_lo, s59
	s_or_b32 s0, s0, exec_lo
.LBB25_6168:
	s_or_b32 exec_lo, exec_lo, s47
	s_mov_b32 s59, 0
	s_mov_b32 s47, 0
	s_and_saveexec_b32 s63, s0
; %bb.6169:
	v_add_nc_u32_e32 v209, 0x200, v209
	s_mov_b32 s59, exec_lo
	s_delay_alu instid0(VALU_DEP_1)
	v_cmp_lt_i32_e32 vcc_lo, v209, v211
	s_and_b32 s47, vcc_lo, exec_lo
; %bb.6170:
	s_or_b32 exec_lo, exec_lo, s63
	s_delay_alu instid0(SALU_CYCLE_1)
	s_and_not1_b32 s0, s45, exec_lo
	s_and_b32 s58, s58, exec_lo
	s_and_b32 s63, s47, exec_lo
	s_or_b32 s47, s0, s58
	s_or_not1_b32 s59, s59, exec_lo
.LBB25_6171:
	s_or_b32 exec_lo, exec_lo, s56
	s_mov_b32 s0, 0
	s_mov_b32 s58, 0
                                        ; implicit-def: $vgpr4
                                        ; implicit-def: $vgpr2_vgpr3
	s_and_saveexec_b32 s56, s59
	s_cbranch_execz .LBB25_7813
; %bb.6172:
	s_mov_b32 s72, -1
	s_mov_b32 s59, 0
	s_mov_b32 s57, s47
	s_and_saveexec_b32 s58, s63
	s_cbranch_execz .LBB25_6300
; %bb.6173:
	v_dual_add_nc_u32 v1, s60, v209 :: v_dual_mov_b32 v3, 0
	s_mov_b32 s63, s47
	s_mov_b32 s57, exec_lo
	s_delay_alu instid0(VALU_DEP_1) | instskip(SKIP_1) | instid1(VALU_DEP_2)
	v_mul_lo_u32 v2, v1, v210
	v_and_b32_e32 v1, 0xff, v85
	v_add_nc_u64_e32 v[2:3], v[212:213], v[2:3]
	s_delay_alu instid0(VALU_DEP_2)
	v_cmpx_lt_i16_e32 10, v1
	s_xor_b32 s57, exec_lo, s57
	s_cbranch_execz .LBB25_6255
; %bb.6174:
	s_mov_b32 s63, s47
	s_mov_b32 s72, exec_lo
	v_cmpx_lt_i16_e32 25, v1
	s_xor_b32 s72, exec_lo, s72
	s_cbranch_execz .LBB25_6210
; %bb.6175:
	s_mov_b32 s73, s47
	s_mov_b32 s63, exec_lo
	;; [unrolled: 6-line block ×3, first 2 shown]
	v_cmpx_lt_i16_e32 43, v1
	s_xor_b32 s73, exec_lo, s73
	s_cbranch_execz .LBB25_6188
; %bb.6177:
	s_mov_b32 s74, 0
	s_mov_b32 s75, s47
	s_mov_b32 s0, exec_lo
	v_cmpx_lt_i16_e32 45, v1
	s_xor_b32 s0, exec_lo, s0
	s_cbranch_execz .LBB25_6181
; %bb.6178:
	s_mov_b32 s76, -1
	s_mov_b32 s75, exec_lo
	v_cmpx_eq_u16_e32 46, v1
	s_cbranch_execz .LBB25_6180
; %bb.6179:
	v_bfe_u32 v1, v130, 16, 1
	v_cmp_o_f32_e32 vcc_lo, v130, v130
	s_mov_b32 s74, exec_lo
	s_xor_b32 s76, exec_lo, -1
	s_delay_alu instid0(VALU_DEP_2) | instskip(NEXT) | instid1(VALU_DEP_1)
	v_add3_u32 v1, v130, v1, 0x7fff
	v_lshrrev_b32_e32 v1, 16, v1
	s_delay_alu instid0(VALU_DEP_1)
	v_cndmask_b32_e32 v1, 0x7fc0, v1, vcc_lo
	flat_store_b32 v[2:3], v1
.LBB25_6180:
	s_wait_xcnt 0x0
	s_or_b32 exec_lo, exec_lo, s75
	s_delay_alu instid0(SALU_CYCLE_1)
	s_and_not1_b32 s75, s47, exec_lo
	s_and_b32 s76, s76, exec_lo
	s_and_b32 s74, s74, exec_lo
	s_or_b32 s75, s75, s76
                                        ; implicit-def: $vgpr1
                                        ; implicit-def: $vgpr2_vgpr3
                                        ; implicit-def: $vgpr130
.LBB25_6181:
	s_and_not1_saveexec_b32 s76, s0
	s_cbranch_execz .LBB25_6187
; %bb.6182:
	s_mov_b32 s78, -1
	s_mov_b32 s0, s74
	s_mov_b32 s77, exec_lo
	v_cmpx_eq_u16_e32 44, v1
	s_cbranch_execz .LBB25_6186
; %bb.6183:
	v_bfe_u32 v4, v130, 23, 8
	v_mov_b32_e32 v1, 0xff
	s_mov_b32 s78, exec_lo
	s_delay_alu instid0(VALU_DEP_2)
	v_cmpx_ne_u32_e32 0xff, v4
	s_cbranch_execz .LBB25_6185
; %bb.6184:
	v_and_b32_e32 v1, 0x400000, v130
	v_and_or_b32 v4, 0x3fffff, v130, v4
	s_delay_alu instid0(VALU_DEP_2) | instskip(NEXT) | instid1(VALU_DEP_2)
	v_cmp_ne_u32_e32 vcc_lo, 0, v1
	v_cmp_ne_u32_e64 s0, 0, v4
	v_lshrrev_b32_e32 v1, 23, v130
	s_and_b32 s0, vcc_lo, s0
	s_delay_alu instid0(SALU_CYCLE_1) | instskip(NEXT) | instid1(VALU_DEP_1)
	v_cndmask_b32_e64 v4, 0, 1, s0
	v_add_nc_u32_e32 v1, v1, v4
.LBB25_6185:
	s_or_b32 exec_lo, exec_lo, s78
	s_delay_alu instid0(SALU_CYCLE_1)
	s_xor_b32 s78, exec_lo, -1
	s_or_b32 s0, s74, exec_lo
	flat_store_b8 v[2:3], v1
.LBB25_6186:
	s_wait_xcnt 0x0
	s_or_b32 exec_lo, exec_lo, s77
	s_delay_alu instid0(SALU_CYCLE_1)
	s_and_not1_b32 s75, s75, exec_lo
	s_and_b32 s77, s78, exec_lo
	s_and_not1_b32 s74, s74, exec_lo
	s_and_b32 s0, s0, exec_lo
	s_or_b32 s75, s75, s77
	s_or_b32 s74, s74, s0
.LBB25_6187:
	s_or_b32 exec_lo, exec_lo, s76
	s_delay_alu instid0(SALU_CYCLE_1) | instskip(SKIP_1) | instid1(SALU_CYCLE_1)
	s_and_not1_b32 s0, s47, exec_lo
	s_and_b32 s75, s75, exec_lo
                                        ; implicit-def: $vgpr1
                                        ; implicit-def: $vgpr130
                                        ; implicit-def: $vgpr2_vgpr3
	s_or_b32 s75, s0, s75
	s_and_b32 s0, s74, exec_lo
.LBB25_6188:
	s_and_not1_saveexec_b32 s73, s73
	s_cbranch_execz .LBB25_6192
; %bb.6189:
	s_mov_b32 s77, -1
	s_mov_b32 s76, s0
	s_mov_b32 s74, exec_lo
	v_cmpx_eq_u16_e32 29, v1
	s_cbranch_execz .LBB25_6191
; %bb.6190:
	v_trunc_f32_e32 v1, v130
	s_xor_b32 s77, exec_lo, -1
	s_or_b32 s76, s0, exec_lo
	s_delay_alu instid0(VALU_DEP_1) | instskip(NEXT) | instid1(VALU_DEP_1)
	v_mul_f32_e32 v4, 0x2f800000, v1
	v_floor_f32_e32 v4, v4
	s_delay_alu instid0(VALU_DEP_1) | instskip(SKIP_1) | instid1(VALU_DEP_2)
	v_fmamk_f32 v1, v4, 0xcf800000, v1
	v_cvt_u32_f32_e32 v5, v4
	v_cvt_u32_f32_e32 v4, v1
	flat_store_b64 v[2:3], v[4:5]
.LBB25_6191:
	s_wait_xcnt 0x0
	s_or_b32 exec_lo, exec_lo, s74
	s_delay_alu instid0(SALU_CYCLE_1)
	s_and_not1_b32 s74, s75, exec_lo
	s_and_b32 s75, s77, exec_lo
	s_and_not1_b32 s0, s0, exec_lo
	s_and_b32 s76, s76, exec_lo
	s_or_b32 s75, s74, s75
	s_or_b32 s0, s0, s76
.LBB25_6192:
	s_or_b32 exec_lo, exec_lo, s73
	s_delay_alu instid0(SALU_CYCLE_1)
	s_and_not1_b32 s73, s47, exec_lo
	s_and_b32 s74, s75, exec_lo
	s_and_b32 s0, s0, exec_lo
	s_or_b32 s73, s73, s74
                                        ; implicit-def: $vgpr2_vgpr3
                                        ; implicit-def: $vgpr1
                                        ; implicit-def: $vgpr130
.LBB25_6193:
	s_and_not1_saveexec_b32 s63, s63
	s_cbranch_execz .LBB25_6209
; %bb.6194:
	s_mov_b32 s74, exec_lo
	v_cmpx_lt_i16_e32 26, v1
	s_xor_b32 s74, exec_lo, s74
	s_cbranch_execz .LBB25_6200
; %bb.6195:
	v_cmp_lt_i16_e32 vcc_lo, 27, v1
	v_cvt_u32_f32_e32 v1, v130
	s_and_saveexec_b32 s75, vcc_lo
	s_delay_alu instid0(SALU_CYCLE_1)
	s_xor_b32 s75, exec_lo, s75
	s_cbranch_execz .LBB25_6197
; %bb.6196:
	flat_store_b32 v[2:3], v1
                                        ; implicit-def: $vgpr2_vgpr3
                                        ; implicit-def: $vgpr1
.LBB25_6197:
	s_wait_xcnt 0x0
	s_and_not1_saveexec_b32 s75, s75
	s_cbranch_execz .LBB25_6199
; %bb.6198:
	flat_store_b16 v[2:3], v1
.LBB25_6199:
	s_wait_xcnt 0x0
	s_or_b32 exec_lo, exec_lo, s75
                                        ; implicit-def: $vgpr2_vgpr3
                                        ; implicit-def: $vgpr130
.LBB25_6200:
	s_and_not1_saveexec_b32 s74, s74
	s_cbranch_execz .LBB25_6208
; %bb.6201:
	v_and_b32_e32 v1, 0x7fffffff, v130
	v_mov_b32_e32 v4, 0x80
	s_mov_b32 s75, exec_lo
	s_delay_alu instid0(VALU_DEP_2)
	v_cmpx_gt_u32_e32 0x43800000, v1
	s_cbranch_execz .LBB25_6207
; %bb.6202:
	v_cmp_lt_u32_e32 vcc_lo, 0x3bffffff, v1
	s_mov_b32 s76, 0
                                        ; implicit-def: $vgpr1
	s_and_saveexec_b32 s77, vcc_lo
	s_delay_alu instid0(SALU_CYCLE_1)
	s_xor_b32 s77, exec_lo, s77
	s_cbranch_execnz .LBB25_7955
; %bb.6203:
	s_and_not1_saveexec_b32 s77, s77
	s_cbranch_execnz .LBB25_7956
.LBB25_6204:
	s_or_b32 exec_lo, exec_lo, s77
	v_mov_b32_e32 v4, 0
	s_and_saveexec_b32 s77, s76
.LBB25_6205:
	v_lshrrev_b32_e32 v4, 24, v130
	s_delay_alu instid0(VALU_DEP_1)
	v_and_or_b32 v4, 0x80, v4, v1
.LBB25_6206:
	s_or_b32 exec_lo, exec_lo, s77
.LBB25_6207:
	s_delay_alu instid0(SALU_CYCLE_1)
	s_or_b32 exec_lo, exec_lo, s75
	flat_store_b8 v[2:3], v4
.LBB25_6208:
	s_wait_xcnt 0x0
	s_or_b32 exec_lo, exec_lo, s74
	s_delay_alu instid0(SALU_CYCLE_1)
	s_or_b32 s0, s0, exec_lo
.LBB25_6209:
	s_or_b32 exec_lo, exec_lo, s63
	s_delay_alu instid0(SALU_CYCLE_1)
	s_and_not1_b32 s63, s47, exec_lo
	s_and_b32 s73, s73, exec_lo
	s_and_b32 s0, s0, exec_lo
	s_or_b32 s63, s63, s73
                                        ; implicit-def: $vgpr1
                                        ; implicit-def: $vgpr130
                                        ; implicit-def: $vgpr2_vgpr3
.LBB25_6210:
	s_and_not1_saveexec_b32 s72, s72
	s_cbranch_execz .LBB25_6254
; %bb.6211:
	s_mov_b32 s74, s0
	s_mov_b32 s73, exec_lo
	v_cmpx_lt_i16_e32 22, v1
	s_xor_b32 s73, exec_lo, s73
	s_cbranch_execz .LBB25_6243
; %bb.6212:
	s_mov_b32 s74, exec_lo
	v_cmpx_lt_i16_e32 23, v1
	s_xor_b32 s74, exec_lo, s74
	s_cbranch_execz .LBB25_6232
; %bb.6213:
	;; [unrolled: 5-line block ×3, first 2 shown]
	v_and_b32_e32 v1, 0x7fffffff, v130
	v_mov_b32_e32 v4, 0x80
	s_mov_b32 s76, exec_lo
	s_delay_alu instid0(VALU_DEP_2)
	v_cmpx_gt_u32_e32 0x47800000, v1
	s_cbranch_execz .LBB25_6220
; %bb.6215:
	v_cmp_lt_u32_e32 vcc_lo, 0x37ffffff, v1
	s_mov_b32 s77, 0
                                        ; implicit-def: $vgpr1
	s_and_saveexec_b32 s78, vcc_lo
	s_delay_alu instid0(SALU_CYCLE_1)
	s_xor_b32 s78, exec_lo, s78
	s_cbranch_execnz .LBB25_7957
; %bb.6216:
	s_and_not1_saveexec_b32 s78, s78
	s_cbranch_execnz .LBB25_7958
.LBB25_6217:
	s_or_b32 exec_lo, exec_lo, s78
	v_mov_b32_e32 v4, 0
	s_and_saveexec_b32 s78, s77
.LBB25_6218:
	v_lshrrev_b32_e32 v4, 24, v130
	s_delay_alu instid0(VALU_DEP_1)
	v_and_or_b32 v4, 0x80, v4, v1
.LBB25_6219:
	s_or_b32 exec_lo, exec_lo, s78
.LBB25_6220:
	s_delay_alu instid0(SALU_CYCLE_1)
	s_or_b32 exec_lo, exec_lo, s76
	flat_store_b8 v[2:3], v4
                                        ; implicit-def: $vgpr130
                                        ; implicit-def: $vgpr2_vgpr3
.LBB25_6221:
	s_wait_xcnt 0x0
	s_and_not1_saveexec_b32 s75, s75
	s_cbranch_execz .LBB25_6231
; %bb.6222:
	v_and_b32_e32 v4, 0x7fffffff, v130
	s_mov_b32 s76, exec_lo
                                        ; implicit-def: $vgpr1
	s_delay_alu instid0(VALU_DEP_1)
	v_cmpx_gt_u32_e32 0x43f00000, v4
	s_xor_b32 s76, exec_lo, s76
	s_cbranch_execz .LBB25_6228
; %bb.6223:
	s_mov_b32 s77, exec_lo
                                        ; implicit-def: $vgpr1
	v_cmpx_lt_u32_e32 0x3c7fffff, v4
	s_xor_b32 s77, exec_lo, s77
; %bb.6224:
	v_bfe_u32 v1, v130, 20, 1
	s_delay_alu instid0(VALU_DEP_1) | instskip(NEXT) | instid1(VALU_DEP_1)
	v_add3_u32 v1, v130, v1, 0x407ffff
	v_and_b32_e32 v4, 0xff00000, v1
	v_lshrrev_b32_e32 v1, 20, v1
	s_delay_alu instid0(VALU_DEP_2) | instskip(NEXT) | instid1(VALU_DEP_2)
	v_cmp_ne_u32_e32 vcc_lo, 0x7f00000, v4
	v_cndmask_b32_e32 v1, 0x7e, v1, vcc_lo
; %bb.6225:
	s_and_not1_saveexec_b32 s77, s77
; %bb.6226:
	v_add_f32_e64 v1, 0x46800000, |v130|
; %bb.6227:
	s_or_b32 exec_lo, exec_lo, s77
                                        ; implicit-def: $vgpr4
.LBB25_6228:
	s_and_not1_saveexec_b32 s76, s76
; %bb.6229:
	v_mov_b32_e32 v1, 0x7f
	v_cmp_lt_u32_e32 vcc_lo, 0x7f800000, v4
	s_delay_alu instid0(VALU_DEP_2)
	v_cndmask_b32_e32 v1, 0x7e, v1, vcc_lo
; %bb.6230:
	s_or_b32 exec_lo, exec_lo, s76
	v_lshrrev_b32_e32 v4, 24, v130
	s_delay_alu instid0(VALU_DEP_1)
	v_and_or_b32 v1, 0x80, v4, v1
	flat_store_b8 v[2:3], v1
.LBB25_6231:
	s_wait_xcnt 0x0
	s_or_b32 exec_lo, exec_lo, s75
                                        ; implicit-def: $vgpr130
                                        ; implicit-def: $vgpr2_vgpr3
.LBB25_6232:
	s_and_not1_saveexec_b32 s74, s74
	s_cbranch_execz .LBB25_6242
; %bb.6233:
	v_and_b32_e32 v4, 0x7fffffff, v130
	s_mov_b32 s75, exec_lo
                                        ; implicit-def: $vgpr1
	s_delay_alu instid0(VALU_DEP_1)
	v_cmpx_gt_u32_e32 0x47800000, v4
	s_xor_b32 s75, exec_lo, s75
	s_cbranch_execz .LBB25_6239
; %bb.6234:
	s_mov_b32 s76, exec_lo
                                        ; implicit-def: $vgpr1
	v_cmpx_lt_u32_e32 0x387fffff, v4
	s_xor_b32 s76, exec_lo, s76
; %bb.6235:
	v_bfe_u32 v1, v130, 21, 1
	s_delay_alu instid0(VALU_DEP_1) | instskip(NEXT) | instid1(VALU_DEP_1)
	v_add3_u32 v1, v130, v1, 0x80fffff
	v_lshrrev_b32_e32 v1, 21, v1
; %bb.6236:
	s_and_not1_saveexec_b32 s76, s76
; %bb.6237:
	v_add_f32_e64 v1, 0x43000000, |v130|
; %bb.6238:
	s_or_b32 exec_lo, exec_lo, s76
                                        ; implicit-def: $vgpr4
.LBB25_6239:
	s_and_not1_saveexec_b32 s75, s75
; %bb.6240:
	v_mov_b32_e32 v1, 0x7f
	v_cmp_lt_u32_e32 vcc_lo, 0x7f800000, v4
	s_delay_alu instid0(VALU_DEP_2)
	v_cndmask_b32_e32 v1, 0x7c, v1, vcc_lo
; %bb.6241:
	s_or_b32 exec_lo, exec_lo, s75
	v_lshrrev_b32_e32 v4, 24, v130
	s_delay_alu instid0(VALU_DEP_1)
	v_and_or_b32 v1, 0x80, v4, v1
	flat_store_b8 v[2:3], v1
.LBB25_6242:
	s_wait_xcnt 0x0
	s_or_b32 exec_lo, exec_lo, s74
	s_delay_alu instid0(SALU_CYCLE_1)
	s_or_b32 s74, s0, exec_lo
                                        ; implicit-def: $vgpr1
                                        ; implicit-def: $vgpr130
                                        ; implicit-def: $vgpr2_vgpr3
.LBB25_6243:
	s_or_saveexec_b32 s73, s73
	s_mov_b32 s75, s63
	s_xor_b32 exec_lo, exec_lo, s73
	s_cbranch_execz .LBB25_6253
; %bb.6244:
	s_mov_b32 s75, s74
	s_mov_b32 s76, s63
	s_mov_b32 s77, exec_lo
	v_cmpx_lt_i16_e32 14, v1
	s_xor_b32 s77, exec_lo, s77
	s_cbranch_execz .LBB25_6248
; %bb.6245:
	s_mov_b32 s78, -1
	s_mov_b32 s75, s74
	s_mov_b32 s76, exec_lo
	v_cmpx_eq_u16_e32 15, v1
	s_cbranch_execz .LBB25_6247
; %bb.6246:
	v_bfe_u32 v1, v130, 16, 1
	v_cmp_o_f32_e32 vcc_lo, v130, v130
	s_xor_b32 s78, exec_lo, -1
	s_or_b32 s75, s74, exec_lo
	s_delay_alu instid0(VALU_DEP_2) | instskip(NEXT) | instid1(VALU_DEP_1)
	v_add3_u32 v1, v130, v1, 0x7fff
	v_lshrrev_b32_e32 v1, 16, v1
	s_delay_alu instid0(VALU_DEP_1)
	v_cndmask_b32_e32 v1, 0x7fc0, v1, vcc_lo
	flat_store_b16 v[2:3], v1
.LBB25_6247:
	s_wait_xcnt 0x0
	s_or_b32 exec_lo, exec_lo, s76
	s_delay_alu instid0(SALU_CYCLE_1)
	s_and_not1_b32 s76, s63, exec_lo
	s_and_b32 s78, s78, exec_lo
	s_and_not1_b32 s79, s74, exec_lo
	s_and_b32 s75, s75, exec_lo
	s_or_b32 s76, s76, s78
	s_or_b32 s75, s79, s75
                                        ; implicit-def: $vgpr1
                                        ; implicit-def: $vgpr130
                                        ; implicit-def: $vgpr2_vgpr3
.LBB25_6248:
	s_and_not1_saveexec_b32 s77, s77
	s_cbranch_execz .LBB25_6252
; %bb.6249:
	s_mov_b32 s79, -1
	s_mov_b32 s78, s75
	s_mov_b32 s88, exec_lo
	v_cmpx_eq_u16_e32 11, v1
	s_cbranch_execz .LBB25_6251
; %bb.6250:
	v_cmp_neq_f32_e32 vcc_lo, 0, v130
	s_xor_b32 s79, exec_lo, -1
	s_or_b32 s78, s75, exec_lo
	v_cndmask_b32_e64 v1, 0, 1, vcc_lo
	flat_store_b8 v[2:3], v1
.LBB25_6251:
	s_wait_xcnt 0x0
	s_or_b32 exec_lo, exec_lo, s88
	s_delay_alu instid0(SALU_CYCLE_1)
	s_and_not1_b32 s76, s76, exec_lo
	s_and_b32 s79, s79, exec_lo
	s_and_not1_b32 s75, s75, exec_lo
	s_and_b32 s78, s78, exec_lo
	s_or_b32 s76, s76, s79
	s_or_b32 s75, s75, s78
.LBB25_6252:
	s_or_b32 exec_lo, exec_lo, s77
	s_delay_alu instid0(SALU_CYCLE_1)
	s_and_not1_b32 s77, s63, exec_lo
	s_and_b32 s76, s76, exec_lo
	s_and_not1_b32 s74, s74, exec_lo
	s_and_b32 s78, s75, exec_lo
	s_or_b32 s75, s77, s76
	s_or_b32 s74, s74, s78
.LBB25_6253:
	s_or_b32 exec_lo, exec_lo, s73
	s_delay_alu instid0(SALU_CYCLE_1)
	s_and_not1_b32 s63, s63, exec_lo
	s_and_b32 s73, s75, exec_lo
	s_and_not1_b32 s0, s0, exec_lo
	s_and_b32 s74, s74, exec_lo
	s_or_b32 s63, s63, s73
	s_or_b32 s0, s0, s74
.LBB25_6254:
	s_or_b32 exec_lo, exec_lo, s72
	s_delay_alu instid0(SALU_CYCLE_1)
	s_and_not1_b32 s72, s47, exec_lo
	s_and_b32 s63, s63, exec_lo
	s_and_b32 s0, s0, exec_lo
	s_or_b32 s63, s72, s63
                                        ; implicit-def: $vgpr1
                                        ; implicit-def: $vgpr130
                                        ; implicit-def: $vgpr2_vgpr3
.LBB25_6255:
	s_and_not1_saveexec_b32 s57, s57
	s_cbranch_execz .LBB25_6297
; %bb.6256:
	s_mov_b32 s72, exec_lo
	v_cmpx_lt_i16_e32 4, v1
	s_xor_b32 s72, exec_lo, s72
	s_cbranch_execz .LBB25_6278
; %bb.6257:
	s_mov_b32 s73, exec_lo
	v_cmpx_lt_i16_e32 7, v1
	s_xor_b32 s73, exec_lo, s73
	;; [unrolled: 5-line block ×4, first 2 shown]
	s_cbranch_execz .LBB25_6261
; %bb.6260:
	v_cvt_f64_f32_e32 v[4:5], v130
	v_mov_b32_e32 v6, 0
                                        ; implicit-def: $vgpr130
	s_delay_alu instid0(VALU_DEP_1)
	v_mov_b32_e32 v7, v6
	flat_store_b128 v[2:3], v[4:7]
                                        ; implicit-def: $vgpr2_vgpr3
.LBB25_6261:
	s_wait_xcnt 0x0
	s_and_not1_saveexec_b32 s75, s75
	s_cbranch_execz .LBB25_6263
; %bb.6262:
	v_mov_b32_e32 v131, 0
	flat_store_b64 v[2:3], v[130:131]
.LBB25_6263:
	s_wait_xcnt 0x0
	s_or_b32 exec_lo, exec_lo, s75
                                        ; implicit-def: $vgpr130
                                        ; implicit-def: $vgpr2_vgpr3
.LBB25_6264:
	s_and_not1_saveexec_b32 s74, s74
	s_cbranch_execz .LBB25_6266
; %bb.6265:
	v_cvt_f16_f32_e64 v1, v130
	s_delay_alu instid0(VALU_DEP_1)
	v_and_b32_e32 v1, 0xffff, v1
	flat_store_b32 v[2:3], v1
.LBB25_6266:
	s_wait_xcnt 0x0
	s_or_b32 exec_lo, exec_lo, s74
                                        ; implicit-def: $vgpr130
                                        ; implicit-def: $vgpr2_vgpr3
                                        ; implicit-def: $vgpr1
.LBB25_6267:
	s_and_not1_saveexec_b32 s73, s73
	s_cbranch_execz .LBB25_6277
; %bb.6268:
	s_mov_b32 s74, exec_lo
	v_cmpx_lt_i16_e32 5, v1
	s_xor_b32 s74, exec_lo, s74
	s_cbranch_execz .LBB25_6274
; %bb.6269:
	s_mov_b32 s75, exec_lo
	v_cmpx_lt_i16_e32 6, v1
	s_xor_b32 s75, exec_lo, s75
	s_cbranch_execz .LBB25_6271
; %bb.6270:
	v_cvt_f64_f32_e32 v[4:5], v130
                                        ; implicit-def: $vgpr130
	flat_store_b64 v[2:3], v[4:5]
                                        ; implicit-def: $vgpr2_vgpr3
.LBB25_6271:
	s_wait_xcnt 0x0
	s_and_not1_saveexec_b32 s75, s75
	s_cbranch_execz .LBB25_6273
; %bb.6272:
	flat_store_b32 v[2:3], v130
.LBB25_6273:
	s_wait_xcnt 0x0
	s_or_b32 exec_lo, exec_lo, s75
                                        ; implicit-def: $vgpr130
                                        ; implicit-def: $vgpr2_vgpr3
.LBB25_6274:
	s_and_not1_saveexec_b32 s74, s74
	s_cbranch_execz .LBB25_6276
; %bb.6275:
	v_cvt_f16_f32_e64 v1, v130
	flat_store_b16 v[2:3], v1
.LBB25_6276:
	s_wait_xcnt 0x0
	s_or_b32 exec_lo, exec_lo, s74
.LBB25_6277:
	s_delay_alu instid0(SALU_CYCLE_1)
	s_or_b32 exec_lo, exec_lo, s73
                                        ; implicit-def: $vgpr1
                                        ; implicit-def: $vgpr130
                                        ; implicit-def: $vgpr2_vgpr3
.LBB25_6278:
	s_and_not1_saveexec_b32 s72, s72
	s_cbranch_execz .LBB25_6296
; %bb.6279:
	s_mov_b32 s73, exec_lo
	v_cmpx_lt_i16_e32 1, v1
	s_xor_b32 s73, exec_lo, s73
	s_cbranch_execz .LBB25_6289
; %bb.6280:
	s_mov_b32 s74, exec_lo
	v_cmpx_lt_i16_e32 2, v1
	s_xor_b32 s74, exec_lo, s74
	;; [unrolled: 5-line block ×3, first 2 shown]
	s_cbranch_execz .LBB25_6283
; %bb.6282:
	v_trunc_f32_e32 v1, v130
                                        ; implicit-def: $vgpr130
	s_delay_alu instid0(VALU_DEP_1) | instskip(NEXT) | instid1(VALU_DEP_1)
	v_mul_f32_e64 v4, 0x2f800000, |v1|
	v_floor_f32_e32 v5, v4
	v_ashrrev_i32_e32 v4, 31, v1
	s_delay_alu instid0(VALU_DEP_2) | instskip(SKIP_1) | instid1(VALU_DEP_3)
	v_fma_f32 v6, 0xcf800000, v5, |v1|
	v_cvt_u32_f32_e32 v1, v5
	v_mov_b32_e32 v5, v4
	s_delay_alu instid0(VALU_DEP_3) | instskip(NEXT) | instid1(VALU_DEP_3)
	v_cvt_u32_f32_e32 v6, v6
	v_xor_b32_e32 v7, v1, v4
	s_delay_alu instid0(VALU_DEP_2) | instskip(NEXT) | instid1(VALU_DEP_1)
	v_xor_b32_e32 v6, v6, v4
	v_sub_nc_u64_e32 v[4:5], v[6:7], v[4:5]
	flat_store_b64 v[2:3], v[4:5]
                                        ; implicit-def: $vgpr2_vgpr3
.LBB25_6283:
	s_wait_xcnt 0x0
	s_and_not1_saveexec_b32 s75, s75
	s_cbranch_execz .LBB25_6285
; %bb.6284:
	v_cvt_i32_f32_e32 v1, v130
	flat_store_b32 v[2:3], v1
.LBB25_6285:
	s_wait_xcnt 0x0
	s_or_b32 exec_lo, exec_lo, s75
                                        ; implicit-def: $vgpr130
                                        ; implicit-def: $vgpr2_vgpr3
.LBB25_6286:
	s_and_not1_saveexec_b32 s74, s74
	s_cbranch_execz .LBB25_6288
; %bb.6287:
	v_cvt_i32_f32_e32 v1, v130
	flat_store_b16 v[2:3], v1
.LBB25_6288:
	s_wait_xcnt 0x0
	s_or_b32 exec_lo, exec_lo, s74
                                        ; implicit-def: $vgpr130
                                        ; implicit-def: $vgpr2_vgpr3
                                        ; implicit-def: $vgpr1
.LBB25_6289:
	s_and_not1_saveexec_b32 s73, s73
	s_cbranch_execz .LBB25_6295
; %bb.6290:
	s_mov_b32 s74, exec_lo
	v_cmpx_lt_i16_e32 0, v1
	s_xor_b32 s74, exec_lo, s74
	s_cbranch_execz .LBB25_6292
; %bb.6291:
	v_cvt_i32_f32_e32 v1, v130
                                        ; implicit-def: $vgpr130
	flat_store_b8 v[2:3], v1
                                        ; implicit-def: $vgpr2_vgpr3
.LBB25_6292:
	s_wait_xcnt 0x0
	s_and_not1_saveexec_b32 s74, s74
	s_cbranch_execz .LBB25_6294
; %bb.6293:
	v_trunc_f32_e32 v1, v130
	s_delay_alu instid0(VALU_DEP_1) | instskip(NEXT) | instid1(VALU_DEP_1)
	v_mul_f32_e64 v4, 0x2f800000, |v1|
	v_floor_f32_e32 v4, v4
	s_delay_alu instid0(VALU_DEP_1) | instskip(SKIP_1) | instid1(VALU_DEP_2)
	v_fma_f32 v4, 0xcf800000, v4, |v1|
	v_ashrrev_i32_e32 v1, 31, v1
	v_cvt_u32_f32_e32 v4, v4
	s_delay_alu instid0(VALU_DEP_1) | instskip(NEXT) | instid1(VALU_DEP_1)
	v_xor_b32_e32 v4, v4, v1
	v_sub_nc_u32_e32 v1, v4, v1
	flat_store_b8 v[2:3], v1
.LBB25_6294:
	s_wait_xcnt 0x0
	s_or_b32 exec_lo, exec_lo, s74
.LBB25_6295:
	s_delay_alu instid0(SALU_CYCLE_1)
	s_or_b32 exec_lo, exec_lo, s73
.LBB25_6296:
	s_delay_alu instid0(SALU_CYCLE_1) | instskip(NEXT) | instid1(SALU_CYCLE_1)
	s_or_b32 exec_lo, exec_lo, s72
	s_or_b32 s0, s0, exec_lo
.LBB25_6297:
	s_or_b32 exec_lo, exec_lo, s57
	s_mov_b32 s72, 0
	s_mov_b32 s57, 0
	s_and_saveexec_b32 s73, s0
; %bb.6298:
	v_add_nc_u32_e32 v209, 0x200, v209
	s_mov_b32 s72, exec_lo
	s_delay_alu instid0(VALU_DEP_1)
	v_cmp_lt_i32_e32 vcc_lo, v209, v211
	s_and_b32 s57, vcc_lo, exec_lo
; %bb.6299:
	s_or_b32 exec_lo, exec_lo, s73
	s_delay_alu instid0(SALU_CYCLE_1)
	s_and_not1_b32 s73, s47, exec_lo
	s_and_b32 s63, s63, exec_lo
	s_and_b32 s0, s57, exec_lo
	s_or_b32 s57, s73, s63
	s_or_not1_b32 s72, s72, exec_lo
.LBB25_6300:
	s_or_b32 exec_lo, exec_lo, s58
	s_mov_b32 s63, 0
	s_mov_b32 s73, 0
                                        ; implicit-def: $vgpr4
                                        ; implicit-def: $vgpr2_vgpr3
	s_and_saveexec_b32 s58, s72
	s_cbranch_execz .LBB25_7812
; %bb.6301:
	s_mov_b32 s74, -1
	s_mov_b32 s72, 0
	s_mov_b32 s59, s57
	;; [unrolled: 1-line block ×3, first 2 shown]
	s_and_saveexec_b32 s63, s0
	s_cbranch_execz .LBB25_6429
; %bb.6302:
	v_dual_add_nc_u32 v1, s60, v209 :: v_dual_mov_b32 v3, 0
	s_mov_b32 s0, 0
	s_mov_b32 s73, s57
	s_mov_b32 s59, exec_lo
	s_delay_alu instid0(VALU_DEP_1) | instskip(SKIP_1) | instid1(VALU_DEP_2)
	v_mul_lo_u32 v2, v1, v210
	v_and_b32_e32 v1, 0xff, v85
	v_add_nc_u64_e32 v[2:3], v[212:213], v[2:3]
	s_delay_alu instid0(VALU_DEP_2)
	v_cmpx_lt_i16_e32 10, v1
	s_xor_b32 s59, exec_lo, s59
	s_cbranch_execz .LBB25_6384
; %bb.6303:
	s_mov_b32 s73, s57
	s_mov_b32 s74, exec_lo
	v_cmpx_lt_i16_e32 25, v1
	s_xor_b32 s74, exec_lo, s74
	s_cbranch_execz .LBB25_6339
; %bb.6304:
	s_mov_b32 s75, s57
	s_mov_b32 s73, exec_lo
	;; [unrolled: 6-line block ×3, first 2 shown]
	v_cmpx_lt_i16_e32 43, v1
	s_xor_b32 s75, exec_lo, s75
	s_cbranch_execz .LBB25_6317
; %bb.6306:
	s_mov_b32 s76, 0
	s_mov_b32 s77, s57
	s_mov_b32 s0, exec_lo
	v_cmpx_lt_i16_e32 45, v1
	s_xor_b32 s0, exec_lo, s0
	s_cbranch_execz .LBB25_6310
; %bb.6307:
	s_mov_b32 s78, -1
	s_mov_b32 s77, exec_lo
	v_cmpx_eq_u16_e32 46, v1
	s_cbranch_execz .LBB25_6309
; %bb.6308:
	v_bfe_u32 v1, v128, 16, 1
	v_cmp_o_f32_e32 vcc_lo, v128, v128
	s_mov_b32 s76, exec_lo
	s_xor_b32 s78, exec_lo, -1
	s_delay_alu instid0(VALU_DEP_2) | instskip(NEXT) | instid1(VALU_DEP_1)
	v_add3_u32 v1, v128, v1, 0x7fff
	v_lshrrev_b32_e32 v1, 16, v1
	s_delay_alu instid0(VALU_DEP_1)
	v_cndmask_b32_e32 v1, 0x7fc0, v1, vcc_lo
	flat_store_b32 v[2:3], v1
.LBB25_6309:
	s_wait_xcnt 0x0
	s_or_b32 exec_lo, exec_lo, s77
	s_delay_alu instid0(SALU_CYCLE_1)
	s_and_not1_b32 s77, s57, exec_lo
	s_and_b32 s78, s78, exec_lo
	s_and_b32 s76, s76, exec_lo
	s_or_b32 s77, s77, s78
                                        ; implicit-def: $vgpr1
                                        ; implicit-def: $vgpr2_vgpr3
                                        ; implicit-def: $vgpr128
.LBB25_6310:
	s_and_not1_saveexec_b32 s78, s0
	s_cbranch_execz .LBB25_6316
; %bb.6311:
	s_mov_b32 s88, -1
	s_mov_b32 s0, s76
	s_mov_b32 s79, exec_lo
	v_cmpx_eq_u16_e32 44, v1
	s_cbranch_execz .LBB25_6315
; %bb.6312:
	v_bfe_u32 v4, v128, 23, 8
	v_mov_b32_e32 v1, 0xff
	s_mov_b32 s88, exec_lo
	s_delay_alu instid0(VALU_DEP_2)
	v_cmpx_ne_u32_e32 0xff, v4
	s_cbranch_execz .LBB25_6314
; %bb.6313:
	v_and_b32_e32 v1, 0x400000, v128
	v_and_or_b32 v4, 0x3fffff, v128, v4
	s_delay_alu instid0(VALU_DEP_2) | instskip(NEXT) | instid1(VALU_DEP_2)
	v_cmp_ne_u32_e32 vcc_lo, 0, v1
	v_cmp_ne_u32_e64 s0, 0, v4
	v_lshrrev_b32_e32 v1, 23, v128
	s_and_b32 s0, vcc_lo, s0
	s_delay_alu instid0(SALU_CYCLE_1) | instskip(NEXT) | instid1(VALU_DEP_1)
	v_cndmask_b32_e64 v4, 0, 1, s0
	v_add_nc_u32_e32 v1, v1, v4
.LBB25_6314:
	s_or_b32 exec_lo, exec_lo, s88
	s_delay_alu instid0(SALU_CYCLE_1)
	s_xor_b32 s88, exec_lo, -1
	s_or_b32 s0, s76, exec_lo
	flat_store_b8 v[2:3], v1
.LBB25_6315:
	s_wait_xcnt 0x0
	s_or_b32 exec_lo, exec_lo, s79
	s_delay_alu instid0(SALU_CYCLE_1)
	s_and_not1_b32 s77, s77, exec_lo
	s_and_b32 s79, s88, exec_lo
	s_and_not1_b32 s76, s76, exec_lo
	s_and_b32 s0, s0, exec_lo
	s_or_b32 s77, s77, s79
	s_or_b32 s76, s76, s0
.LBB25_6316:
	s_or_b32 exec_lo, exec_lo, s78
	s_delay_alu instid0(SALU_CYCLE_1) | instskip(SKIP_1) | instid1(SALU_CYCLE_1)
	s_and_not1_b32 s0, s57, exec_lo
	s_and_b32 s77, s77, exec_lo
                                        ; implicit-def: $vgpr1
                                        ; implicit-def: $vgpr128
                                        ; implicit-def: $vgpr2_vgpr3
	s_or_b32 s77, s0, s77
	s_and_b32 s0, s76, exec_lo
.LBB25_6317:
	s_and_not1_saveexec_b32 s75, s75
	s_cbranch_execz .LBB25_6321
; %bb.6318:
	s_mov_b32 s79, -1
	s_mov_b32 s78, s0
	s_mov_b32 s76, exec_lo
	v_cmpx_eq_u16_e32 29, v1
	s_cbranch_execz .LBB25_6320
; %bb.6319:
	v_trunc_f32_e32 v1, v128
	s_xor_b32 s79, exec_lo, -1
	s_or_b32 s78, s0, exec_lo
	s_delay_alu instid0(VALU_DEP_1) | instskip(NEXT) | instid1(VALU_DEP_1)
	v_mul_f32_e32 v4, 0x2f800000, v1
	v_floor_f32_e32 v4, v4
	s_delay_alu instid0(VALU_DEP_1) | instskip(SKIP_1) | instid1(VALU_DEP_2)
	v_fmamk_f32 v1, v4, 0xcf800000, v1
	v_cvt_u32_f32_e32 v5, v4
	v_cvt_u32_f32_e32 v4, v1
	flat_store_b64 v[2:3], v[4:5]
.LBB25_6320:
	s_wait_xcnt 0x0
	s_or_b32 exec_lo, exec_lo, s76
	s_delay_alu instid0(SALU_CYCLE_1)
	s_and_not1_b32 s76, s77, exec_lo
	s_and_b32 s77, s79, exec_lo
	s_and_not1_b32 s0, s0, exec_lo
	s_and_b32 s78, s78, exec_lo
	s_or_b32 s77, s76, s77
	s_or_b32 s0, s0, s78
.LBB25_6321:
	s_or_b32 exec_lo, exec_lo, s75
	s_delay_alu instid0(SALU_CYCLE_1)
	s_and_not1_b32 s75, s57, exec_lo
	s_and_b32 s76, s77, exec_lo
	s_and_b32 s0, s0, exec_lo
	s_or_b32 s75, s75, s76
                                        ; implicit-def: $vgpr2_vgpr3
                                        ; implicit-def: $vgpr1
                                        ; implicit-def: $vgpr128
.LBB25_6322:
	s_and_not1_saveexec_b32 s73, s73
	s_cbranch_execz .LBB25_6338
; %bb.6323:
	s_mov_b32 s76, exec_lo
	v_cmpx_lt_i16_e32 26, v1
	s_xor_b32 s76, exec_lo, s76
	s_cbranch_execz .LBB25_6329
; %bb.6324:
	v_cmp_lt_i16_e32 vcc_lo, 27, v1
	v_cvt_u32_f32_e32 v1, v128
	s_and_saveexec_b32 s77, vcc_lo
	s_delay_alu instid0(SALU_CYCLE_1)
	s_xor_b32 s77, exec_lo, s77
	s_cbranch_execz .LBB25_6326
; %bb.6325:
	flat_store_b32 v[2:3], v1
                                        ; implicit-def: $vgpr2_vgpr3
                                        ; implicit-def: $vgpr1
.LBB25_6326:
	s_wait_xcnt 0x0
	s_and_not1_saveexec_b32 s77, s77
	s_cbranch_execz .LBB25_6328
; %bb.6327:
	flat_store_b16 v[2:3], v1
.LBB25_6328:
	s_wait_xcnt 0x0
	s_or_b32 exec_lo, exec_lo, s77
                                        ; implicit-def: $vgpr2_vgpr3
                                        ; implicit-def: $vgpr128
.LBB25_6329:
	s_and_not1_saveexec_b32 s76, s76
	s_cbranch_execz .LBB25_6337
; %bb.6330:
	v_and_b32_e32 v1, 0x7fffffff, v128
	v_mov_b32_e32 v4, 0x80
	s_mov_b32 s77, exec_lo
	s_delay_alu instid0(VALU_DEP_2)
	v_cmpx_gt_u32_e32 0x43800000, v1
	s_cbranch_execz .LBB25_6336
; %bb.6331:
	v_cmp_lt_u32_e32 vcc_lo, 0x3bffffff, v1
	s_mov_b32 s78, 0
                                        ; implicit-def: $vgpr1
	s_and_saveexec_b32 s79, vcc_lo
	s_delay_alu instid0(SALU_CYCLE_1)
	s_xor_b32 s79, exec_lo, s79
	s_cbranch_execnz .LBB25_7959
; %bb.6332:
	s_and_not1_saveexec_b32 s79, s79
	s_cbranch_execnz .LBB25_7960
.LBB25_6333:
	s_or_b32 exec_lo, exec_lo, s79
	v_mov_b32_e32 v4, 0
	s_and_saveexec_b32 s79, s78
.LBB25_6334:
	v_lshrrev_b32_e32 v4, 24, v128
	s_delay_alu instid0(VALU_DEP_1)
	v_and_or_b32 v4, 0x80, v4, v1
.LBB25_6335:
	s_or_b32 exec_lo, exec_lo, s79
.LBB25_6336:
	s_delay_alu instid0(SALU_CYCLE_1)
	s_or_b32 exec_lo, exec_lo, s77
	flat_store_b8 v[2:3], v4
.LBB25_6337:
	s_wait_xcnt 0x0
	s_or_b32 exec_lo, exec_lo, s76
	s_delay_alu instid0(SALU_CYCLE_1)
	s_or_b32 s0, s0, exec_lo
.LBB25_6338:
	s_or_b32 exec_lo, exec_lo, s73
	s_delay_alu instid0(SALU_CYCLE_1)
	s_and_not1_b32 s73, s57, exec_lo
	s_and_b32 s75, s75, exec_lo
	s_and_b32 s0, s0, exec_lo
	s_or_b32 s73, s73, s75
                                        ; implicit-def: $vgpr1
                                        ; implicit-def: $vgpr128
                                        ; implicit-def: $vgpr2_vgpr3
.LBB25_6339:
	s_and_not1_saveexec_b32 s74, s74
	s_cbranch_execz .LBB25_6383
; %bb.6340:
	s_mov_b32 s76, s0
	s_mov_b32 s75, exec_lo
	v_cmpx_lt_i16_e32 22, v1
	s_xor_b32 s75, exec_lo, s75
	s_cbranch_execz .LBB25_6372
; %bb.6341:
	s_mov_b32 s76, exec_lo
	v_cmpx_lt_i16_e32 23, v1
	s_xor_b32 s76, exec_lo, s76
	s_cbranch_execz .LBB25_6361
; %bb.6342:
	s_mov_b32 s77, exec_lo
	v_cmpx_lt_i16_e32 24, v1
	s_xor_b32 s77, exec_lo, s77
	s_cbranch_execz .LBB25_6350
; %bb.6343:
	v_and_b32_e32 v1, 0x7fffffff, v128
	v_mov_b32_e32 v4, 0x80
	s_mov_b32 s78, exec_lo
	s_delay_alu instid0(VALU_DEP_2)
	v_cmpx_gt_u32_e32 0x47800000, v1
	s_cbranch_execz .LBB25_6349
; %bb.6344:
	v_cmp_lt_u32_e32 vcc_lo, 0x37ffffff, v1
	s_mov_b32 s79, 0
                                        ; implicit-def: $vgpr1
	s_and_saveexec_b32 s88, vcc_lo
	s_delay_alu instid0(SALU_CYCLE_1)
	s_xor_b32 s88, exec_lo, s88
	s_cbranch_execnz .LBB25_7961
; %bb.6345:
	s_and_not1_saveexec_b32 s88, s88
	s_cbranch_execnz .LBB25_7962
.LBB25_6346:
	s_or_b32 exec_lo, exec_lo, s88
	v_mov_b32_e32 v4, 0
	s_and_saveexec_b32 s88, s79
.LBB25_6347:
	v_lshrrev_b32_e32 v4, 24, v128
	s_delay_alu instid0(VALU_DEP_1)
	v_and_or_b32 v4, 0x80, v4, v1
.LBB25_6348:
	s_or_b32 exec_lo, exec_lo, s88
.LBB25_6349:
	s_delay_alu instid0(SALU_CYCLE_1)
	s_or_b32 exec_lo, exec_lo, s78
	flat_store_b8 v[2:3], v4
                                        ; implicit-def: $vgpr128
                                        ; implicit-def: $vgpr2_vgpr3
.LBB25_6350:
	s_wait_xcnt 0x0
	s_and_not1_saveexec_b32 s77, s77
	s_cbranch_execz .LBB25_6360
; %bb.6351:
	v_and_b32_e32 v4, 0x7fffffff, v128
	s_mov_b32 s78, exec_lo
                                        ; implicit-def: $vgpr1
	s_delay_alu instid0(VALU_DEP_1)
	v_cmpx_gt_u32_e32 0x43f00000, v4
	s_xor_b32 s78, exec_lo, s78
	s_cbranch_execz .LBB25_6357
; %bb.6352:
	s_mov_b32 s79, exec_lo
                                        ; implicit-def: $vgpr1
	v_cmpx_lt_u32_e32 0x3c7fffff, v4
	s_xor_b32 s79, exec_lo, s79
; %bb.6353:
	v_bfe_u32 v1, v128, 20, 1
	s_delay_alu instid0(VALU_DEP_1) | instskip(NEXT) | instid1(VALU_DEP_1)
	v_add3_u32 v1, v128, v1, 0x407ffff
	v_and_b32_e32 v4, 0xff00000, v1
	v_lshrrev_b32_e32 v1, 20, v1
	s_delay_alu instid0(VALU_DEP_2) | instskip(NEXT) | instid1(VALU_DEP_2)
	v_cmp_ne_u32_e32 vcc_lo, 0x7f00000, v4
	v_cndmask_b32_e32 v1, 0x7e, v1, vcc_lo
; %bb.6354:
	s_and_not1_saveexec_b32 s79, s79
; %bb.6355:
	v_add_f32_e64 v1, 0x46800000, |v128|
; %bb.6356:
	s_or_b32 exec_lo, exec_lo, s79
                                        ; implicit-def: $vgpr4
.LBB25_6357:
	s_and_not1_saveexec_b32 s78, s78
; %bb.6358:
	v_mov_b32_e32 v1, 0x7f
	v_cmp_lt_u32_e32 vcc_lo, 0x7f800000, v4
	s_delay_alu instid0(VALU_DEP_2)
	v_cndmask_b32_e32 v1, 0x7e, v1, vcc_lo
; %bb.6359:
	s_or_b32 exec_lo, exec_lo, s78
	v_lshrrev_b32_e32 v4, 24, v128
	s_delay_alu instid0(VALU_DEP_1)
	v_and_or_b32 v1, 0x80, v4, v1
	flat_store_b8 v[2:3], v1
.LBB25_6360:
	s_wait_xcnt 0x0
	s_or_b32 exec_lo, exec_lo, s77
                                        ; implicit-def: $vgpr128
                                        ; implicit-def: $vgpr2_vgpr3
.LBB25_6361:
	s_and_not1_saveexec_b32 s76, s76
	s_cbranch_execz .LBB25_6371
; %bb.6362:
	v_and_b32_e32 v4, 0x7fffffff, v128
	s_mov_b32 s77, exec_lo
                                        ; implicit-def: $vgpr1
	s_delay_alu instid0(VALU_DEP_1)
	v_cmpx_gt_u32_e32 0x47800000, v4
	s_xor_b32 s77, exec_lo, s77
	s_cbranch_execz .LBB25_6368
; %bb.6363:
	s_mov_b32 s78, exec_lo
                                        ; implicit-def: $vgpr1
	v_cmpx_lt_u32_e32 0x387fffff, v4
	s_xor_b32 s78, exec_lo, s78
; %bb.6364:
	v_bfe_u32 v1, v128, 21, 1
	s_delay_alu instid0(VALU_DEP_1) | instskip(NEXT) | instid1(VALU_DEP_1)
	v_add3_u32 v1, v128, v1, 0x80fffff
	v_lshrrev_b32_e32 v1, 21, v1
; %bb.6365:
	s_and_not1_saveexec_b32 s78, s78
; %bb.6366:
	v_add_f32_e64 v1, 0x43000000, |v128|
; %bb.6367:
	s_or_b32 exec_lo, exec_lo, s78
                                        ; implicit-def: $vgpr4
.LBB25_6368:
	s_and_not1_saveexec_b32 s77, s77
; %bb.6369:
	v_mov_b32_e32 v1, 0x7f
	v_cmp_lt_u32_e32 vcc_lo, 0x7f800000, v4
	s_delay_alu instid0(VALU_DEP_2)
	v_cndmask_b32_e32 v1, 0x7c, v1, vcc_lo
; %bb.6370:
	s_or_b32 exec_lo, exec_lo, s77
	v_lshrrev_b32_e32 v4, 24, v128
	s_delay_alu instid0(VALU_DEP_1)
	v_and_or_b32 v1, 0x80, v4, v1
	flat_store_b8 v[2:3], v1
.LBB25_6371:
	s_wait_xcnt 0x0
	s_or_b32 exec_lo, exec_lo, s76
	s_delay_alu instid0(SALU_CYCLE_1)
	s_or_b32 s76, s0, exec_lo
                                        ; implicit-def: $vgpr1
                                        ; implicit-def: $vgpr128
                                        ; implicit-def: $vgpr2_vgpr3
.LBB25_6372:
	s_or_saveexec_b32 s75, s75
	s_mov_b32 s77, s73
	s_xor_b32 exec_lo, exec_lo, s75
	s_cbranch_execz .LBB25_6382
; %bb.6373:
	s_mov_b32 s77, s76
	s_mov_b32 s78, s73
	s_mov_b32 s79, exec_lo
	v_cmpx_lt_i16_e32 14, v1
	s_xor_b32 s79, exec_lo, s79
	s_cbranch_execz .LBB25_6377
; %bb.6374:
	s_mov_b32 s88, -1
	s_mov_b32 s77, s76
	s_mov_b32 s78, exec_lo
	v_cmpx_eq_u16_e32 15, v1
	s_cbranch_execz .LBB25_6376
; %bb.6375:
	v_bfe_u32 v1, v128, 16, 1
	v_cmp_o_f32_e32 vcc_lo, v128, v128
	s_xor_b32 s88, exec_lo, -1
	s_or_b32 s77, s76, exec_lo
	s_delay_alu instid0(VALU_DEP_2) | instskip(NEXT) | instid1(VALU_DEP_1)
	v_add3_u32 v1, v128, v1, 0x7fff
	v_lshrrev_b32_e32 v1, 16, v1
	s_delay_alu instid0(VALU_DEP_1)
	v_cndmask_b32_e32 v1, 0x7fc0, v1, vcc_lo
	flat_store_b16 v[2:3], v1
.LBB25_6376:
	s_wait_xcnt 0x0
	s_or_b32 exec_lo, exec_lo, s78
	s_delay_alu instid0(SALU_CYCLE_1)
	s_and_not1_b32 s78, s73, exec_lo
	s_and_b32 s88, s88, exec_lo
	s_and_not1_b32 s89, s76, exec_lo
	s_and_b32 s77, s77, exec_lo
	s_or_b32 s78, s78, s88
	s_or_b32 s77, s89, s77
                                        ; implicit-def: $vgpr1
                                        ; implicit-def: $vgpr128
                                        ; implicit-def: $vgpr2_vgpr3
.LBB25_6377:
	s_and_not1_saveexec_b32 s79, s79
	s_cbranch_execz .LBB25_6381
; %bb.6378:
	s_mov_b32 s89, -1
	s_mov_b32 s88, s77
	s_mov_b32 s90, exec_lo
	v_cmpx_eq_u16_e32 11, v1
	s_cbranch_execz .LBB25_6380
; %bb.6379:
	v_cmp_neq_f32_e32 vcc_lo, 0, v128
	s_xor_b32 s89, exec_lo, -1
	s_or_b32 s88, s77, exec_lo
	v_cndmask_b32_e64 v1, 0, 1, vcc_lo
	flat_store_b8 v[2:3], v1
.LBB25_6380:
	s_wait_xcnt 0x0
	s_or_b32 exec_lo, exec_lo, s90
	s_delay_alu instid0(SALU_CYCLE_1)
	s_and_not1_b32 s78, s78, exec_lo
	s_and_b32 s89, s89, exec_lo
	s_and_not1_b32 s77, s77, exec_lo
	s_and_b32 s88, s88, exec_lo
	s_or_b32 s78, s78, s89
	s_or_b32 s77, s77, s88
.LBB25_6381:
	s_or_b32 exec_lo, exec_lo, s79
	s_delay_alu instid0(SALU_CYCLE_1)
	s_and_not1_b32 s79, s73, exec_lo
	s_and_b32 s78, s78, exec_lo
	s_and_not1_b32 s76, s76, exec_lo
	s_and_b32 s88, s77, exec_lo
	s_or_b32 s77, s79, s78
	s_or_b32 s76, s76, s88
.LBB25_6382:
	s_or_b32 exec_lo, exec_lo, s75
	s_delay_alu instid0(SALU_CYCLE_1)
	s_and_not1_b32 s73, s73, exec_lo
	s_and_b32 s75, s77, exec_lo
	s_and_not1_b32 s0, s0, exec_lo
	s_and_b32 s76, s76, exec_lo
	s_or_b32 s73, s73, s75
	s_or_b32 s0, s0, s76
.LBB25_6383:
	s_or_b32 exec_lo, exec_lo, s74
	s_delay_alu instid0(SALU_CYCLE_1)
	s_and_not1_b32 s74, s57, exec_lo
	s_and_b32 s73, s73, exec_lo
	s_and_b32 s0, s0, exec_lo
	s_or_b32 s73, s74, s73
                                        ; implicit-def: $vgpr1
                                        ; implicit-def: $vgpr128
                                        ; implicit-def: $vgpr2_vgpr3
.LBB25_6384:
	s_and_not1_saveexec_b32 s59, s59
	s_cbranch_execz .LBB25_6426
; %bb.6385:
	s_mov_b32 s74, exec_lo
	v_cmpx_lt_i16_e32 4, v1
	s_xor_b32 s74, exec_lo, s74
	s_cbranch_execz .LBB25_6407
; %bb.6386:
	s_mov_b32 s75, exec_lo
	v_cmpx_lt_i16_e32 7, v1
	s_xor_b32 s75, exec_lo, s75
	;; [unrolled: 5-line block ×4, first 2 shown]
	s_cbranch_execz .LBB25_6390
; %bb.6389:
	v_cvt_f64_f32_e32 v[4:5], v128
	v_mov_b32_e32 v6, 0
                                        ; implicit-def: $vgpr128
	s_delay_alu instid0(VALU_DEP_1)
	v_mov_b32_e32 v7, v6
	flat_store_b128 v[2:3], v[4:7]
                                        ; implicit-def: $vgpr2_vgpr3
.LBB25_6390:
	s_wait_xcnt 0x0
	s_and_not1_saveexec_b32 s77, s77
	s_cbranch_execz .LBB25_6392
; %bb.6391:
	v_mov_b32_e32 v129, 0
	flat_store_b64 v[2:3], v[128:129]
.LBB25_6392:
	s_wait_xcnt 0x0
	s_or_b32 exec_lo, exec_lo, s77
                                        ; implicit-def: $vgpr128
                                        ; implicit-def: $vgpr2_vgpr3
.LBB25_6393:
	s_and_not1_saveexec_b32 s76, s76
	s_cbranch_execz .LBB25_6395
; %bb.6394:
	v_cvt_f16_f32_e64 v1, v128
	s_delay_alu instid0(VALU_DEP_1)
	v_and_b32_e32 v1, 0xffff, v1
	flat_store_b32 v[2:3], v1
.LBB25_6395:
	s_wait_xcnt 0x0
	s_or_b32 exec_lo, exec_lo, s76
                                        ; implicit-def: $vgpr128
                                        ; implicit-def: $vgpr2_vgpr3
                                        ; implicit-def: $vgpr1
.LBB25_6396:
	s_and_not1_saveexec_b32 s75, s75
	s_cbranch_execz .LBB25_6406
; %bb.6397:
	s_mov_b32 s76, exec_lo
	v_cmpx_lt_i16_e32 5, v1
	s_xor_b32 s76, exec_lo, s76
	s_cbranch_execz .LBB25_6403
; %bb.6398:
	s_mov_b32 s77, exec_lo
	v_cmpx_lt_i16_e32 6, v1
	s_xor_b32 s77, exec_lo, s77
	s_cbranch_execz .LBB25_6400
; %bb.6399:
	v_cvt_f64_f32_e32 v[4:5], v128
                                        ; implicit-def: $vgpr128
	flat_store_b64 v[2:3], v[4:5]
                                        ; implicit-def: $vgpr2_vgpr3
.LBB25_6400:
	s_wait_xcnt 0x0
	s_and_not1_saveexec_b32 s77, s77
	s_cbranch_execz .LBB25_6402
; %bb.6401:
	flat_store_b32 v[2:3], v128
.LBB25_6402:
	s_wait_xcnt 0x0
	s_or_b32 exec_lo, exec_lo, s77
                                        ; implicit-def: $vgpr128
                                        ; implicit-def: $vgpr2_vgpr3
.LBB25_6403:
	s_and_not1_saveexec_b32 s76, s76
	s_cbranch_execz .LBB25_6405
; %bb.6404:
	v_cvt_f16_f32_e64 v1, v128
	flat_store_b16 v[2:3], v1
.LBB25_6405:
	s_wait_xcnt 0x0
	s_or_b32 exec_lo, exec_lo, s76
.LBB25_6406:
	s_delay_alu instid0(SALU_CYCLE_1)
	s_or_b32 exec_lo, exec_lo, s75
                                        ; implicit-def: $vgpr1
                                        ; implicit-def: $vgpr128
                                        ; implicit-def: $vgpr2_vgpr3
.LBB25_6407:
	s_and_not1_saveexec_b32 s74, s74
	s_cbranch_execz .LBB25_6425
; %bb.6408:
	s_mov_b32 s75, exec_lo
	v_cmpx_lt_i16_e32 1, v1
	s_xor_b32 s75, exec_lo, s75
	s_cbranch_execz .LBB25_6418
; %bb.6409:
	s_mov_b32 s76, exec_lo
	v_cmpx_lt_i16_e32 2, v1
	s_xor_b32 s76, exec_lo, s76
	;; [unrolled: 5-line block ×3, first 2 shown]
	s_cbranch_execz .LBB25_6412
; %bb.6411:
	v_trunc_f32_e32 v1, v128
                                        ; implicit-def: $vgpr128
	s_delay_alu instid0(VALU_DEP_1) | instskip(NEXT) | instid1(VALU_DEP_1)
	v_mul_f32_e64 v4, 0x2f800000, |v1|
	v_floor_f32_e32 v5, v4
	v_ashrrev_i32_e32 v4, 31, v1
	s_delay_alu instid0(VALU_DEP_2) | instskip(SKIP_1) | instid1(VALU_DEP_3)
	v_fma_f32 v6, 0xcf800000, v5, |v1|
	v_cvt_u32_f32_e32 v1, v5
	v_mov_b32_e32 v5, v4
	s_delay_alu instid0(VALU_DEP_3) | instskip(NEXT) | instid1(VALU_DEP_3)
	v_cvt_u32_f32_e32 v6, v6
	v_xor_b32_e32 v7, v1, v4
	s_delay_alu instid0(VALU_DEP_2) | instskip(NEXT) | instid1(VALU_DEP_1)
	v_xor_b32_e32 v6, v6, v4
	v_sub_nc_u64_e32 v[4:5], v[6:7], v[4:5]
	flat_store_b64 v[2:3], v[4:5]
                                        ; implicit-def: $vgpr2_vgpr3
.LBB25_6412:
	s_wait_xcnt 0x0
	s_and_not1_saveexec_b32 s77, s77
	s_cbranch_execz .LBB25_6414
; %bb.6413:
	v_cvt_i32_f32_e32 v1, v128
	flat_store_b32 v[2:3], v1
.LBB25_6414:
	s_wait_xcnt 0x0
	s_or_b32 exec_lo, exec_lo, s77
                                        ; implicit-def: $vgpr128
                                        ; implicit-def: $vgpr2_vgpr3
.LBB25_6415:
	s_and_not1_saveexec_b32 s76, s76
	s_cbranch_execz .LBB25_6417
; %bb.6416:
	v_cvt_i32_f32_e32 v1, v128
	flat_store_b16 v[2:3], v1
.LBB25_6417:
	s_wait_xcnt 0x0
	s_or_b32 exec_lo, exec_lo, s76
                                        ; implicit-def: $vgpr128
                                        ; implicit-def: $vgpr2_vgpr3
                                        ; implicit-def: $vgpr1
.LBB25_6418:
	s_and_not1_saveexec_b32 s75, s75
	s_cbranch_execz .LBB25_6424
; %bb.6419:
	s_mov_b32 s76, exec_lo
	v_cmpx_lt_i16_e32 0, v1
	s_xor_b32 s76, exec_lo, s76
	s_cbranch_execz .LBB25_6421
; %bb.6420:
	v_cvt_i32_f32_e32 v1, v128
                                        ; implicit-def: $vgpr128
	flat_store_b8 v[2:3], v1
                                        ; implicit-def: $vgpr2_vgpr3
.LBB25_6421:
	s_wait_xcnt 0x0
	s_and_not1_saveexec_b32 s76, s76
	s_cbranch_execz .LBB25_6423
; %bb.6422:
	v_trunc_f32_e32 v1, v128
	s_delay_alu instid0(VALU_DEP_1) | instskip(NEXT) | instid1(VALU_DEP_1)
	v_mul_f32_e64 v4, 0x2f800000, |v1|
	v_floor_f32_e32 v4, v4
	s_delay_alu instid0(VALU_DEP_1) | instskip(SKIP_1) | instid1(VALU_DEP_2)
	v_fma_f32 v4, 0xcf800000, v4, |v1|
	v_ashrrev_i32_e32 v1, 31, v1
	v_cvt_u32_f32_e32 v4, v4
	s_delay_alu instid0(VALU_DEP_1) | instskip(NEXT) | instid1(VALU_DEP_1)
	v_xor_b32_e32 v4, v4, v1
	v_sub_nc_u32_e32 v1, v4, v1
	flat_store_b8 v[2:3], v1
.LBB25_6423:
	s_wait_xcnt 0x0
	s_or_b32 exec_lo, exec_lo, s76
.LBB25_6424:
	s_delay_alu instid0(SALU_CYCLE_1)
	s_or_b32 exec_lo, exec_lo, s75
.LBB25_6425:
	s_delay_alu instid0(SALU_CYCLE_1) | instskip(NEXT) | instid1(SALU_CYCLE_1)
	s_or_b32 exec_lo, exec_lo, s74
	s_or_b32 s0, s0, exec_lo
.LBB25_6426:
	s_or_b32 exec_lo, exec_lo, s59
	s_mov_b32 s74, 0
	s_mov_b32 s59, 0
	s_and_saveexec_b32 s75, s0
; %bb.6427:
	v_add_nc_u32_e32 v209, 0x200, v209
	s_mov_b32 s74, exec_lo
	s_delay_alu instid0(VALU_DEP_1)
	v_cmp_lt_i32_e32 vcc_lo, v209, v211
	s_and_b32 s59, vcc_lo, exec_lo
; %bb.6428:
	s_or_b32 exec_lo, exec_lo, s75
	s_delay_alu instid0(SALU_CYCLE_1)
	s_and_not1_b32 s0, s57, exec_lo
	s_and_b32 s73, s73, exec_lo
	s_and_b32 s75, s59, exec_lo
	s_or_b32 s59, s0, s73
	s_or_not1_b32 s74, s74, exec_lo
.LBB25_6429:
	s_or_b32 exec_lo, exec_lo, s63
	s_mov_b32 s0, 0
	s_mov_b32 s73, 0
                                        ; implicit-def: $vgpr4
                                        ; implicit-def: $vgpr2_vgpr3
	s_and_saveexec_b32 s63, s74
	s_cbranch_execz .LBB25_7811
; %bb.6430:
	s_mov_b32 s76, -1
	s_mov_b32 s74, 0
	s_mov_b32 s72, s59
	s_and_saveexec_b32 s73, s75
	s_cbranch_execz .LBB25_6558
; %bb.6431:
	v_dual_add_nc_u32 v1, s60, v209 :: v_dual_mov_b32 v3, 0
	s_mov_b32 s75, s59
	s_mov_b32 s72, exec_lo
	s_delay_alu instid0(VALU_DEP_1) | instskip(SKIP_1) | instid1(VALU_DEP_2)
	v_mul_lo_u32 v2, v1, v210
	v_and_b32_e32 v1, 0xff, v85
	v_add_nc_u64_e32 v[2:3], v[212:213], v[2:3]
	s_delay_alu instid0(VALU_DEP_2)
	v_cmpx_lt_i16_e32 10, v1
	s_xor_b32 s72, exec_lo, s72
	s_cbranch_execz .LBB25_6513
; %bb.6432:
	s_mov_b32 s75, s59
	s_mov_b32 s76, exec_lo
	v_cmpx_lt_i16_e32 25, v1
	s_xor_b32 s76, exec_lo, s76
	s_cbranch_execz .LBB25_6468
; %bb.6433:
	s_mov_b32 s77, s59
	s_mov_b32 s75, exec_lo
	;; [unrolled: 6-line block ×3, first 2 shown]
	v_cmpx_lt_i16_e32 43, v1
	s_xor_b32 s77, exec_lo, s77
	s_cbranch_execz .LBB25_6446
; %bb.6435:
	s_mov_b32 s78, 0
	s_mov_b32 s79, s59
	s_mov_b32 s0, exec_lo
	v_cmpx_lt_i16_e32 45, v1
	s_xor_b32 s0, exec_lo, s0
	s_cbranch_execz .LBB25_6439
; %bb.6436:
	s_mov_b32 s88, -1
	s_mov_b32 s79, exec_lo
	v_cmpx_eq_u16_e32 46, v1
	s_cbranch_execz .LBB25_6438
; %bb.6437:
	v_bfe_u32 v1, v118, 16, 1
	v_cmp_o_f32_e32 vcc_lo, v118, v118
	s_mov_b32 s78, exec_lo
	s_xor_b32 s88, exec_lo, -1
	s_delay_alu instid0(VALU_DEP_2) | instskip(NEXT) | instid1(VALU_DEP_1)
	v_add3_u32 v1, v118, v1, 0x7fff
	v_lshrrev_b32_e32 v1, 16, v1
	s_delay_alu instid0(VALU_DEP_1)
	v_cndmask_b32_e32 v1, 0x7fc0, v1, vcc_lo
	flat_store_b32 v[2:3], v1
.LBB25_6438:
	s_wait_xcnt 0x0
	s_or_b32 exec_lo, exec_lo, s79
	s_delay_alu instid0(SALU_CYCLE_1)
	s_and_not1_b32 s79, s59, exec_lo
	s_and_b32 s88, s88, exec_lo
	s_and_b32 s78, s78, exec_lo
	s_or_b32 s79, s79, s88
                                        ; implicit-def: $vgpr1
                                        ; implicit-def: $vgpr2_vgpr3
                                        ; implicit-def: $vgpr118
.LBB25_6439:
	s_and_not1_saveexec_b32 s88, s0
	s_cbranch_execz .LBB25_6445
; %bb.6440:
	s_mov_b32 s90, -1
	s_mov_b32 s0, s78
	s_mov_b32 s89, exec_lo
	v_cmpx_eq_u16_e32 44, v1
	s_cbranch_execz .LBB25_6444
; %bb.6441:
	v_bfe_u32 v4, v118, 23, 8
	v_mov_b32_e32 v1, 0xff
	s_mov_b32 s90, exec_lo
	s_delay_alu instid0(VALU_DEP_2)
	v_cmpx_ne_u32_e32 0xff, v4
	s_cbranch_execz .LBB25_6443
; %bb.6442:
	v_and_b32_e32 v1, 0x400000, v118
	v_and_or_b32 v4, 0x3fffff, v118, v4
	s_delay_alu instid0(VALU_DEP_2) | instskip(NEXT) | instid1(VALU_DEP_2)
	v_cmp_ne_u32_e32 vcc_lo, 0, v1
	v_cmp_ne_u32_e64 s0, 0, v4
	v_lshrrev_b32_e32 v1, 23, v118
	s_and_b32 s0, vcc_lo, s0
	s_delay_alu instid0(SALU_CYCLE_1) | instskip(NEXT) | instid1(VALU_DEP_1)
	v_cndmask_b32_e64 v4, 0, 1, s0
	v_add_nc_u32_e32 v1, v1, v4
.LBB25_6443:
	s_or_b32 exec_lo, exec_lo, s90
	s_delay_alu instid0(SALU_CYCLE_1)
	s_xor_b32 s90, exec_lo, -1
	s_or_b32 s0, s78, exec_lo
	flat_store_b8 v[2:3], v1
.LBB25_6444:
	s_wait_xcnt 0x0
	s_or_b32 exec_lo, exec_lo, s89
	s_delay_alu instid0(SALU_CYCLE_1)
	s_and_not1_b32 s79, s79, exec_lo
	s_and_b32 s89, s90, exec_lo
	s_and_not1_b32 s78, s78, exec_lo
	s_and_b32 s0, s0, exec_lo
	s_or_b32 s79, s79, s89
	s_or_b32 s78, s78, s0
.LBB25_6445:
	s_or_b32 exec_lo, exec_lo, s88
	s_delay_alu instid0(SALU_CYCLE_1) | instskip(SKIP_1) | instid1(SALU_CYCLE_1)
	s_and_not1_b32 s0, s59, exec_lo
	s_and_b32 s79, s79, exec_lo
                                        ; implicit-def: $vgpr1
                                        ; implicit-def: $vgpr118
                                        ; implicit-def: $vgpr2_vgpr3
	s_or_b32 s79, s0, s79
	s_and_b32 s0, s78, exec_lo
.LBB25_6446:
	s_and_not1_saveexec_b32 s77, s77
	s_cbranch_execz .LBB25_6450
; %bb.6447:
	s_mov_b32 s89, -1
	s_mov_b32 s88, s0
	s_mov_b32 s78, exec_lo
	v_cmpx_eq_u16_e32 29, v1
	s_cbranch_execz .LBB25_6449
; %bb.6448:
	v_trunc_f32_e32 v1, v118
	s_xor_b32 s89, exec_lo, -1
	s_or_b32 s88, s0, exec_lo
	s_delay_alu instid0(VALU_DEP_1) | instskip(NEXT) | instid1(VALU_DEP_1)
	v_mul_f32_e32 v4, 0x2f800000, v1
	v_floor_f32_e32 v4, v4
	s_delay_alu instid0(VALU_DEP_1) | instskip(SKIP_1) | instid1(VALU_DEP_2)
	v_fmamk_f32 v1, v4, 0xcf800000, v1
	v_cvt_u32_f32_e32 v5, v4
	v_cvt_u32_f32_e32 v4, v1
	flat_store_b64 v[2:3], v[4:5]
.LBB25_6449:
	s_wait_xcnt 0x0
	s_or_b32 exec_lo, exec_lo, s78
	s_delay_alu instid0(SALU_CYCLE_1)
	s_and_not1_b32 s78, s79, exec_lo
	s_and_b32 s79, s89, exec_lo
	s_and_not1_b32 s0, s0, exec_lo
	s_and_b32 s88, s88, exec_lo
	s_or_b32 s79, s78, s79
	s_or_b32 s0, s0, s88
.LBB25_6450:
	s_or_b32 exec_lo, exec_lo, s77
	s_delay_alu instid0(SALU_CYCLE_1)
	s_and_not1_b32 s77, s59, exec_lo
	s_and_b32 s78, s79, exec_lo
	s_and_b32 s0, s0, exec_lo
	s_or_b32 s77, s77, s78
                                        ; implicit-def: $vgpr2_vgpr3
                                        ; implicit-def: $vgpr1
                                        ; implicit-def: $vgpr118
.LBB25_6451:
	s_and_not1_saveexec_b32 s75, s75
	s_cbranch_execz .LBB25_6467
; %bb.6452:
	s_mov_b32 s78, exec_lo
	v_cmpx_lt_i16_e32 26, v1
	s_xor_b32 s78, exec_lo, s78
	s_cbranch_execz .LBB25_6458
; %bb.6453:
	v_cmp_lt_i16_e32 vcc_lo, 27, v1
	v_cvt_u32_f32_e32 v1, v118
	s_and_saveexec_b32 s79, vcc_lo
	s_delay_alu instid0(SALU_CYCLE_1)
	s_xor_b32 s79, exec_lo, s79
	s_cbranch_execz .LBB25_6455
; %bb.6454:
	flat_store_b32 v[2:3], v1
                                        ; implicit-def: $vgpr2_vgpr3
                                        ; implicit-def: $vgpr1
.LBB25_6455:
	s_wait_xcnt 0x0
	s_and_not1_saveexec_b32 s79, s79
	s_cbranch_execz .LBB25_6457
; %bb.6456:
	flat_store_b16 v[2:3], v1
.LBB25_6457:
	s_wait_xcnt 0x0
	s_or_b32 exec_lo, exec_lo, s79
                                        ; implicit-def: $vgpr2_vgpr3
                                        ; implicit-def: $vgpr118
.LBB25_6458:
	s_and_not1_saveexec_b32 s78, s78
	s_cbranch_execz .LBB25_6466
; %bb.6459:
	v_and_b32_e32 v1, 0x7fffffff, v118
	v_mov_b32_e32 v4, 0x80
	s_mov_b32 s79, exec_lo
	s_delay_alu instid0(VALU_DEP_2)
	v_cmpx_gt_u32_e32 0x43800000, v1
	s_cbranch_execz .LBB25_6465
; %bb.6460:
	v_cmp_lt_u32_e32 vcc_lo, 0x3bffffff, v1
	s_mov_b32 s88, 0
                                        ; implicit-def: $vgpr1
	s_and_saveexec_b32 s89, vcc_lo
	s_delay_alu instid0(SALU_CYCLE_1)
	s_xor_b32 s89, exec_lo, s89
	s_cbranch_execnz .LBB25_7963
; %bb.6461:
	s_and_not1_saveexec_b32 s89, s89
	s_cbranch_execnz .LBB25_7964
.LBB25_6462:
	s_or_b32 exec_lo, exec_lo, s89
	v_mov_b32_e32 v4, 0
	s_and_saveexec_b32 s89, s88
.LBB25_6463:
	v_lshrrev_b32_e32 v4, 24, v118
	s_delay_alu instid0(VALU_DEP_1)
	v_and_or_b32 v4, 0x80, v4, v1
.LBB25_6464:
	s_or_b32 exec_lo, exec_lo, s89
.LBB25_6465:
	s_delay_alu instid0(SALU_CYCLE_1)
	s_or_b32 exec_lo, exec_lo, s79
	flat_store_b8 v[2:3], v4
.LBB25_6466:
	s_wait_xcnt 0x0
	s_or_b32 exec_lo, exec_lo, s78
	s_delay_alu instid0(SALU_CYCLE_1)
	s_or_b32 s0, s0, exec_lo
.LBB25_6467:
	s_or_b32 exec_lo, exec_lo, s75
	s_delay_alu instid0(SALU_CYCLE_1)
	s_and_not1_b32 s75, s59, exec_lo
	s_and_b32 s77, s77, exec_lo
	s_and_b32 s0, s0, exec_lo
	s_or_b32 s75, s75, s77
                                        ; implicit-def: $vgpr1
                                        ; implicit-def: $vgpr118
                                        ; implicit-def: $vgpr2_vgpr3
.LBB25_6468:
	s_and_not1_saveexec_b32 s76, s76
	s_cbranch_execz .LBB25_6512
; %bb.6469:
	s_mov_b32 s78, s0
	s_mov_b32 s77, exec_lo
	v_cmpx_lt_i16_e32 22, v1
	s_xor_b32 s77, exec_lo, s77
	s_cbranch_execz .LBB25_6501
; %bb.6470:
	s_mov_b32 s78, exec_lo
	v_cmpx_lt_i16_e32 23, v1
	s_xor_b32 s78, exec_lo, s78
	s_cbranch_execz .LBB25_6490
; %bb.6471:
	;; [unrolled: 5-line block ×3, first 2 shown]
	v_and_b32_e32 v1, 0x7fffffff, v118
	v_mov_b32_e32 v4, 0x80
	s_mov_b32 s88, exec_lo
	s_delay_alu instid0(VALU_DEP_2)
	v_cmpx_gt_u32_e32 0x47800000, v1
	s_cbranch_execz .LBB25_6478
; %bb.6473:
	v_cmp_lt_u32_e32 vcc_lo, 0x37ffffff, v1
	s_mov_b32 s89, 0
                                        ; implicit-def: $vgpr1
	s_and_saveexec_b32 s90, vcc_lo
	s_delay_alu instid0(SALU_CYCLE_1)
	s_xor_b32 s90, exec_lo, s90
	s_cbranch_execnz .LBB25_7965
; %bb.6474:
	s_and_not1_saveexec_b32 s90, s90
	s_cbranch_execnz .LBB25_7966
.LBB25_6475:
	s_or_b32 exec_lo, exec_lo, s90
	v_mov_b32_e32 v4, 0
	s_and_saveexec_b32 s90, s89
.LBB25_6476:
	v_lshrrev_b32_e32 v4, 24, v118
	s_delay_alu instid0(VALU_DEP_1)
	v_and_or_b32 v4, 0x80, v4, v1
.LBB25_6477:
	s_or_b32 exec_lo, exec_lo, s90
.LBB25_6478:
	s_delay_alu instid0(SALU_CYCLE_1)
	s_or_b32 exec_lo, exec_lo, s88
	flat_store_b8 v[2:3], v4
                                        ; implicit-def: $vgpr118
                                        ; implicit-def: $vgpr2_vgpr3
.LBB25_6479:
	s_wait_xcnt 0x0
	s_and_not1_saveexec_b32 s79, s79
	s_cbranch_execz .LBB25_6489
; %bb.6480:
	v_and_b32_e32 v4, 0x7fffffff, v118
	s_mov_b32 s88, exec_lo
                                        ; implicit-def: $vgpr1
	s_delay_alu instid0(VALU_DEP_1)
	v_cmpx_gt_u32_e32 0x43f00000, v4
	s_xor_b32 s88, exec_lo, s88
	s_cbranch_execz .LBB25_6486
; %bb.6481:
	s_mov_b32 s89, exec_lo
                                        ; implicit-def: $vgpr1
	v_cmpx_lt_u32_e32 0x3c7fffff, v4
	s_xor_b32 s89, exec_lo, s89
; %bb.6482:
	v_bfe_u32 v1, v118, 20, 1
	s_delay_alu instid0(VALU_DEP_1) | instskip(NEXT) | instid1(VALU_DEP_1)
	v_add3_u32 v1, v118, v1, 0x407ffff
	v_and_b32_e32 v4, 0xff00000, v1
	v_lshrrev_b32_e32 v1, 20, v1
	s_delay_alu instid0(VALU_DEP_2) | instskip(NEXT) | instid1(VALU_DEP_2)
	v_cmp_ne_u32_e32 vcc_lo, 0x7f00000, v4
	v_cndmask_b32_e32 v1, 0x7e, v1, vcc_lo
; %bb.6483:
	s_and_not1_saveexec_b32 s89, s89
; %bb.6484:
	v_add_f32_e64 v1, 0x46800000, |v118|
; %bb.6485:
	s_or_b32 exec_lo, exec_lo, s89
                                        ; implicit-def: $vgpr4
.LBB25_6486:
	s_and_not1_saveexec_b32 s88, s88
; %bb.6487:
	v_mov_b32_e32 v1, 0x7f
	v_cmp_lt_u32_e32 vcc_lo, 0x7f800000, v4
	s_delay_alu instid0(VALU_DEP_2)
	v_cndmask_b32_e32 v1, 0x7e, v1, vcc_lo
; %bb.6488:
	s_or_b32 exec_lo, exec_lo, s88
	v_lshrrev_b32_e32 v4, 24, v118
	s_delay_alu instid0(VALU_DEP_1)
	v_and_or_b32 v1, 0x80, v4, v1
	flat_store_b8 v[2:3], v1
.LBB25_6489:
	s_wait_xcnt 0x0
	s_or_b32 exec_lo, exec_lo, s79
                                        ; implicit-def: $vgpr118
                                        ; implicit-def: $vgpr2_vgpr3
.LBB25_6490:
	s_and_not1_saveexec_b32 s78, s78
	s_cbranch_execz .LBB25_6500
; %bb.6491:
	v_and_b32_e32 v4, 0x7fffffff, v118
	s_mov_b32 s79, exec_lo
                                        ; implicit-def: $vgpr1
	s_delay_alu instid0(VALU_DEP_1)
	v_cmpx_gt_u32_e32 0x47800000, v4
	s_xor_b32 s79, exec_lo, s79
	s_cbranch_execz .LBB25_6497
; %bb.6492:
	s_mov_b32 s88, exec_lo
                                        ; implicit-def: $vgpr1
	v_cmpx_lt_u32_e32 0x387fffff, v4
	s_xor_b32 s88, exec_lo, s88
; %bb.6493:
	v_bfe_u32 v1, v118, 21, 1
	s_delay_alu instid0(VALU_DEP_1) | instskip(NEXT) | instid1(VALU_DEP_1)
	v_add3_u32 v1, v118, v1, 0x80fffff
	v_lshrrev_b32_e32 v1, 21, v1
; %bb.6494:
	s_and_not1_saveexec_b32 s88, s88
; %bb.6495:
	v_add_f32_e64 v1, 0x43000000, |v118|
; %bb.6496:
	s_or_b32 exec_lo, exec_lo, s88
                                        ; implicit-def: $vgpr4
.LBB25_6497:
	s_and_not1_saveexec_b32 s79, s79
; %bb.6498:
	v_mov_b32_e32 v1, 0x7f
	v_cmp_lt_u32_e32 vcc_lo, 0x7f800000, v4
	s_delay_alu instid0(VALU_DEP_2)
	v_cndmask_b32_e32 v1, 0x7c, v1, vcc_lo
; %bb.6499:
	s_or_b32 exec_lo, exec_lo, s79
	v_lshrrev_b32_e32 v4, 24, v118
	s_delay_alu instid0(VALU_DEP_1)
	v_and_or_b32 v1, 0x80, v4, v1
	flat_store_b8 v[2:3], v1
.LBB25_6500:
	s_wait_xcnt 0x0
	s_or_b32 exec_lo, exec_lo, s78
	s_delay_alu instid0(SALU_CYCLE_1)
	s_or_b32 s78, s0, exec_lo
                                        ; implicit-def: $vgpr1
                                        ; implicit-def: $vgpr118
                                        ; implicit-def: $vgpr2_vgpr3
.LBB25_6501:
	s_or_saveexec_b32 s77, s77
	s_mov_b32 s79, s75
	s_xor_b32 exec_lo, exec_lo, s77
	s_cbranch_execz .LBB25_6511
; %bb.6502:
	s_mov_b32 s79, s78
	s_mov_b32 s88, s75
	s_mov_b32 s89, exec_lo
	v_cmpx_lt_i16_e32 14, v1
	s_xor_b32 s89, exec_lo, s89
	s_cbranch_execz .LBB25_6506
; %bb.6503:
	s_mov_b32 s90, -1
	s_mov_b32 s79, s78
	s_mov_b32 s88, exec_lo
	v_cmpx_eq_u16_e32 15, v1
	s_cbranch_execz .LBB25_6505
; %bb.6504:
	v_bfe_u32 v1, v118, 16, 1
	v_cmp_o_f32_e32 vcc_lo, v118, v118
	s_xor_b32 s90, exec_lo, -1
	s_or_b32 s79, s78, exec_lo
	s_delay_alu instid0(VALU_DEP_2) | instskip(NEXT) | instid1(VALU_DEP_1)
	v_add3_u32 v1, v118, v1, 0x7fff
	v_lshrrev_b32_e32 v1, 16, v1
	s_delay_alu instid0(VALU_DEP_1)
	v_cndmask_b32_e32 v1, 0x7fc0, v1, vcc_lo
	flat_store_b16 v[2:3], v1
.LBB25_6505:
	s_wait_xcnt 0x0
	s_or_b32 exec_lo, exec_lo, s88
	s_delay_alu instid0(SALU_CYCLE_1)
	s_and_not1_b32 s88, s75, exec_lo
	s_and_b32 s90, s90, exec_lo
	s_and_not1_b32 s91, s78, exec_lo
	s_and_b32 s79, s79, exec_lo
	s_or_b32 s88, s88, s90
	s_or_b32 s79, s91, s79
                                        ; implicit-def: $vgpr1
                                        ; implicit-def: $vgpr118
                                        ; implicit-def: $vgpr2_vgpr3
.LBB25_6506:
	s_and_not1_saveexec_b32 s89, s89
	s_cbranch_execz .LBB25_6510
; %bb.6507:
	s_mov_b32 s91, -1
	s_mov_b32 s90, s79
	s_mov_b32 s92, exec_lo
	v_cmpx_eq_u16_e32 11, v1
	s_cbranch_execz .LBB25_6509
; %bb.6508:
	v_cmp_neq_f32_e32 vcc_lo, 0, v118
	s_xor_b32 s91, exec_lo, -1
	s_or_b32 s90, s79, exec_lo
	v_cndmask_b32_e64 v1, 0, 1, vcc_lo
	flat_store_b8 v[2:3], v1
.LBB25_6509:
	s_wait_xcnt 0x0
	s_or_b32 exec_lo, exec_lo, s92
	s_delay_alu instid0(SALU_CYCLE_1)
	s_and_not1_b32 s88, s88, exec_lo
	s_and_b32 s91, s91, exec_lo
	s_and_not1_b32 s79, s79, exec_lo
	s_and_b32 s90, s90, exec_lo
	s_or_b32 s88, s88, s91
	s_or_b32 s79, s79, s90
.LBB25_6510:
	s_or_b32 exec_lo, exec_lo, s89
	s_delay_alu instid0(SALU_CYCLE_1)
	s_and_not1_b32 s89, s75, exec_lo
	s_and_b32 s88, s88, exec_lo
	s_and_not1_b32 s78, s78, exec_lo
	s_and_b32 s90, s79, exec_lo
	s_or_b32 s79, s89, s88
	s_or_b32 s78, s78, s90
.LBB25_6511:
	s_or_b32 exec_lo, exec_lo, s77
	s_delay_alu instid0(SALU_CYCLE_1)
	s_and_not1_b32 s75, s75, exec_lo
	s_and_b32 s77, s79, exec_lo
	s_and_not1_b32 s0, s0, exec_lo
	s_and_b32 s78, s78, exec_lo
	s_or_b32 s75, s75, s77
	s_or_b32 s0, s0, s78
.LBB25_6512:
	s_or_b32 exec_lo, exec_lo, s76
	s_delay_alu instid0(SALU_CYCLE_1)
	s_and_not1_b32 s76, s59, exec_lo
	s_and_b32 s75, s75, exec_lo
	s_and_b32 s0, s0, exec_lo
	s_or_b32 s75, s76, s75
                                        ; implicit-def: $vgpr1
                                        ; implicit-def: $vgpr118
                                        ; implicit-def: $vgpr2_vgpr3
.LBB25_6513:
	s_and_not1_saveexec_b32 s72, s72
	s_cbranch_execz .LBB25_6555
; %bb.6514:
	s_mov_b32 s76, exec_lo
	v_cmpx_lt_i16_e32 4, v1
	s_xor_b32 s76, exec_lo, s76
	s_cbranch_execz .LBB25_6536
; %bb.6515:
	s_mov_b32 s77, exec_lo
	v_cmpx_lt_i16_e32 7, v1
	s_xor_b32 s77, exec_lo, s77
	;; [unrolled: 5-line block ×4, first 2 shown]
	s_cbranch_execz .LBB25_6519
; %bb.6518:
	v_cvt_f64_f32_e32 v[4:5], v118
	v_mov_b32_e32 v6, 0
                                        ; implicit-def: $vgpr118
	s_delay_alu instid0(VALU_DEP_1)
	v_mov_b32_e32 v7, v6
	flat_store_b128 v[2:3], v[4:7]
                                        ; implicit-def: $vgpr2_vgpr3
.LBB25_6519:
	s_wait_xcnt 0x0
	s_and_not1_saveexec_b32 s79, s79
	s_cbranch_execz .LBB25_6521
; %bb.6520:
	v_mov_b32_e32 v119, 0
	flat_store_b64 v[2:3], v[118:119]
.LBB25_6521:
	s_wait_xcnt 0x0
	s_or_b32 exec_lo, exec_lo, s79
                                        ; implicit-def: $vgpr118
                                        ; implicit-def: $vgpr2_vgpr3
.LBB25_6522:
	s_and_not1_saveexec_b32 s78, s78
	s_cbranch_execz .LBB25_6524
; %bb.6523:
	v_cvt_f16_f32_e32 v1, v118
	s_delay_alu instid0(VALU_DEP_1)
	v_and_b32_e32 v1, 0xffff, v1
	flat_store_b32 v[2:3], v1
.LBB25_6524:
	s_wait_xcnt 0x0
	s_or_b32 exec_lo, exec_lo, s78
                                        ; implicit-def: $vgpr118
                                        ; implicit-def: $vgpr2_vgpr3
                                        ; implicit-def: $vgpr1
.LBB25_6525:
	s_and_not1_saveexec_b32 s77, s77
	s_cbranch_execz .LBB25_6535
; %bb.6526:
	s_mov_b32 s78, exec_lo
	v_cmpx_lt_i16_e32 5, v1
	s_xor_b32 s78, exec_lo, s78
	s_cbranch_execz .LBB25_6532
; %bb.6527:
	s_mov_b32 s79, exec_lo
	v_cmpx_lt_i16_e32 6, v1
	s_xor_b32 s79, exec_lo, s79
	s_cbranch_execz .LBB25_6529
; %bb.6528:
	v_cvt_f64_f32_e32 v[4:5], v118
                                        ; implicit-def: $vgpr118
	flat_store_b64 v[2:3], v[4:5]
                                        ; implicit-def: $vgpr2_vgpr3
.LBB25_6529:
	s_wait_xcnt 0x0
	s_and_not1_saveexec_b32 s79, s79
	s_cbranch_execz .LBB25_6531
; %bb.6530:
	flat_store_b32 v[2:3], v118
.LBB25_6531:
	s_wait_xcnt 0x0
	s_or_b32 exec_lo, exec_lo, s79
                                        ; implicit-def: $vgpr118
                                        ; implicit-def: $vgpr2_vgpr3
.LBB25_6532:
	s_and_not1_saveexec_b32 s78, s78
	s_cbranch_execz .LBB25_6534
; %bb.6533:
	v_cvt_f16_f32_e32 v1, v118
	flat_store_b16 v[2:3], v1
.LBB25_6534:
	s_wait_xcnt 0x0
	s_or_b32 exec_lo, exec_lo, s78
.LBB25_6535:
	s_delay_alu instid0(SALU_CYCLE_1)
	s_or_b32 exec_lo, exec_lo, s77
                                        ; implicit-def: $vgpr1
                                        ; implicit-def: $vgpr118
                                        ; implicit-def: $vgpr2_vgpr3
.LBB25_6536:
	s_and_not1_saveexec_b32 s76, s76
	s_cbranch_execz .LBB25_6554
; %bb.6537:
	s_mov_b32 s77, exec_lo
	v_cmpx_lt_i16_e32 1, v1
	s_xor_b32 s77, exec_lo, s77
	s_cbranch_execz .LBB25_6547
; %bb.6538:
	s_mov_b32 s78, exec_lo
	v_cmpx_lt_i16_e32 2, v1
	s_xor_b32 s78, exec_lo, s78
	;; [unrolled: 5-line block ×3, first 2 shown]
	s_cbranch_execz .LBB25_6541
; %bb.6540:
	v_trunc_f32_e32 v1, v118
                                        ; implicit-def: $vgpr118
	s_delay_alu instid0(VALU_DEP_1) | instskip(NEXT) | instid1(VALU_DEP_1)
	v_mul_f32_e64 v4, 0x2f800000, |v1|
	v_floor_f32_e32 v5, v4
	v_ashrrev_i32_e32 v4, 31, v1
	s_delay_alu instid0(VALU_DEP_2) | instskip(SKIP_1) | instid1(VALU_DEP_3)
	v_fma_f32 v6, 0xcf800000, v5, |v1|
	v_cvt_u32_f32_e32 v1, v5
	v_mov_b32_e32 v5, v4
	s_delay_alu instid0(VALU_DEP_3) | instskip(NEXT) | instid1(VALU_DEP_3)
	v_cvt_u32_f32_e32 v6, v6
	v_xor_b32_e32 v7, v1, v4
	s_delay_alu instid0(VALU_DEP_2) | instskip(NEXT) | instid1(VALU_DEP_1)
	v_xor_b32_e32 v6, v6, v4
	v_sub_nc_u64_e32 v[4:5], v[6:7], v[4:5]
	flat_store_b64 v[2:3], v[4:5]
                                        ; implicit-def: $vgpr2_vgpr3
.LBB25_6541:
	s_wait_xcnt 0x0
	s_and_not1_saveexec_b32 s79, s79
	s_cbranch_execz .LBB25_6543
; %bb.6542:
	v_cvt_i32_f32_e32 v1, v118
	flat_store_b32 v[2:3], v1
.LBB25_6543:
	s_wait_xcnt 0x0
	s_or_b32 exec_lo, exec_lo, s79
                                        ; implicit-def: $vgpr118
                                        ; implicit-def: $vgpr2_vgpr3
.LBB25_6544:
	s_and_not1_saveexec_b32 s78, s78
	s_cbranch_execz .LBB25_6546
; %bb.6545:
	v_cvt_i32_f32_e32 v1, v118
	flat_store_b16 v[2:3], v1
.LBB25_6546:
	s_wait_xcnt 0x0
	s_or_b32 exec_lo, exec_lo, s78
                                        ; implicit-def: $vgpr118
                                        ; implicit-def: $vgpr2_vgpr3
                                        ; implicit-def: $vgpr1
.LBB25_6547:
	s_and_not1_saveexec_b32 s77, s77
	s_cbranch_execz .LBB25_6553
; %bb.6548:
	s_mov_b32 s78, exec_lo
	v_cmpx_lt_i16_e32 0, v1
	s_xor_b32 s78, exec_lo, s78
	s_cbranch_execz .LBB25_6550
; %bb.6549:
	v_cvt_i32_f32_e32 v1, v118
                                        ; implicit-def: $vgpr118
	flat_store_b8 v[2:3], v1
                                        ; implicit-def: $vgpr2_vgpr3
.LBB25_6550:
	s_wait_xcnt 0x0
	s_and_not1_saveexec_b32 s78, s78
	s_cbranch_execz .LBB25_6552
; %bb.6551:
	v_trunc_f32_e32 v1, v118
	s_delay_alu instid0(VALU_DEP_1) | instskip(NEXT) | instid1(VALU_DEP_1)
	v_mul_f32_e64 v4, 0x2f800000, |v1|
	v_floor_f32_e32 v4, v4
	s_delay_alu instid0(VALU_DEP_1) | instskip(SKIP_1) | instid1(VALU_DEP_2)
	v_fma_f32 v4, 0xcf800000, v4, |v1|
	v_ashrrev_i32_e32 v1, 31, v1
	v_cvt_u32_f32_e32 v4, v4
	s_delay_alu instid0(VALU_DEP_1) | instskip(NEXT) | instid1(VALU_DEP_1)
	v_xor_b32_e32 v4, v4, v1
	v_sub_nc_u32_e32 v1, v4, v1
	flat_store_b8 v[2:3], v1
.LBB25_6552:
	s_wait_xcnt 0x0
	s_or_b32 exec_lo, exec_lo, s78
.LBB25_6553:
	s_delay_alu instid0(SALU_CYCLE_1)
	s_or_b32 exec_lo, exec_lo, s77
.LBB25_6554:
	s_delay_alu instid0(SALU_CYCLE_1) | instskip(NEXT) | instid1(SALU_CYCLE_1)
	s_or_b32 exec_lo, exec_lo, s76
	s_or_b32 s0, s0, exec_lo
.LBB25_6555:
	s_or_b32 exec_lo, exec_lo, s72
	s_mov_b32 s76, 0
	s_mov_b32 s72, 0
	s_and_saveexec_b32 s77, s0
; %bb.6556:
	v_add_nc_u32_e32 v209, 0x200, v209
	s_mov_b32 s76, exec_lo
	s_delay_alu instid0(VALU_DEP_1)
	v_cmp_lt_i32_e32 vcc_lo, v209, v211
	s_and_b32 s72, vcc_lo, exec_lo
; %bb.6557:
	s_or_b32 exec_lo, exec_lo, s77
	s_delay_alu instid0(SALU_CYCLE_1)
	s_and_not1_b32 s77, s59, exec_lo
	s_and_b32 s75, s75, exec_lo
	s_and_b32 s0, s72, exec_lo
	s_or_b32 s72, s77, s75
	s_or_not1_b32 s76, s76, exec_lo
.LBB25_6558:
	s_or_b32 exec_lo, exec_lo, s73
	s_mov_b32 s75, 0
	s_mov_b32 s77, 0
                                        ; implicit-def: $vgpr4
                                        ; implicit-def: $vgpr2_vgpr3
	s_and_saveexec_b32 s73, s76
	s_cbranch_execz .LBB25_7810
; %bb.6559:
	s_mov_b32 s78, -1
	s_mov_b32 s76, 0
	s_mov_b32 s74, s72
	;; [unrolled: 1-line block ×3, first 2 shown]
	s_and_saveexec_b32 s75, s0
	s_cbranch_execz .LBB25_6687
; %bb.6560:
	v_dual_add_nc_u32 v1, s60, v209 :: v_dual_mov_b32 v3, 0
	s_mov_b32 s0, 0
	s_mov_b32 s77, s72
	s_mov_b32 s74, exec_lo
	s_delay_alu instid0(VALU_DEP_1) | instskip(SKIP_1) | instid1(VALU_DEP_2)
	v_mul_lo_u32 v2, v1, v210
	v_and_b32_e32 v1, 0xff, v85
	v_add_nc_u64_e32 v[2:3], v[212:213], v[2:3]
	s_delay_alu instid0(VALU_DEP_2)
	v_cmpx_lt_i16_e32 10, v1
	s_xor_b32 s74, exec_lo, s74
	s_cbranch_execz .LBB25_6642
; %bb.6561:
	s_mov_b32 s77, s72
	s_mov_b32 s78, exec_lo
	v_cmpx_lt_i16_e32 25, v1
	s_xor_b32 s78, exec_lo, s78
	s_cbranch_execz .LBB25_6597
; %bb.6562:
	s_mov_b32 s79, s72
	s_mov_b32 s77, exec_lo
	;; [unrolled: 6-line block ×3, first 2 shown]
	v_cmpx_lt_i16_e32 43, v1
	s_xor_b32 s79, exec_lo, s79
	s_cbranch_execz .LBB25_6575
; %bb.6564:
	s_mov_b32 s88, 0
	s_mov_b32 s89, s72
	s_mov_b32 s0, exec_lo
	v_cmpx_lt_i16_e32 45, v1
	s_xor_b32 s0, exec_lo, s0
	s_cbranch_execz .LBB25_6568
; %bb.6565:
	s_mov_b32 s90, -1
	s_mov_b32 s89, exec_lo
	v_cmpx_eq_u16_e32 46, v1
	s_cbranch_execz .LBB25_6567
; %bb.6566:
	v_bfe_u32 v1, v116, 16, 1
	v_cmp_o_f32_e32 vcc_lo, v116, v116
	s_mov_b32 s88, exec_lo
	s_xor_b32 s90, exec_lo, -1
	s_delay_alu instid0(VALU_DEP_2) | instskip(NEXT) | instid1(VALU_DEP_1)
	v_add3_u32 v1, v116, v1, 0x7fff
	v_lshrrev_b32_e32 v1, 16, v1
	s_delay_alu instid0(VALU_DEP_1)
	v_cndmask_b32_e32 v1, 0x7fc0, v1, vcc_lo
	flat_store_b32 v[2:3], v1
.LBB25_6567:
	s_wait_xcnt 0x0
	s_or_b32 exec_lo, exec_lo, s89
	s_delay_alu instid0(SALU_CYCLE_1)
	s_and_not1_b32 s89, s72, exec_lo
	s_and_b32 s90, s90, exec_lo
	s_and_b32 s88, s88, exec_lo
	s_or_b32 s89, s89, s90
                                        ; implicit-def: $vgpr1
                                        ; implicit-def: $vgpr2_vgpr3
                                        ; implicit-def: $vgpr116
.LBB25_6568:
	s_and_not1_saveexec_b32 s90, s0
	s_cbranch_execz .LBB25_6574
; %bb.6569:
	s_mov_b32 s92, -1
	s_mov_b32 s0, s88
	s_mov_b32 s91, exec_lo
	v_cmpx_eq_u16_e32 44, v1
	s_cbranch_execz .LBB25_6573
; %bb.6570:
	v_bfe_u32 v4, v116, 23, 8
	v_mov_b32_e32 v1, 0xff
	s_mov_b32 s92, exec_lo
	s_delay_alu instid0(VALU_DEP_2)
	v_cmpx_ne_u32_e32 0xff, v4
	s_cbranch_execz .LBB25_6572
; %bb.6571:
	v_and_b32_e32 v1, 0x400000, v116
	v_and_or_b32 v4, 0x3fffff, v116, v4
	s_delay_alu instid0(VALU_DEP_2) | instskip(NEXT) | instid1(VALU_DEP_2)
	v_cmp_ne_u32_e32 vcc_lo, 0, v1
	v_cmp_ne_u32_e64 s0, 0, v4
	v_lshrrev_b32_e32 v1, 23, v116
	s_and_b32 s0, vcc_lo, s0
	s_delay_alu instid0(SALU_CYCLE_1) | instskip(NEXT) | instid1(VALU_DEP_1)
	v_cndmask_b32_e64 v4, 0, 1, s0
	v_add_nc_u32_e32 v1, v1, v4
.LBB25_6572:
	s_or_b32 exec_lo, exec_lo, s92
	s_delay_alu instid0(SALU_CYCLE_1)
	s_xor_b32 s92, exec_lo, -1
	s_or_b32 s0, s88, exec_lo
	flat_store_b8 v[2:3], v1
.LBB25_6573:
	s_wait_xcnt 0x0
	s_or_b32 exec_lo, exec_lo, s91
	s_delay_alu instid0(SALU_CYCLE_1)
	s_and_not1_b32 s89, s89, exec_lo
	s_and_b32 s91, s92, exec_lo
	s_and_not1_b32 s88, s88, exec_lo
	s_and_b32 s0, s0, exec_lo
	s_or_b32 s89, s89, s91
	s_or_b32 s88, s88, s0
.LBB25_6574:
	s_or_b32 exec_lo, exec_lo, s90
	s_delay_alu instid0(SALU_CYCLE_1) | instskip(SKIP_1) | instid1(SALU_CYCLE_1)
	s_and_not1_b32 s0, s72, exec_lo
	s_and_b32 s89, s89, exec_lo
                                        ; implicit-def: $vgpr1
                                        ; implicit-def: $vgpr116
                                        ; implicit-def: $vgpr2_vgpr3
	s_or_b32 s89, s0, s89
	s_and_b32 s0, s88, exec_lo
.LBB25_6575:
	s_and_not1_saveexec_b32 s79, s79
	s_cbranch_execz .LBB25_6579
; %bb.6576:
	s_mov_b32 s91, -1
	s_mov_b32 s90, s0
	s_mov_b32 s88, exec_lo
	v_cmpx_eq_u16_e32 29, v1
	s_cbranch_execz .LBB25_6578
; %bb.6577:
	v_trunc_f32_e32 v1, v116
	s_xor_b32 s91, exec_lo, -1
	s_or_b32 s90, s0, exec_lo
	s_delay_alu instid0(VALU_DEP_1) | instskip(NEXT) | instid1(VALU_DEP_1)
	v_mul_f32_e32 v4, 0x2f800000, v1
	v_floor_f32_e32 v4, v4
	s_delay_alu instid0(VALU_DEP_1) | instskip(SKIP_1) | instid1(VALU_DEP_2)
	v_fmamk_f32 v1, v4, 0xcf800000, v1
	v_cvt_u32_f32_e32 v5, v4
	v_cvt_u32_f32_e32 v4, v1
	flat_store_b64 v[2:3], v[4:5]
.LBB25_6578:
	s_wait_xcnt 0x0
	s_or_b32 exec_lo, exec_lo, s88
	s_delay_alu instid0(SALU_CYCLE_1)
	s_and_not1_b32 s88, s89, exec_lo
	s_and_b32 s89, s91, exec_lo
	s_and_not1_b32 s0, s0, exec_lo
	s_and_b32 s90, s90, exec_lo
	s_or_b32 s89, s88, s89
	s_or_b32 s0, s0, s90
.LBB25_6579:
	s_or_b32 exec_lo, exec_lo, s79
	s_delay_alu instid0(SALU_CYCLE_1)
	s_and_not1_b32 s79, s72, exec_lo
	s_and_b32 s88, s89, exec_lo
	s_and_b32 s0, s0, exec_lo
	s_or_b32 s79, s79, s88
                                        ; implicit-def: $vgpr2_vgpr3
                                        ; implicit-def: $vgpr1
                                        ; implicit-def: $vgpr116
.LBB25_6580:
	s_and_not1_saveexec_b32 s77, s77
	s_cbranch_execz .LBB25_6596
; %bb.6581:
	s_mov_b32 s88, exec_lo
	v_cmpx_lt_i16_e32 26, v1
	s_xor_b32 s88, exec_lo, s88
	s_cbranch_execz .LBB25_6587
; %bb.6582:
	v_cmp_lt_i16_e32 vcc_lo, 27, v1
	v_cvt_u32_f32_e32 v1, v116
	s_and_saveexec_b32 s89, vcc_lo
	s_delay_alu instid0(SALU_CYCLE_1)
	s_xor_b32 s89, exec_lo, s89
	s_cbranch_execz .LBB25_6584
; %bb.6583:
	flat_store_b32 v[2:3], v1
                                        ; implicit-def: $vgpr2_vgpr3
                                        ; implicit-def: $vgpr1
.LBB25_6584:
	s_wait_xcnt 0x0
	s_and_not1_saveexec_b32 s89, s89
	s_cbranch_execz .LBB25_6586
; %bb.6585:
	flat_store_b16 v[2:3], v1
.LBB25_6586:
	s_wait_xcnt 0x0
	s_or_b32 exec_lo, exec_lo, s89
                                        ; implicit-def: $vgpr2_vgpr3
                                        ; implicit-def: $vgpr116
.LBB25_6587:
	s_and_not1_saveexec_b32 s88, s88
	s_cbranch_execz .LBB25_6595
; %bb.6588:
	v_and_b32_e32 v1, 0x7fffffff, v116
	v_mov_b32_e32 v4, 0x80
	s_mov_b32 s89, exec_lo
	s_delay_alu instid0(VALU_DEP_2)
	v_cmpx_gt_u32_e32 0x43800000, v1
	s_cbranch_execz .LBB25_6594
; %bb.6589:
	v_cmp_lt_u32_e32 vcc_lo, 0x3bffffff, v1
	s_mov_b32 s90, 0
                                        ; implicit-def: $vgpr1
	s_and_saveexec_b32 s91, vcc_lo
	s_delay_alu instid0(SALU_CYCLE_1)
	s_xor_b32 s91, exec_lo, s91
	s_cbranch_execnz .LBB25_7967
; %bb.6590:
	s_and_not1_saveexec_b32 s91, s91
	s_cbranch_execnz .LBB25_7968
.LBB25_6591:
	s_or_b32 exec_lo, exec_lo, s91
	v_mov_b32_e32 v4, 0
	s_and_saveexec_b32 s91, s90
.LBB25_6592:
	v_lshrrev_b32_e32 v4, 24, v116
	s_delay_alu instid0(VALU_DEP_1)
	v_and_or_b32 v4, 0x80, v4, v1
.LBB25_6593:
	s_or_b32 exec_lo, exec_lo, s91
.LBB25_6594:
	s_delay_alu instid0(SALU_CYCLE_1)
	s_or_b32 exec_lo, exec_lo, s89
	flat_store_b8 v[2:3], v4
.LBB25_6595:
	s_wait_xcnt 0x0
	s_or_b32 exec_lo, exec_lo, s88
	s_delay_alu instid0(SALU_CYCLE_1)
	s_or_b32 s0, s0, exec_lo
.LBB25_6596:
	s_or_b32 exec_lo, exec_lo, s77
	s_delay_alu instid0(SALU_CYCLE_1)
	s_and_not1_b32 s77, s72, exec_lo
	s_and_b32 s79, s79, exec_lo
	s_and_b32 s0, s0, exec_lo
	s_or_b32 s77, s77, s79
                                        ; implicit-def: $vgpr1
                                        ; implicit-def: $vgpr116
                                        ; implicit-def: $vgpr2_vgpr3
.LBB25_6597:
	s_and_not1_saveexec_b32 s78, s78
	s_cbranch_execz .LBB25_6641
; %bb.6598:
	s_mov_b32 s88, s0
	s_mov_b32 s79, exec_lo
	v_cmpx_lt_i16_e32 22, v1
	s_xor_b32 s79, exec_lo, s79
	s_cbranch_execz .LBB25_6630
; %bb.6599:
	s_mov_b32 s88, exec_lo
	v_cmpx_lt_i16_e32 23, v1
	s_xor_b32 s88, exec_lo, s88
	s_cbranch_execz .LBB25_6619
; %bb.6600:
	;; [unrolled: 5-line block ×3, first 2 shown]
	v_and_b32_e32 v1, 0x7fffffff, v116
	v_mov_b32_e32 v4, 0x80
	s_mov_b32 s90, exec_lo
	s_delay_alu instid0(VALU_DEP_2)
	v_cmpx_gt_u32_e32 0x47800000, v1
	s_cbranch_execz .LBB25_6607
; %bb.6602:
	v_cmp_lt_u32_e32 vcc_lo, 0x37ffffff, v1
	s_mov_b32 s91, 0
                                        ; implicit-def: $vgpr1
	s_and_saveexec_b32 s92, vcc_lo
	s_delay_alu instid0(SALU_CYCLE_1)
	s_xor_b32 s92, exec_lo, s92
	s_cbranch_execnz .LBB25_7969
; %bb.6603:
	s_and_not1_saveexec_b32 s92, s92
	s_cbranch_execnz .LBB25_7970
.LBB25_6604:
	s_or_b32 exec_lo, exec_lo, s92
	v_mov_b32_e32 v4, 0
	s_and_saveexec_b32 s92, s91
.LBB25_6605:
	v_lshrrev_b32_e32 v4, 24, v116
	s_delay_alu instid0(VALU_DEP_1)
	v_and_or_b32 v4, 0x80, v4, v1
.LBB25_6606:
	s_or_b32 exec_lo, exec_lo, s92
.LBB25_6607:
	s_delay_alu instid0(SALU_CYCLE_1)
	s_or_b32 exec_lo, exec_lo, s90
	flat_store_b8 v[2:3], v4
                                        ; implicit-def: $vgpr116
                                        ; implicit-def: $vgpr2_vgpr3
.LBB25_6608:
	s_wait_xcnt 0x0
	s_and_not1_saveexec_b32 s89, s89
	s_cbranch_execz .LBB25_6618
; %bb.6609:
	v_and_b32_e32 v4, 0x7fffffff, v116
	s_mov_b32 s90, exec_lo
                                        ; implicit-def: $vgpr1
	s_delay_alu instid0(VALU_DEP_1)
	v_cmpx_gt_u32_e32 0x43f00000, v4
	s_xor_b32 s90, exec_lo, s90
	s_cbranch_execz .LBB25_6615
; %bb.6610:
	s_mov_b32 s91, exec_lo
                                        ; implicit-def: $vgpr1
	v_cmpx_lt_u32_e32 0x3c7fffff, v4
	s_xor_b32 s91, exec_lo, s91
; %bb.6611:
	v_bfe_u32 v1, v116, 20, 1
	s_delay_alu instid0(VALU_DEP_1) | instskip(NEXT) | instid1(VALU_DEP_1)
	v_add3_u32 v1, v116, v1, 0x407ffff
	v_and_b32_e32 v4, 0xff00000, v1
	v_lshrrev_b32_e32 v1, 20, v1
	s_delay_alu instid0(VALU_DEP_2) | instskip(NEXT) | instid1(VALU_DEP_2)
	v_cmp_ne_u32_e32 vcc_lo, 0x7f00000, v4
	v_cndmask_b32_e32 v1, 0x7e, v1, vcc_lo
; %bb.6612:
	s_and_not1_saveexec_b32 s91, s91
; %bb.6613:
	v_add_f32_e64 v1, 0x46800000, |v116|
; %bb.6614:
	s_or_b32 exec_lo, exec_lo, s91
                                        ; implicit-def: $vgpr4
.LBB25_6615:
	s_and_not1_saveexec_b32 s90, s90
; %bb.6616:
	v_mov_b32_e32 v1, 0x7f
	v_cmp_lt_u32_e32 vcc_lo, 0x7f800000, v4
	s_delay_alu instid0(VALU_DEP_2)
	v_cndmask_b32_e32 v1, 0x7e, v1, vcc_lo
; %bb.6617:
	s_or_b32 exec_lo, exec_lo, s90
	v_lshrrev_b32_e32 v4, 24, v116
	s_delay_alu instid0(VALU_DEP_1)
	v_and_or_b32 v1, 0x80, v4, v1
	flat_store_b8 v[2:3], v1
.LBB25_6618:
	s_wait_xcnt 0x0
	s_or_b32 exec_lo, exec_lo, s89
                                        ; implicit-def: $vgpr116
                                        ; implicit-def: $vgpr2_vgpr3
.LBB25_6619:
	s_and_not1_saveexec_b32 s88, s88
	s_cbranch_execz .LBB25_6629
; %bb.6620:
	v_and_b32_e32 v4, 0x7fffffff, v116
	s_mov_b32 s89, exec_lo
                                        ; implicit-def: $vgpr1
	s_delay_alu instid0(VALU_DEP_1)
	v_cmpx_gt_u32_e32 0x47800000, v4
	s_xor_b32 s89, exec_lo, s89
	s_cbranch_execz .LBB25_6626
; %bb.6621:
	s_mov_b32 s90, exec_lo
                                        ; implicit-def: $vgpr1
	v_cmpx_lt_u32_e32 0x387fffff, v4
	s_xor_b32 s90, exec_lo, s90
; %bb.6622:
	v_bfe_u32 v1, v116, 21, 1
	s_delay_alu instid0(VALU_DEP_1) | instskip(NEXT) | instid1(VALU_DEP_1)
	v_add3_u32 v1, v116, v1, 0x80fffff
	v_lshrrev_b32_e32 v1, 21, v1
; %bb.6623:
	s_and_not1_saveexec_b32 s90, s90
; %bb.6624:
	v_add_f32_e64 v1, 0x43000000, |v116|
; %bb.6625:
	s_or_b32 exec_lo, exec_lo, s90
                                        ; implicit-def: $vgpr4
.LBB25_6626:
	s_and_not1_saveexec_b32 s89, s89
; %bb.6627:
	v_mov_b32_e32 v1, 0x7f
	v_cmp_lt_u32_e32 vcc_lo, 0x7f800000, v4
	s_delay_alu instid0(VALU_DEP_2)
	v_cndmask_b32_e32 v1, 0x7c, v1, vcc_lo
; %bb.6628:
	s_or_b32 exec_lo, exec_lo, s89
	v_lshrrev_b32_e32 v4, 24, v116
	s_delay_alu instid0(VALU_DEP_1)
	v_and_or_b32 v1, 0x80, v4, v1
	flat_store_b8 v[2:3], v1
.LBB25_6629:
	s_wait_xcnt 0x0
	s_or_b32 exec_lo, exec_lo, s88
	s_delay_alu instid0(SALU_CYCLE_1)
	s_or_b32 s88, s0, exec_lo
                                        ; implicit-def: $vgpr1
                                        ; implicit-def: $vgpr116
                                        ; implicit-def: $vgpr2_vgpr3
.LBB25_6630:
	s_or_saveexec_b32 s79, s79
	s_mov_b32 s89, s77
	s_xor_b32 exec_lo, exec_lo, s79
	s_cbranch_execz .LBB25_6640
; %bb.6631:
	s_mov_b32 s89, s88
	s_mov_b32 s90, s77
	s_mov_b32 s91, exec_lo
	v_cmpx_lt_i16_e32 14, v1
	s_xor_b32 s91, exec_lo, s91
	s_cbranch_execz .LBB25_6635
; %bb.6632:
	s_mov_b32 s92, -1
	s_mov_b32 s89, s88
	s_mov_b32 s90, exec_lo
	v_cmpx_eq_u16_e32 15, v1
	s_cbranch_execz .LBB25_6634
; %bb.6633:
	v_bfe_u32 v1, v116, 16, 1
	v_cmp_o_f32_e32 vcc_lo, v116, v116
	s_xor_b32 s92, exec_lo, -1
	s_or_b32 s89, s88, exec_lo
	s_delay_alu instid0(VALU_DEP_2) | instskip(NEXT) | instid1(VALU_DEP_1)
	v_add3_u32 v1, v116, v1, 0x7fff
	v_lshrrev_b32_e32 v1, 16, v1
	s_delay_alu instid0(VALU_DEP_1)
	v_cndmask_b32_e32 v1, 0x7fc0, v1, vcc_lo
	flat_store_b16 v[2:3], v1
.LBB25_6634:
	s_wait_xcnt 0x0
	s_or_b32 exec_lo, exec_lo, s90
	s_delay_alu instid0(SALU_CYCLE_1)
	s_and_not1_b32 s90, s77, exec_lo
	s_and_b32 s92, s92, exec_lo
	s_and_not1_b32 s93, s88, exec_lo
	s_and_b32 s89, s89, exec_lo
	s_or_b32 s90, s90, s92
	s_or_b32 s89, s93, s89
                                        ; implicit-def: $vgpr1
                                        ; implicit-def: $vgpr116
                                        ; implicit-def: $vgpr2_vgpr3
.LBB25_6635:
	s_and_not1_saveexec_b32 s91, s91
	s_cbranch_execz .LBB25_6639
; %bb.6636:
	s_mov_b32 s93, -1
	s_mov_b32 s92, s89
	s_mov_b32 s94, exec_lo
	v_cmpx_eq_u16_e32 11, v1
	s_cbranch_execz .LBB25_6638
; %bb.6637:
	v_cmp_neq_f32_e32 vcc_lo, 0, v116
	s_xor_b32 s93, exec_lo, -1
	s_or_b32 s92, s89, exec_lo
	v_cndmask_b32_e64 v1, 0, 1, vcc_lo
	flat_store_b8 v[2:3], v1
.LBB25_6638:
	s_wait_xcnt 0x0
	s_or_b32 exec_lo, exec_lo, s94
	s_delay_alu instid0(SALU_CYCLE_1)
	s_and_not1_b32 s90, s90, exec_lo
	s_and_b32 s93, s93, exec_lo
	s_and_not1_b32 s89, s89, exec_lo
	s_and_b32 s92, s92, exec_lo
	s_or_b32 s90, s90, s93
	s_or_b32 s89, s89, s92
.LBB25_6639:
	s_or_b32 exec_lo, exec_lo, s91
	s_delay_alu instid0(SALU_CYCLE_1)
	s_and_not1_b32 s91, s77, exec_lo
	s_and_b32 s90, s90, exec_lo
	s_and_not1_b32 s88, s88, exec_lo
	s_and_b32 s92, s89, exec_lo
	s_or_b32 s89, s91, s90
	s_or_b32 s88, s88, s92
.LBB25_6640:
	s_or_b32 exec_lo, exec_lo, s79
	s_delay_alu instid0(SALU_CYCLE_1)
	s_and_not1_b32 s77, s77, exec_lo
	s_and_b32 s79, s89, exec_lo
	s_and_not1_b32 s0, s0, exec_lo
	s_and_b32 s88, s88, exec_lo
	s_or_b32 s77, s77, s79
	s_or_b32 s0, s0, s88
.LBB25_6641:
	s_or_b32 exec_lo, exec_lo, s78
	s_delay_alu instid0(SALU_CYCLE_1)
	s_and_not1_b32 s78, s72, exec_lo
	s_and_b32 s77, s77, exec_lo
	s_and_b32 s0, s0, exec_lo
	s_or_b32 s77, s78, s77
                                        ; implicit-def: $vgpr1
                                        ; implicit-def: $vgpr116
                                        ; implicit-def: $vgpr2_vgpr3
.LBB25_6642:
	s_and_not1_saveexec_b32 s74, s74
	s_cbranch_execz .LBB25_6684
; %bb.6643:
	s_mov_b32 s78, exec_lo
	v_cmpx_lt_i16_e32 4, v1
	s_xor_b32 s78, exec_lo, s78
	s_cbranch_execz .LBB25_6665
; %bb.6644:
	s_mov_b32 s79, exec_lo
	v_cmpx_lt_i16_e32 7, v1
	s_xor_b32 s79, exec_lo, s79
	;; [unrolled: 5-line block ×4, first 2 shown]
	s_cbranch_execz .LBB25_6648
; %bb.6647:
	v_cvt_f64_f32_e32 v[4:5], v116
	v_mov_b32_e32 v6, 0
                                        ; implicit-def: $vgpr116
	s_delay_alu instid0(VALU_DEP_1)
	v_mov_b32_e32 v7, v6
	flat_store_b128 v[2:3], v[4:7]
                                        ; implicit-def: $vgpr2_vgpr3
.LBB25_6648:
	s_wait_xcnt 0x0
	s_and_not1_saveexec_b32 s89, s89
	s_cbranch_execz .LBB25_6650
; %bb.6649:
	v_mov_b32_e32 v117, 0
	flat_store_b64 v[2:3], v[116:117]
.LBB25_6650:
	s_wait_xcnt 0x0
	s_or_b32 exec_lo, exec_lo, s89
                                        ; implicit-def: $vgpr116
                                        ; implicit-def: $vgpr2_vgpr3
.LBB25_6651:
	s_and_not1_saveexec_b32 s88, s88
	s_cbranch_execz .LBB25_6653
; %bb.6652:
	v_cvt_f16_f32_e32 v1, v116
	s_delay_alu instid0(VALU_DEP_1)
	v_and_b32_e32 v1, 0xffff, v1
	flat_store_b32 v[2:3], v1
.LBB25_6653:
	s_wait_xcnt 0x0
	s_or_b32 exec_lo, exec_lo, s88
                                        ; implicit-def: $vgpr116
                                        ; implicit-def: $vgpr2_vgpr3
                                        ; implicit-def: $vgpr1
.LBB25_6654:
	s_and_not1_saveexec_b32 s79, s79
	s_cbranch_execz .LBB25_6664
; %bb.6655:
	s_mov_b32 s88, exec_lo
	v_cmpx_lt_i16_e32 5, v1
	s_xor_b32 s88, exec_lo, s88
	s_cbranch_execz .LBB25_6661
; %bb.6656:
	s_mov_b32 s89, exec_lo
	v_cmpx_lt_i16_e32 6, v1
	s_xor_b32 s89, exec_lo, s89
	s_cbranch_execz .LBB25_6658
; %bb.6657:
	v_cvt_f64_f32_e32 v[4:5], v116
                                        ; implicit-def: $vgpr116
	flat_store_b64 v[2:3], v[4:5]
                                        ; implicit-def: $vgpr2_vgpr3
.LBB25_6658:
	s_wait_xcnt 0x0
	s_and_not1_saveexec_b32 s89, s89
	s_cbranch_execz .LBB25_6660
; %bb.6659:
	flat_store_b32 v[2:3], v116
.LBB25_6660:
	s_wait_xcnt 0x0
	s_or_b32 exec_lo, exec_lo, s89
                                        ; implicit-def: $vgpr116
                                        ; implicit-def: $vgpr2_vgpr3
.LBB25_6661:
	s_and_not1_saveexec_b32 s88, s88
	s_cbranch_execz .LBB25_6663
; %bb.6662:
	v_cvt_f16_f32_e32 v1, v116
	flat_store_b16 v[2:3], v1
.LBB25_6663:
	s_wait_xcnt 0x0
	s_or_b32 exec_lo, exec_lo, s88
.LBB25_6664:
	s_delay_alu instid0(SALU_CYCLE_1)
	s_or_b32 exec_lo, exec_lo, s79
                                        ; implicit-def: $vgpr1
                                        ; implicit-def: $vgpr116
                                        ; implicit-def: $vgpr2_vgpr3
.LBB25_6665:
	s_and_not1_saveexec_b32 s78, s78
	s_cbranch_execz .LBB25_6683
; %bb.6666:
	s_mov_b32 s79, exec_lo
	v_cmpx_lt_i16_e32 1, v1
	s_xor_b32 s79, exec_lo, s79
	s_cbranch_execz .LBB25_6676
; %bb.6667:
	s_mov_b32 s88, exec_lo
	v_cmpx_lt_i16_e32 2, v1
	s_xor_b32 s88, exec_lo, s88
	;; [unrolled: 5-line block ×3, first 2 shown]
	s_cbranch_execz .LBB25_6670
; %bb.6669:
	v_trunc_f32_e32 v1, v116
                                        ; implicit-def: $vgpr116
	s_delay_alu instid0(VALU_DEP_1) | instskip(NEXT) | instid1(VALU_DEP_1)
	v_mul_f32_e64 v4, 0x2f800000, |v1|
	v_floor_f32_e32 v5, v4
	v_ashrrev_i32_e32 v4, 31, v1
	s_delay_alu instid0(VALU_DEP_2) | instskip(SKIP_1) | instid1(VALU_DEP_3)
	v_fma_f32 v6, 0xcf800000, v5, |v1|
	v_cvt_u32_f32_e32 v1, v5
	v_mov_b32_e32 v5, v4
	s_delay_alu instid0(VALU_DEP_3) | instskip(NEXT) | instid1(VALU_DEP_3)
	v_cvt_u32_f32_e32 v6, v6
	v_xor_b32_e32 v7, v1, v4
	s_delay_alu instid0(VALU_DEP_2) | instskip(NEXT) | instid1(VALU_DEP_1)
	v_xor_b32_e32 v6, v6, v4
	v_sub_nc_u64_e32 v[4:5], v[6:7], v[4:5]
	flat_store_b64 v[2:3], v[4:5]
                                        ; implicit-def: $vgpr2_vgpr3
.LBB25_6670:
	s_wait_xcnt 0x0
	s_and_not1_saveexec_b32 s89, s89
	s_cbranch_execz .LBB25_6672
; %bb.6671:
	v_cvt_i32_f32_e32 v1, v116
	flat_store_b32 v[2:3], v1
.LBB25_6672:
	s_wait_xcnt 0x0
	s_or_b32 exec_lo, exec_lo, s89
                                        ; implicit-def: $vgpr116
                                        ; implicit-def: $vgpr2_vgpr3
.LBB25_6673:
	s_and_not1_saveexec_b32 s88, s88
	s_cbranch_execz .LBB25_6675
; %bb.6674:
	v_cvt_i32_f32_e32 v1, v116
	flat_store_b16 v[2:3], v1
.LBB25_6675:
	s_wait_xcnt 0x0
	s_or_b32 exec_lo, exec_lo, s88
                                        ; implicit-def: $vgpr116
                                        ; implicit-def: $vgpr2_vgpr3
                                        ; implicit-def: $vgpr1
.LBB25_6676:
	s_and_not1_saveexec_b32 s79, s79
	s_cbranch_execz .LBB25_6682
; %bb.6677:
	s_mov_b32 s88, exec_lo
	v_cmpx_lt_i16_e32 0, v1
	s_xor_b32 s88, exec_lo, s88
	s_cbranch_execz .LBB25_6679
; %bb.6678:
	v_cvt_i32_f32_e32 v1, v116
                                        ; implicit-def: $vgpr116
	flat_store_b8 v[2:3], v1
                                        ; implicit-def: $vgpr2_vgpr3
.LBB25_6679:
	s_wait_xcnt 0x0
	s_and_not1_saveexec_b32 s88, s88
	s_cbranch_execz .LBB25_6681
; %bb.6680:
	v_trunc_f32_e32 v1, v116
	s_delay_alu instid0(VALU_DEP_1) | instskip(NEXT) | instid1(VALU_DEP_1)
	v_mul_f32_e64 v4, 0x2f800000, |v1|
	v_floor_f32_e32 v4, v4
	s_delay_alu instid0(VALU_DEP_1) | instskip(SKIP_1) | instid1(VALU_DEP_2)
	v_fma_f32 v4, 0xcf800000, v4, |v1|
	v_ashrrev_i32_e32 v1, 31, v1
	v_cvt_u32_f32_e32 v4, v4
	s_delay_alu instid0(VALU_DEP_1) | instskip(NEXT) | instid1(VALU_DEP_1)
	v_xor_b32_e32 v4, v4, v1
	v_sub_nc_u32_e32 v1, v4, v1
	flat_store_b8 v[2:3], v1
.LBB25_6681:
	s_wait_xcnt 0x0
	s_or_b32 exec_lo, exec_lo, s88
.LBB25_6682:
	s_delay_alu instid0(SALU_CYCLE_1)
	s_or_b32 exec_lo, exec_lo, s79
.LBB25_6683:
	s_delay_alu instid0(SALU_CYCLE_1) | instskip(NEXT) | instid1(SALU_CYCLE_1)
	s_or_b32 exec_lo, exec_lo, s78
	s_or_b32 s0, s0, exec_lo
.LBB25_6684:
	s_or_b32 exec_lo, exec_lo, s74
	s_mov_b32 s78, 0
	s_mov_b32 s74, 0
	s_and_saveexec_b32 s79, s0
; %bb.6685:
	v_add_nc_u32_e32 v209, 0x200, v209
	s_mov_b32 s78, exec_lo
	s_delay_alu instid0(VALU_DEP_1)
	v_cmp_lt_i32_e32 vcc_lo, v209, v211
	s_and_b32 s74, vcc_lo, exec_lo
; %bb.6686:
	s_or_b32 exec_lo, exec_lo, s79
	s_delay_alu instid0(SALU_CYCLE_1)
	s_and_not1_b32 s0, s72, exec_lo
	s_and_b32 s77, s77, exec_lo
	s_and_b32 s79, s74, exec_lo
	s_or_b32 s74, s0, s77
	s_or_not1_b32 s78, s78, exec_lo
.LBB25_6687:
	s_or_b32 exec_lo, exec_lo, s75
	s_mov_b32 s0, 0
	s_mov_b32 s77, 0
                                        ; implicit-def: $vgpr4
                                        ; implicit-def: $vgpr2_vgpr3
	s_and_saveexec_b32 s75, s78
	s_cbranch_execz .LBB25_7809
; %bb.6688:
	s_mov_b32 s88, -1
	s_mov_b32 s78, 0
	s_mov_b32 s76, s74
	s_and_saveexec_b32 s77, s79
	s_cbranch_execz .LBB25_6816
; %bb.6689:
	v_dual_add_nc_u32 v1, s60, v209 :: v_dual_mov_b32 v3, 0
	s_mov_b32 s79, s74
	s_mov_b32 s76, exec_lo
	s_delay_alu instid0(VALU_DEP_1) | instskip(SKIP_1) | instid1(VALU_DEP_2)
	v_mul_lo_u32 v2, v1, v210
	v_and_b32_e32 v1, 0xff, v85
	v_add_nc_u64_e32 v[2:3], v[212:213], v[2:3]
	s_delay_alu instid0(VALU_DEP_2)
	v_cmpx_lt_i16_e32 10, v1
	s_xor_b32 s76, exec_lo, s76
	s_cbranch_execz .LBB25_6771
; %bb.6690:
	s_mov_b32 s79, s74
	s_mov_b32 s88, exec_lo
	v_cmpx_lt_i16_e32 25, v1
	s_xor_b32 s88, exec_lo, s88
	s_cbranch_execz .LBB25_6726
; %bb.6691:
	s_mov_b32 s89, s74
	s_mov_b32 s79, exec_lo
	;; [unrolled: 6-line block ×3, first 2 shown]
	v_cmpx_lt_i16_e32 43, v1
	s_xor_b32 s89, exec_lo, s89
	s_cbranch_execz .LBB25_6704
; %bb.6693:
	s_mov_b32 s90, 0
	s_mov_b32 s91, s74
	s_mov_b32 s0, exec_lo
	v_cmpx_lt_i16_e32 45, v1
	s_xor_b32 s0, exec_lo, s0
	s_cbranch_execz .LBB25_6697
; %bb.6694:
	s_mov_b32 s92, -1
	s_mov_b32 s91, exec_lo
	v_cmpx_eq_u16_e32 46, v1
	s_cbranch_execz .LBB25_6696
; %bb.6695:
	v_bfe_u32 v1, v114, 16, 1
	v_cmp_o_f32_e32 vcc_lo, v114, v114
	s_mov_b32 s90, exec_lo
	s_xor_b32 s92, exec_lo, -1
	s_delay_alu instid0(VALU_DEP_2) | instskip(NEXT) | instid1(VALU_DEP_1)
	v_add3_u32 v1, v114, v1, 0x7fff
	v_lshrrev_b32_e32 v1, 16, v1
	s_delay_alu instid0(VALU_DEP_1)
	v_cndmask_b32_e32 v1, 0x7fc0, v1, vcc_lo
	flat_store_b32 v[2:3], v1
.LBB25_6696:
	s_wait_xcnt 0x0
	s_or_b32 exec_lo, exec_lo, s91
	s_delay_alu instid0(SALU_CYCLE_1)
	s_and_not1_b32 s91, s74, exec_lo
	s_and_b32 s92, s92, exec_lo
	s_and_b32 s90, s90, exec_lo
	s_or_b32 s91, s91, s92
                                        ; implicit-def: $vgpr1
                                        ; implicit-def: $vgpr2_vgpr3
                                        ; implicit-def: $vgpr114
.LBB25_6697:
	s_and_not1_saveexec_b32 s92, s0
	s_cbranch_execz .LBB25_6703
; %bb.6698:
	s_mov_b32 s94, -1
	s_mov_b32 s0, s90
	s_mov_b32 s93, exec_lo
	v_cmpx_eq_u16_e32 44, v1
	s_cbranch_execz .LBB25_6702
; %bb.6699:
	v_bfe_u32 v4, v114, 23, 8
	v_mov_b32_e32 v1, 0xff
	s_mov_b32 s94, exec_lo
	s_delay_alu instid0(VALU_DEP_2)
	v_cmpx_ne_u32_e32 0xff, v4
	s_cbranch_execz .LBB25_6701
; %bb.6700:
	v_and_b32_e32 v1, 0x400000, v114
	v_and_or_b32 v4, 0x3fffff, v114, v4
	s_delay_alu instid0(VALU_DEP_2) | instskip(NEXT) | instid1(VALU_DEP_2)
	v_cmp_ne_u32_e32 vcc_lo, 0, v1
	v_cmp_ne_u32_e64 s0, 0, v4
	v_lshrrev_b32_e32 v1, 23, v114
	s_and_b32 s0, vcc_lo, s0
	s_delay_alu instid0(SALU_CYCLE_1) | instskip(NEXT) | instid1(VALU_DEP_1)
	v_cndmask_b32_e64 v4, 0, 1, s0
	v_add_nc_u32_e32 v1, v1, v4
.LBB25_6701:
	s_or_b32 exec_lo, exec_lo, s94
	s_delay_alu instid0(SALU_CYCLE_1)
	s_xor_b32 s94, exec_lo, -1
	s_or_b32 s0, s90, exec_lo
	flat_store_b8 v[2:3], v1
.LBB25_6702:
	s_wait_xcnt 0x0
	s_or_b32 exec_lo, exec_lo, s93
	s_delay_alu instid0(SALU_CYCLE_1)
	s_and_not1_b32 s91, s91, exec_lo
	s_and_b32 s93, s94, exec_lo
	s_and_not1_b32 s90, s90, exec_lo
	s_and_b32 s0, s0, exec_lo
	s_or_b32 s91, s91, s93
	s_or_b32 s90, s90, s0
.LBB25_6703:
	s_or_b32 exec_lo, exec_lo, s92
	s_delay_alu instid0(SALU_CYCLE_1) | instskip(SKIP_1) | instid1(SALU_CYCLE_1)
	s_and_not1_b32 s0, s74, exec_lo
	s_and_b32 s91, s91, exec_lo
                                        ; implicit-def: $vgpr1
                                        ; implicit-def: $vgpr114
                                        ; implicit-def: $vgpr2_vgpr3
	s_or_b32 s91, s0, s91
	s_and_b32 s0, s90, exec_lo
.LBB25_6704:
	s_and_not1_saveexec_b32 s89, s89
	s_cbranch_execz .LBB25_6708
; %bb.6705:
	s_mov_b32 s93, -1
	s_mov_b32 s92, s0
	s_mov_b32 s90, exec_lo
	v_cmpx_eq_u16_e32 29, v1
	s_cbranch_execz .LBB25_6707
; %bb.6706:
	v_trunc_f32_e32 v1, v114
	s_xor_b32 s93, exec_lo, -1
	s_or_b32 s92, s0, exec_lo
	s_delay_alu instid0(VALU_DEP_1) | instskip(NEXT) | instid1(VALU_DEP_1)
	v_mul_f32_e32 v4, 0x2f800000, v1
	v_floor_f32_e32 v4, v4
	s_delay_alu instid0(VALU_DEP_1) | instskip(SKIP_1) | instid1(VALU_DEP_2)
	v_fmamk_f32 v1, v4, 0xcf800000, v1
	v_cvt_u32_f32_e32 v5, v4
	v_cvt_u32_f32_e32 v4, v1
	flat_store_b64 v[2:3], v[4:5]
.LBB25_6707:
	s_wait_xcnt 0x0
	s_or_b32 exec_lo, exec_lo, s90
	s_delay_alu instid0(SALU_CYCLE_1)
	s_and_not1_b32 s90, s91, exec_lo
	s_and_b32 s91, s93, exec_lo
	s_and_not1_b32 s0, s0, exec_lo
	s_and_b32 s92, s92, exec_lo
	s_or_b32 s91, s90, s91
	s_or_b32 s0, s0, s92
.LBB25_6708:
	s_or_b32 exec_lo, exec_lo, s89
	s_delay_alu instid0(SALU_CYCLE_1)
	s_and_not1_b32 s89, s74, exec_lo
	s_and_b32 s90, s91, exec_lo
	s_and_b32 s0, s0, exec_lo
	s_or_b32 s89, s89, s90
                                        ; implicit-def: $vgpr2_vgpr3
                                        ; implicit-def: $vgpr1
                                        ; implicit-def: $vgpr114
.LBB25_6709:
	s_and_not1_saveexec_b32 s79, s79
	s_cbranch_execz .LBB25_6725
; %bb.6710:
	s_mov_b32 s90, exec_lo
	v_cmpx_lt_i16_e32 26, v1
	s_xor_b32 s90, exec_lo, s90
	s_cbranch_execz .LBB25_6716
; %bb.6711:
	v_cmp_lt_i16_e32 vcc_lo, 27, v1
	v_cvt_u32_f32_e32 v1, v114
	s_and_saveexec_b32 s91, vcc_lo
	s_delay_alu instid0(SALU_CYCLE_1)
	s_xor_b32 s91, exec_lo, s91
	s_cbranch_execz .LBB25_6713
; %bb.6712:
	flat_store_b32 v[2:3], v1
                                        ; implicit-def: $vgpr2_vgpr3
                                        ; implicit-def: $vgpr1
.LBB25_6713:
	s_wait_xcnt 0x0
	s_and_not1_saveexec_b32 s91, s91
	s_cbranch_execz .LBB25_6715
; %bb.6714:
	flat_store_b16 v[2:3], v1
.LBB25_6715:
	s_wait_xcnt 0x0
	s_or_b32 exec_lo, exec_lo, s91
                                        ; implicit-def: $vgpr2_vgpr3
                                        ; implicit-def: $vgpr114
.LBB25_6716:
	s_and_not1_saveexec_b32 s90, s90
	s_cbranch_execz .LBB25_6724
; %bb.6717:
	v_and_b32_e32 v1, 0x7fffffff, v114
	v_mov_b32_e32 v4, 0x80
	s_mov_b32 s91, exec_lo
	s_delay_alu instid0(VALU_DEP_2)
	v_cmpx_gt_u32_e32 0x43800000, v1
	s_cbranch_execz .LBB25_6723
; %bb.6718:
	v_cmp_lt_u32_e32 vcc_lo, 0x3bffffff, v1
	s_mov_b32 s92, 0
                                        ; implicit-def: $vgpr1
	s_and_saveexec_b32 s93, vcc_lo
	s_delay_alu instid0(SALU_CYCLE_1)
	s_xor_b32 s93, exec_lo, s93
	s_cbranch_execnz .LBB25_7971
; %bb.6719:
	s_and_not1_saveexec_b32 s93, s93
	s_cbranch_execnz .LBB25_7972
.LBB25_6720:
	s_or_b32 exec_lo, exec_lo, s93
	v_mov_b32_e32 v4, 0
	s_and_saveexec_b32 s93, s92
.LBB25_6721:
	v_lshrrev_b32_e32 v4, 24, v114
	s_delay_alu instid0(VALU_DEP_1)
	v_and_or_b32 v4, 0x80, v4, v1
.LBB25_6722:
	s_or_b32 exec_lo, exec_lo, s93
.LBB25_6723:
	s_delay_alu instid0(SALU_CYCLE_1)
	s_or_b32 exec_lo, exec_lo, s91
	flat_store_b8 v[2:3], v4
.LBB25_6724:
	s_wait_xcnt 0x0
	s_or_b32 exec_lo, exec_lo, s90
	s_delay_alu instid0(SALU_CYCLE_1)
	s_or_b32 s0, s0, exec_lo
.LBB25_6725:
	s_or_b32 exec_lo, exec_lo, s79
	s_delay_alu instid0(SALU_CYCLE_1)
	s_and_not1_b32 s79, s74, exec_lo
	s_and_b32 s89, s89, exec_lo
	s_and_b32 s0, s0, exec_lo
	s_or_b32 s79, s79, s89
                                        ; implicit-def: $vgpr1
                                        ; implicit-def: $vgpr114
                                        ; implicit-def: $vgpr2_vgpr3
.LBB25_6726:
	s_and_not1_saveexec_b32 s88, s88
	s_cbranch_execz .LBB25_6770
; %bb.6727:
	s_mov_b32 s90, s0
	s_mov_b32 s89, exec_lo
	v_cmpx_lt_i16_e32 22, v1
	s_xor_b32 s89, exec_lo, s89
	s_cbranch_execz .LBB25_6759
; %bb.6728:
	s_mov_b32 s90, exec_lo
	v_cmpx_lt_i16_e32 23, v1
	s_xor_b32 s90, exec_lo, s90
	s_cbranch_execz .LBB25_6748
; %bb.6729:
	;; [unrolled: 5-line block ×3, first 2 shown]
	v_and_b32_e32 v1, 0x7fffffff, v114
	v_mov_b32_e32 v4, 0x80
	s_mov_b32 s92, exec_lo
	s_delay_alu instid0(VALU_DEP_2)
	v_cmpx_gt_u32_e32 0x47800000, v1
	s_cbranch_execz .LBB25_6736
; %bb.6731:
	v_cmp_lt_u32_e32 vcc_lo, 0x37ffffff, v1
	s_mov_b32 s93, 0
                                        ; implicit-def: $vgpr1
	s_and_saveexec_b32 s94, vcc_lo
	s_delay_alu instid0(SALU_CYCLE_1)
	s_xor_b32 s94, exec_lo, s94
	s_cbranch_execnz .LBB25_7973
; %bb.6732:
	s_and_not1_saveexec_b32 s94, s94
	s_cbranch_execnz .LBB25_7974
.LBB25_6733:
	s_or_b32 exec_lo, exec_lo, s94
	v_mov_b32_e32 v4, 0
	s_and_saveexec_b32 s94, s93
.LBB25_6734:
	v_lshrrev_b32_e32 v4, 24, v114
	s_delay_alu instid0(VALU_DEP_1)
	v_and_or_b32 v4, 0x80, v4, v1
.LBB25_6735:
	s_or_b32 exec_lo, exec_lo, s94
.LBB25_6736:
	s_delay_alu instid0(SALU_CYCLE_1)
	s_or_b32 exec_lo, exec_lo, s92
	flat_store_b8 v[2:3], v4
                                        ; implicit-def: $vgpr114
                                        ; implicit-def: $vgpr2_vgpr3
.LBB25_6737:
	s_wait_xcnt 0x0
	s_and_not1_saveexec_b32 s91, s91
	s_cbranch_execz .LBB25_6747
; %bb.6738:
	v_and_b32_e32 v4, 0x7fffffff, v114
	s_mov_b32 s92, exec_lo
                                        ; implicit-def: $vgpr1
	s_delay_alu instid0(VALU_DEP_1)
	v_cmpx_gt_u32_e32 0x43f00000, v4
	s_xor_b32 s92, exec_lo, s92
	s_cbranch_execz .LBB25_6744
; %bb.6739:
	s_mov_b32 s93, exec_lo
                                        ; implicit-def: $vgpr1
	v_cmpx_lt_u32_e32 0x3c7fffff, v4
	s_xor_b32 s93, exec_lo, s93
; %bb.6740:
	v_bfe_u32 v1, v114, 20, 1
	s_delay_alu instid0(VALU_DEP_1) | instskip(NEXT) | instid1(VALU_DEP_1)
	v_add3_u32 v1, v114, v1, 0x407ffff
	v_and_b32_e32 v4, 0xff00000, v1
	v_lshrrev_b32_e32 v1, 20, v1
	s_delay_alu instid0(VALU_DEP_2) | instskip(NEXT) | instid1(VALU_DEP_2)
	v_cmp_ne_u32_e32 vcc_lo, 0x7f00000, v4
	v_cndmask_b32_e32 v1, 0x7e, v1, vcc_lo
; %bb.6741:
	s_and_not1_saveexec_b32 s93, s93
; %bb.6742:
	v_add_f32_e64 v1, 0x46800000, |v114|
; %bb.6743:
	s_or_b32 exec_lo, exec_lo, s93
                                        ; implicit-def: $vgpr4
.LBB25_6744:
	s_and_not1_saveexec_b32 s92, s92
; %bb.6745:
	v_mov_b32_e32 v1, 0x7f
	v_cmp_lt_u32_e32 vcc_lo, 0x7f800000, v4
	s_delay_alu instid0(VALU_DEP_2)
	v_cndmask_b32_e32 v1, 0x7e, v1, vcc_lo
; %bb.6746:
	s_or_b32 exec_lo, exec_lo, s92
	v_lshrrev_b32_e32 v4, 24, v114
	s_delay_alu instid0(VALU_DEP_1)
	v_and_or_b32 v1, 0x80, v4, v1
	flat_store_b8 v[2:3], v1
.LBB25_6747:
	s_wait_xcnt 0x0
	s_or_b32 exec_lo, exec_lo, s91
                                        ; implicit-def: $vgpr114
                                        ; implicit-def: $vgpr2_vgpr3
.LBB25_6748:
	s_and_not1_saveexec_b32 s90, s90
	s_cbranch_execz .LBB25_6758
; %bb.6749:
	v_and_b32_e32 v4, 0x7fffffff, v114
	s_mov_b32 s91, exec_lo
                                        ; implicit-def: $vgpr1
	s_delay_alu instid0(VALU_DEP_1)
	v_cmpx_gt_u32_e32 0x47800000, v4
	s_xor_b32 s91, exec_lo, s91
	s_cbranch_execz .LBB25_6755
; %bb.6750:
	s_mov_b32 s92, exec_lo
                                        ; implicit-def: $vgpr1
	v_cmpx_lt_u32_e32 0x387fffff, v4
	s_xor_b32 s92, exec_lo, s92
; %bb.6751:
	v_bfe_u32 v1, v114, 21, 1
	s_delay_alu instid0(VALU_DEP_1) | instskip(NEXT) | instid1(VALU_DEP_1)
	v_add3_u32 v1, v114, v1, 0x80fffff
	v_lshrrev_b32_e32 v1, 21, v1
; %bb.6752:
	s_and_not1_saveexec_b32 s92, s92
; %bb.6753:
	v_add_f32_e64 v1, 0x43000000, |v114|
; %bb.6754:
	s_or_b32 exec_lo, exec_lo, s92
                                        ; implicit-def: $vgpr4
.LBB25_6755:
	s_and_not1_saveexec_b32 s91, s91
; %bb.6756:
	v_mov_b32_e32 v1, 0x7f
	v_cmp_lt_u32_e32 vcc_lo, 0x7f800000, v4
	s_delay_alu instid0(VALU_DEP_2)
	v_cndmask_b32_e32 v1, 0x7c, v1, vcc_lo
; %bb.6757:
	s_or_b32 exec_lo, exec_lo, s91
	v_lshrrev_b32_e32 v4, 24, v114
	s_delay_alu instid0(VALU_DEP_1)
	v_and_or_b32 v1, 0x80, v4, v1
	flat_store_b8 v[2:3], v1
.LBB25_6758:
	s_wait_xcnt 0x0
	s_or_b32 exec_lo, exec_lo, s90
	s_delay_alu instid0(SALU_CYCLE_1)
	s_or_b32 s90, s0, exec_lo
                                        ; implicit-def: $vgpr1
                                        ; implicit-def: $vgpr114
                                        ; implicit-def: $vgpr2_vgpr3
.LBB25_6759:
	s_or_saveexec_b32 s89, s89
	s_mov_b32 s91, s79
	s_xor_b32 exec_lo, exec_lo, s89
	s_cbranch_execz .LBB25_6769
; %bb.6760:
	s_mov_b32 s91, s90
	s_mov_b32 s92, s79
	s_mov_b32 s93, exec_lo
	v_cmpx_lt_i16_e32 14, v1
	s_xor_b32 s93, exec_lo, s93
	s_cbranch_execz .LBB25_6764
; %bb.6761:
	s_mov_b32 s94, -1
	s_mov_b32 s91, s90
	s_mov_b32 s92, exec_lo
	v_cmpx_eq_u16_e32 15, v1
	s_cbranch_execz .LBB25_6763
; %bb.6762:
	v_bfe_u32 v1, v114, 16, 1
	v_cmp_o_f32_e32 vcc_lo, v114, v114
	s_xor_b32 s94, exec_lo, -1
	s_or_b32 s91, s90, exec_lo
	s_delay_alu instid0(VALU_DEP_2) | instskip(NEXT) | instid1(VALU_DEP_1)
	v_add3_u32 v1, v114, v1, 0x7fff
	v_lshrrev_b32_e32 v1, 16, v1
	s_delay_alu instid0(VALU_DEP_1)
	v_cndmask_b32_e32 v1, 0x7fc0, v1, vcc_lo
	flat_store_b16 v[2:3], v1
.LBB25_6763:
	s_wait_xcnt 0x0
	s_or_b32 exec_lo, exec_lo, s92
	s_delay_alu instid0(SALU_CYCLE_1)
	s_and_not1_b32 s92, s79, exec_lo
	s_and_b32 s94, s94, exec_lo
	s_and_not1_b32 s95, s90, exec_lo
	s_and_b32 s91, s91, exec_lo
	s_or_b32 s92, s92, s94
	s_or_b32 s91, s95, s91
                                        ; implicit-def: $vgpr1
                                        ; implicit-def: $vgpr114
                                        ; implicit-def: $vgpr2_vgpr3
.LBB25_6764:
	s_and_not1_saveexec_b32 s93, s93
	s_cbranch_execz .LBB25_6768
; %bb.6765:
	s_mov_b32 s95, -1
	s_mov_b32 s94, s91
	s_mov_b32 vcc_hi, exec_lo
	v_cmpx_eq_u16_e32 11, v1
	s_cbranch_execz .LBB25_6767
; %bb.6766:
	v_cmp_neq_f32_e32 vcc_lo, 0, v114
	s_xor_b32 s95, exec_lo, -1
	s_or_b32 s94, s91, exec_lo
	v_cndmask_b32_e64 v1, 0, 1, vcc_lo
	flat_store_b8 v[2:3], v1
.LBB25_6767:
	s_wait_xcnt 0x0
	s_or_b32 exec_lo, exec_lo, vcc_hi
	s_delay_alu instid0(SALU_CYCLE_1)
	s_and_not1_b32 s92, s92, exec_lo
	s_and_b32 s95, s95, exec_lo
	s_and_not1_b32 s91, s91, exec_lo
	s_and_b32 s94, s94, exec_lo
	s_or_b32 s92, s92, s95
	s_or_b32 s91, s91, s94
.LBB25_6768:
	s_or_b32 exec_lo, exec_lo, s93
	s_delay_alu instid0(SALU_CYCLE_1)
	s_and_not1_b32 s93, s79, exec_lo
	s_and_b32 s92, s92, exec_lo
	s_and_not1_b32 s90, s90, exec_lo
	s_and_b32 s94, s91, exec_lo
	s_or_b32 s91, s93, s92
	s_or_b32 s90, s90, s94
.LBB25_6769:
	s_or_b32 exec_lo, exec_lo, s89
	s_delay_alu instid0(SALU_CYCLE_1)
	s_and_not1_b32 s79, s79, exec_lo
	s_and_b32 s89, s91, exec_lo
	s_and_not1_b32 s0, s0, exec_lo
	s_and_b32 s90, s90, exec_lo
	s_or_b32 s79, s79, s89
	s_or_b32 s0, s0, s90
.LBB25_6770:
	s_or_b32 exec_lo, exec_lo, s88
	s_delay_alu instid0(SALU_CYCLE_1)
	s_and_not1_b32 s88, s74, exec_lo
	s_and_b32 s79, s79, exec_lo
	s_and_b32 s0, s0, exec_lo
	s_or_b32 s79, s88, s79
                                        ; implicit-def: $vgpr1
                                        ; implicit-def: $vgpr114
                                        ; implicit-def: $vgpr2_vgpr3
.LBB25_6771:
	s_and_not1_saveexec_b32 s76, s76
	s_cbranch_execz .LBB25_6813
; %bb.6772:
	s_mov_b32 s88, exec_lo
	v_cmpx_lt_i16_e32 4, v1
	s_xor_b32 s88, exec_lo, s88
	s_cbranch_execz .LBB25_6794
; %bb.6773:
	s_mov_b32 s89, exec_lo
	v_cmpx_lt_i16_e32 7, v1
	s_xor_b32 s89, exec_lo, s89
	s_cbranch_execz .LBB25_6783
; %bb.6774:
	s_mov_b32 s90, exec_lo
	v_cmpx_lt_i16_e32 8, v1
	s_xor_b32 s90, exec_lo, s90
	s_cbranch_execz .LBB25_6780
; %bb.6775:
	s_mov_b32 s91, exec_lo
	v_cmpx_lt_i16_e32 9, v1
	s_xor_b32 s91, exec_lo, s91
	s_cbranch_execz .LBB25_6777
; %bb.6776:
	v_cvt_f64_f32_e32 v[4:5], v114
	v_mov_b32_e32 v6, 0
                                        ; implicit-def: $vgpr114
	s_delay_alu instid0(VALU_DEP_1)
	v_mov_b32_e32 v7, v6
	flat_store_b128 v[2:3], v[4:7]
                                        ; implicit-def: $vgpr2_vgpr3
.LBB25_6777:
	s_wait_xcnt 0x0
	s_and_not1_saveexec_b32 s91, s91
	s_cbranch_execz .LBB25_6779
; %bb.6778:
	v_mov_b32_e32 v115, 0
	flat_store_b64 v[2:3], v[114:115]
.LBB25_6779:
	s_wait_xcnt 0x0
	s_or_b32 exec_lo, exec_lo, s91
                                        ; implicit-def: $vgpr114
                                        ; implicit-def: $vgpr2_vgpr3
.LBB25_6780:
	s_and_not1_saveexec_b32 s90, s90
	s_cbranch_execz .LBB25_6782
; %bb.6781:
	v_cvt_f16_f32_e32 v1, v114
	s_delay_alu instid0(VALU_DEP_1)
	v_and_b32_e32 v1, 0xffff, v1
	flat_store_b32 v[2:3], v1
.LBB25_6782:
	s_wait_xcnt 0x0
	s_or_b32 exec_lo, exec_lo, s90
                                        ; implicit-def: $vgpr114
                                        ; implicit-def: $vgpr2_vgpr3
                                        ; implicit-def: $vgpr1
.LBB25_6783:
	s_and_not1_saveexec_b32 s89, s89
	s_cbranch_execz .LBB25_6793
; %bb.6784:
	s_mov_b32 s90, exec_lo
	v_cmpx_lt_i16_e32 5, v1
	s_xor_b32 s90, exec_lo, s90
	s_cbranch_execz .LBB25_6790
; %bb.6785:
	s_mov_b32 s91, exec_lo
	v_cmpx_lt_i16_e32 6, v1
	s_xor_b32 s91, exec_lo, s91
	s_cbranch_execz .LBB25_6787
; %bb.6786:
	v_cvt_f64_f32_e32 v[4:5], v114
                                        ; implicit-def: $vgpr114
	flat_store_b64 v[2:3], v[4:5]
                                        ; implicit-def: $vgpr2_vgpr3
.LBB25_6787:
	s_wait_xcnt 0x0
	s_and_not1_saveexec_b32 s91, s91
	s_cbranch_execz .LBB25_6789
; %bb.6788:
	flat_store_b32 v[2:3], v114
.LBB25_6789:
	s_wait_xcnt 0x0
	s_or_b32 exec_lo, exec_lo, s91
                                        ; implicit-def: $vgpr114
                                        ; implicit-def: $vgpr2_vgpr3
.LBB25_6790:
	s_and_not1_saveexec_b32 s90, s90
	s_cbranch_execz .LBB25_6792
; %bb.6791:
	v_cvt_f16_f32_e32 v1, v114
	flat_store_b16 v[2:3], v1
.LBB25_6792:
	s_wait_xcnt 0x0
	s_or_b32 exec_lo, exec_lo, s90
.LBB25_6793:
	s_delay_alu instid0(SALU_CYCLE_1)
	s_or_b32 exec_lo, exec_lo, s89
                                        ; implicit-def: $vgpr1
                                        ; implicit-def: $vgpr114
                                        ; implicit-def: $vgpr2_vgpr3
.LBB25_6794:
	s_and_not1_saveexec_b32 s88, s88
	s_cbranch_execz .LBB25_6812
; %bb.6795:
	s_mov_b32 s89, exec_lo
	v_cmpx_lt_i16_e32 1, v1
	s_xor_b32 s89, exec_lo, s89
	s_cbranch_execz .LBB25_6805
; %bb.6796:
	s_mov_b32 s90, exec_lo
	v_cmpx_lt_i16_e32 2, v1
	s_xor_b32 s90, exec_lo, s90
	;; [unrolled: 5-line block ×3, first 2 shown]
	s_cbranch_execz .LBB25_6799
; %bb.6798:
	v_trunc_f32_e32 v1, v114
                                        ; implicit-def: $vgpr114
	s_delay_alu instid0(VALU_DEP_1) | instskip(NEXT) | instid1(VALU_DEP_1)
	v_mul_f32_e64 v4, 0x2f800000, |v1|
	v_floor_f32_e32 v5, v4
	v_ashrrev_i32_e32 v4, 31, v1
	s_delay_alu instid0(VALU_DEP_2) | instskip(SKIP_1) | instid1(VALU_DEP_3)
	v_fma_f32 v6, 0xcf800000, v5, |v1|
	v_cvt_u32_f32_e32 v1, v5
	v_mov_b32_e32 v5, v4
	s_delay_alu instid0(VALU_DEP_3) | instskip(NEXT) | instid1(VALU_DEP_3)
	v_cvt_u32_f32_e32 v6, v6
	v_xor_b32_e32 v7, v1, v4
	s_delay_alu instid0(VALU_DEP_2) | instskip(NEXT) | instid1(VALU_DEP_1)
	v_xor_b32_e32 v6, v6, v4
	v_sub_nc_u64_e32 v[4:5], v[6:7], v[4:5]
	flat_store_b64 v[2:3], v[4:5]
                                        ; implicit-def: $vgpr2_vgpr3
.LBB25_6799:
	s_wait_xcnt 0x0
	s_and_not1_saveexec_b32 s91, s91
	s_cbranch_execz .LBB25_6801
; %bb.6800:
	v_cvt_i32_f32_e32 v1, v114
	flat_store_b32 v[2:3], v1
.LBB25_6801:
	s_wait_xcnt 0x0
	s_or_b32 exec_lo, exec_lo, s91
                                        ; implicit-def: $vgpr114
                                        ; implicit-def: $vgpr2_vgpr3
.LBB25_6802:
	s_and_not1_saveexec_b32 s90, s90
	s_cbranch_execz .LBB25_6804
; %bb.6803:
	v_cvt_i32_f32_e32 v1, v114
	flat_store_b16 v[2:3], v1
.LBB25_6804:
	s_wait_xcnt 0x0
	s_or_b32 exec_lo, exec_lo, s90
                                        ; implicit-def: $vgpr114
                                        ; implicit-def: $vgpr2_vgpr3
                                        ; implicit-def: $vgpr1
.LBB25_6805:
	s_and_not1_saveexec_b32 s89, s89
	s_cbranch_execz .LBB25_6811
; %bb.6806:
	s_mov_b32 s90, exec_lo
	v_cmpx_lt_i16_e32 0, v1
	s_xor_b32 s90, exec_lo, s90
	s_cbranch_execz .LBB25_6808
; %bb.6807:
	v_cvt_i32_f32_e32 v1, v114
                                        ; implicit-def: $vgpr114
	flat_store_b8 v[2:3], v1
                                        ; implicit-def: $vgpr2_vgpr3
.LBB25_6808:
	s_wait_xcnt 0x0
	s_and_not1_saveexec_b32 s90, s90
	s_cbranch_execz .LBB25_6810
; %bb.6809:
	v_trunc_f32_e32 v1, v114
	s_delay_alu instid0(VALU_DEP_1) | instskip(NEXT) | instid1(VALU_DEP_1)
	v_mul_f32_e64 v4, 0x2f800000, |v1|
	v_floor_f32_e32 v4, v4
	s_delay_alu instid0(VALU_DEP_1) | instskip(SKIP_1) | instid1(VALU_DEP_2)
	v_fma_f32 v4, 0xcf800000, v4, |v1|
	v_ashrrev_i32_e32 v1, 31, v1
	v_cvt_u32_f32_e32 v4, v4
	s_delay_alu instid0(VALU_DEP_1) | instskip(NEXT) | instid1(VALU_DEP_1)
	v_xor_b32_e32 v4, v4, v1
	v_sub_nc_u32_e32 v1, v4, v1
	flat_store_b8 v[2:3], v1
.LBB25_6810:
	s_wait_xcnt 0x0
	s_or_b32 exec_lo, exec_lo, s90
.LBB25_6811:
	s_delay_alu instid0(SALU_CYCLE_1)
	s_or_b32 exec_lo, exec_lo, s89
.LBB25_6812:
	s_delay_alu instid0(SALU_CYCLE_1) | instskip(NEXT) | instid1(SALU_CYCLE_1)
	s_or_b32 exec_lo, exec_lo, s88
	s_or_b32 s0, s0, exec_lo
.LBB25_6813:
	s_or_b32 exec_lo, exec_lo, s76
	s_mov_b32 s88, 0
	s_mov_b32 s76, 0
	s_and_saveexec_b32 s89, s0
; %bb.6814:
	v_add_nc_u32_e32 v209, 0x200, v209
	s_mov_b32 s88, exec_lo
	s_delay_alu instid0(VALU_DEP_1)
	v_cmp_lt_i32_e32 vcc_lo, v209, v211
	s_and_b32 s76, vcc_lo, exec_lo
; %bb.6815:
	s_or_b32 exec_lo, exec_lo, s89
	s_delay_alu instid0(SALU_CYCLE_1)
	s_and_not1_b32 s89, s74, exec_lo
	s_and_b32 s79, s79, exec_lo
	s_and_b32 s0, s76, exec_lo
	s_or_b32 s76, s89, s79
	s_or_not1_b32 s88, s88, exec_lo
.LBB25_6816:
	s_or_b32 exec_lo, exec_lo, s77
	s_mov_b32 s79, 0
	s_mov_b32 s89, 0
                                        ; implicit-def: $vgpr4
                                        ; implicit-def: $vgpr2_vgpr3
	s_and_saveexec_b32 s77, s88
	s_cbranch_execz .LBB25_7808
; %bb.6817:
	s_mov_b32 s90, -1
	s_mov_b32 s88, 0
	s_mov_b32 s78, s76
	;; [unrolled: 1-line block ×3, first 2 shown]
	s_and_saveexec_b32 s79, s0
	s_cbranch_execz .LBB25_6945
; %bb.6818:
	v_dual_add_nc_u32 v1, s60, v209 :: v_dual_mov_b32 v3, 0
	s_mov_b32 s0, 0
	s_mov_b32 s89, s76
	s_mov_b32 s78, exec_lo
	s_delay_alu instid0(VALU_DEP_1) | instskip(SKIP_1) | instid1(VALU_DEP_2)
	v_mul_lo_u32 v2, v1, v210
	v_and_b32_e32 v1, 0xff, v85
	v_add_nc_u64_e32 v[2:3], v[212:213], v[2:3]
	s_delay_alu instid0(VALU_DEP_2)
	v_cmpx_lt_i16_e32 10, v1
	s_xor_b32 s78, exec_lo, s78
	s_cbranch_execz .LBB25_6900
; %bb.6819:
	s_mov_b32 s89, s76
	s_mov_b32 s90, exec_lo
	v_cmpx_lt_i16_e32 25, v1
	s_xor_b32 s90, exec_lo, s90
	s_cbranch_execz .LBB25_6855
; %bb.6820:
	s_mov_b32 s91, s76
	s_mov_b32 s89, exec_lo
	;; [unrolled: 6-line block ×3, first 2 shown]
	v_cmpx_lt_i16_e32 43, v1
	s_xor_b32 s91, exec_lo, s91
	s_cbranch_execz .LBB25_6833
; %bb.6822:
	s_mov_b32 s92, 0
	s_mov_b32 s93, s76
	s_mov_b32 s0, exec_lo
	v_cmpx_lt_i16_e32 45, v1
	s_xor_b32 s0, exec_lo, s0
	s_cbranch_execz .LBB25_6826
; %bb.6823:
	s_mov_b32 s94, -1
	s_mov_b32 s93, exec_lo
	v_cmpx_eq_u16_e32 46, v1
	s_cbranch_execz .LBB25_6825
; %bb.6824:
	v_bfe_u32 v1, v112, 16, 1
	v_cmp_o_f32_e32 vcc_lo, v112, v112
	s_mov_b32 s92, exec_lo
	s_xor_b32 s94, exec_lo, -1
	s_delay_alu instid0(VALU_DEP_2) | instskip(NEXT) | instid1(VALU_DEP_1)
	v_add3_u32 v1, v112, v1, 0x7fff
	v_lshrrev_b32_e32 v1, 16, v1
	s_delay_alu instid0(VALU_DEP_1)
	v_cndmask_b32_e32 v1, 0x7fc0, v1, vcc_lo
	flat_store_b32 v[2:3], v1
.LBB25_6825:
	s_wait_xcnt 0x0
	s_or_b32 exec_lo, exec_lo, s93
	s_delay_alu instid0(SALU_CYCLE_1)
	s_and_not1_b32 s93, s76, exec_lo
	s_and_b32 s94, s94, exec_lo
	s_and_b32 s92, s92, exec_lo
	s_or_b32 s93, s93, s94
                                        ; implicit-def: $vgpr1
                                        ; implicit-def: $vgpr2_vgpr3
                                        ; implicit-def: $vgpr112
.LBB25_6826:
	s_and_not1_saveexec_b32 s94, s0
	s_cbranch_execz .LBB25_6832
; %bb.6827:
	s_mov_b32 vcc_hi, -1
	s_mov_b32 s0, s92
	s_mov_b32 s95, exec_lo
	v_cmpx_eq_u16_e32 44, v1
	s_cbranch_execz .LBB25_6831
; %bb.6828:
	v_bfe_u32 v4, v112, 23, 8
	v_mov_b32_e32 v1, 0xff
	s_mov_b32 vcc_hi, exec_lo
	s_delay_alu instid0(VALU_DEP_2)
	v_cmpx_ne_u32_e32 0xff, v4
	s_cbranch_execz .LBB25_6830
; %bb.6829:
	v_and_b32_e32 v1, 0x400000, v112
	v_and_or_b32 v4, 0x3fffff, v112, v4
	s_delay_alu instid0(VALU_DEP_2) | instskip(NEXT) | instid1(VALU_DEP_2)
	v_cmp_ne_u32_e32 vcc_lo, 0, v1
	v_cmp_ne_u32_e64 s0, 0, v4
	v_lshrrev_b32_e32 v1, 23, v112
	s_and_b32 s0, vcc_lo, s0
	s_delay_alu instid0(SALU_CYCLE_1) | instskip(NEXT) | instid1(VALU_DEP_1)
	v_cndmask_b32_e64 v4, 0, 1, s0
	v_add_nc_u32_e32 v1, v1, v4
.LBB25_6830:
	s_or_b32 exec_lo, exec_lo, vcc_hi
	s_delay_alu instid0(SALU_CYCLE_1)
	s_xor_b32 vcc_hi, exec_lo, -1
	s_or_b32 s0, s92, exec_lo
	flat_store_b8 v[2:3], v1
.LBB25_6831:
	s_wait_xcnt 0x0
	s_or_b32 exec_lo, exec_lo, s95
	s_delay_alu instid0(SALU_CYCLE_1)
	s_and_not1_b32 s93, s93, exec_lo
	s_and_b32 s95, vcc_hi, exec_lo
	s_and_not1_b32 s92, s92, exec_lo
	s_and_b32 s0, s0, exec_lo
	s_or_b32 s93, s93, s95
	s_or_b32 s92, s92, s0
.LBB25_6832:
	s_or_b32 exec_lo, exec_lo, s94
	s_delay_alu instid0(SALU_CYCLE_1) | instskip(SKIP_1) | instid1(SALU_CYCLE_1)
	s_and_not1_b32 s0, s76, exec_lo
	s_and_b32 s93, s93, exec_lo
                                        ; implicit-def: $vgpr1
                                        ; implicit-def: $vgpr112
                                        ; implicit-def: $vgpr2_vgpr3
	s_or_b32 s93, s0, s93
	s_and_b32 s0, s92, exec_lo
.LBB25_6833:
	s_and_not1_saveexec_b32 s91, s91
	s_cbranch_execz .LBB25_6837
; %bb.6834:
	s_mov_b32 s95, -1
	s_mov_b32 s94, s0
	s_mov_b32 s92, exec_lo
	v_cmpx_eq_u16_e32 29, v1
	s_cbranch_execz .LBB25_6836
; %bb.6835:
	v_trunc_f32_e32 v1, v112
	s_xor_b32 s95, exec_lo, -1
	s_or_b32 s94, s0, exec_lo
	s_delay_alu instid0(VALU_DEP_1) | instskip(NEXT) | instid1(VALU_DEP_1)
	v_mul_f32_e32 v4, 0x2f800000, v1
	v_floor_f32_e32 v4, v4
	s_delay_alu instid0(VALU_DEP_1) | instskip(SKIP_1) | instid1(VALU_DEP_2)
	v_fmamk_f32 v1, v4, 0xcf800000, v1
	v_cvt_u32_f32_e32 v5, v4
	v_cvt_u32_f32_e32 v4, v1
	flat_store_b64 v[2:3], v[4:5]
.LBB25_6836:
	s_wait_xcnt 0x0
	s_or_b32 exec_lo, exec_lo, s92
	s_delay_alu instid0(SALU_CYCLE_1)
	s_and_not1_b32 s92, s93, exec_lo
	s_and_b32 s93, s95, exec_lo
	s_and_not1_b32 s0, s0, exec_lo
	s_and_b32 s94, s94, exec_lo
	s_or_b32 s93, s92, s93
	s_or_b32 s0, s0, s94
.LBB25_6837:
	s_or_b32 exec_lo, exec_lo, s91
	s_delay_alu instid0(SALU_CYCLE_1)
	s_and_not1_b32 s91, s76, exec_lo
	s_and_b32 s92, s93, exec_lo
	s_and_b32 s0, s0, exec_lo
	s_or_b32 s91, s91, s92
                                        ; implicit-def: $vgpr2_vgpr3
                                        ; implicit-def: $vgpr1
                                        ; implicit-def: $vgpr112
.LBB25_6838:
	s_and_not1_saveexec_b32 s89, s89
	s_cbranch_execz .LBB25_6854
; %bb.6839:
	s_mov_b32 s92, exec_lo
	v_cmpx_lt_i16_e32 26, v1
	s_xor_b32 s92, exec_lo, s92
	s_cbranch_execz .LBB25_6845
; %bb.6840:
	v_cmp_lt_i16_e32 vcc_lo, 27, v1
	v_cvt_u32_f32_e32 v1, v112
	s_and_saveexec_b32 s93, vcc_lo
	s_delay_alu instid0(SALU_CYCLE_1)
	s_xor_b32 s93, exec_lo, s93
	s_cbranch_execz .LBB25_6842
; %bb.6841:
	flat_store_b32 v[2:3], v1
                                        ; implicit-def: $vgpr2_vgpr3
                                        ; implicit-def: $vgpr1
.LBB25_6842:
	s_wait_xcnt 0x0
	s_and_not1_saveexec_b32 s93, s93
	s_cbranch_execz .LBB25_6844
; %bb.6843:
	flat_store_b16 v[2:3], v1
.LBB25_6844:
	s_wait_xcnt 0x0
	s_or_b32 exec_lo, exec_lo, s93
                                        ; implicit-def: $vgpr2_vgpr3
                                        ; implicit-def: $vgpr112
.LBB25_6845:
	s_and_not1_saveexec_b32 s92, s92
	s_cbranch_execz .LBB25_6853
; %bb.6846:
	v_and_b32_e32 v1, 0x7fffffff, v112
	v_mov_b32_e32 v4, 0x80
	s_mov_b32 s93, exec_lo
	s_delay_alu instid0(VALU_DEP_2)
	v_cmpx_gt_u32_e32 0x43800000, v1
	s_cbranch_execz .LBB25_6852
; %bb.6847:
	v_cmp_lt_u32_e32 vcc_lo, 0x3bffffff, v1
	s_mov_b32 s94, 0
                                        ; implicit-def: $vgpr1
	s_and_saveexec_b32 s95, vcc_lo
	s_delay_alu instid0(SALU_CYCLE_1)
	s_xor_b32 s95, exec_lo, s95
	s_cbranch_execnz .LBB25_7975
; %bb.6848:
	s_and_not1_saveexec_b32 s95, s95
	s_cbranch_execnz .LBB25_7976
.LBB25_6849:
	s_or_b32 exec_lo, exec_lo, s95
	v_mov_b32_e32 v4, 0
	s_and_saveexec_b32 s95, s94
.LBB25_6850:
	v_lshrrev_b32_e32 v4, 24, v112
	s_delay_alu instid0(VALU_DEP_1)
	v_and_or_b32 v4, 0x80, v4, v1
.LBB25_6851:
	s_or_b32 exec_lo, exec_lo, s95
.LBB25_6852:
	s_delay_alu instid0(SALU_CYCLE_1)
	s_or_b32 exec_lo, exec_lo, s93
	flat_store_b8 v[2:3], v4
.LBB25_6853:
	s_wait_xcnt 0x0
	s_or_b32 exec_lo, exec_lo, s92
	s_delay_alu instid0(SALU_CYCLE_1)
	s_or_b32 s0, s0, exec_lo
.LBB25_6854:
	s_or_b32 exec_lo, exec_lo, s89
	s_delay_alu instid0(SALU_CYCLE_1)
	s_and_not1_b32 s89, s76, exec_lo
	s_and_b32 s91, s91, exec_lo
	s_and_b32 s0, s0, exec_lo
	s_or_b32 s89, s89, s91
                                        ; implicit-def: $vgpr1
                                        ; implicit-def: $vgpr112
                                        ; implicit-def: $vgpr2_vgpr3
.LBB25_6855:
	s_and_not1_saveexec_b32 s90, s90
	s_cbranch_execz .LBB25_6899
; %bb.6856:
	s_mov_b32 s92, s0
	s_mov_b32 s91, exec_lo
	v_cmpx_lt_i16_e32 22, v1
	s_xor_b32 s91, exec_lo, s91
	s_cbranch_execz .LBB25_6888
; %bb.6857:
	s_mov_b32 s92, exec_lo
	v_cmpx_lt_i16_e32 23, v1
	s_xor_b32 s92, exec_lo, s92
	s_cbranch_execz .LBB25_6877
; %bb.6858:
	;; [unrolled: 5-line block ×3, first 2 shown]
	v_and_b32_e32 v1, 0x7fffffff, v112
	v_mov_b32_e32 v4, 0x80
	s_mov_b32 s94, exec_lo
	s_delay_alu instid0(VALU_DEP_2)
	v_cmpx_gt_u32_e32 0x47800000, v1
	s_cbranch_execz .LBB25_6865
; %bb.6860:
	v_cmp_lt_u32_e32 vcc_lo, 0x37ffffff, v1
	s_mov_b32 s95, 0
                                        ; implicit-def: $vgpr1
	s_and_saveexec_b32 vcc_hi, vcc_lo
	s_delay_alu instid0(SALU_CYCLE_1)
	s_xor_b32 vcc_lo, exec_lo, vcc_hi
	s_cbranch_execnz .LBB25_7977
; %bb.6861:
	s_and_not1_saveexec_b32 vcc_hi, vcc_lo
	s_cbranch_execnz .LBB25_7978
.LBB25_6862:
	s_or_b32 exec_lo, exec_lo, vcc_hi
	v_mov_b32_e32 v4, 0
	s_and_saveexec_b32 vcc_lo, s95
.LBB25_6863:
	v_lshrrev_b32_e32 v4, 24, v112
	s_delay_alu instid0(VALU_DEP_1)
	v_and_or_b32 v4, 0x80, v4, v1
.LBB25_6864:
	s_or_b32 exec_lo, exec_lo, vcc_lo
.LBB25_6865:
	s_delay_alu instid0(SALU_CYCLE_1)
	s_or_b32 exec_lo, exec_lo, s94
	flat_store_b8 v[2:3], v4
                                        ; implicit-def: $vgpr112
                                        ; implicit-def: $vgpr2_vgpr3
.LBB25_6866:
	s_wait_xcnt 0x0
	s_and_not1_saveexec_b32 s93, s93
	s_cbranch_execz .LBB25_6876
; %bb.6867:
	v_and_b32_e32 v4, 0x7fffffff, v112
	s_mov_b32 s94, exec_lo
                                        ; implicit-def: $vgpr1
	s_delay_alu instid0(VALU_DEP_1)
	v_cmpx_gt_u32_e32 0x43f00000, v4
	s_xor_b32 s94, exec_lo, s94
	s_cbranch_execz .LBB25_6873
; %bb.6868:
	s_mov_b32 s95, exec_lo
                                        ; implicit-def: $vgpr1
	v_cmpx_lt_u32_e32 0x3c7fffff, v4
	s_xor_b32 s95, exec_lo, s95
; %bb.6869:
	v_bfe_u32 v1, v112, 20, 1
	s_delay_alu instid0(VALU_DEP_1) | instskip(NEXT) | instid1(VALU_DEP_1)
	v_add3_u32 v1, v112, v1, 0x407ffff
	v_and_b32_e32 v4, 0xff00000, v1
	v_lshrrev_b32_e32 v1, 20, v1
	s_delay_alu instid0(VALU_DEP_2) | instskip(NEXT) | instid1(VALU_DEP_2)
	v_cmp_ne_u32_e32 vcc_lo, 0x7f00000, v4
	v_cndmask_b32_e32 v1, 0x7e, v1, vcc_lo
; %bb.6870:
	s_and_not1_saveexec_b32 s95, s95
; %bb.6871:
	v_add_f32_e64 v1, 0x46800000, |v112|
; %bb.6872:
	s_or_b32 exec_lo, exec_lo, s95
                                        ; implicit-def: $vgpr4
.LBB25_6873:
	s_and_not1_saveexec_b32 s94, s94
; %bb.6874:
	v_mov_b32_e32 v1, 0x7f
	v_cmp_lt_u32_e32 vcc_lo, 0x7f800000, v4
	s_delay_alu instid0(VALU_DEP_2)
	v_cndmask_b32_e32 v1, 0x7e, v1, vcc_lo
; %bb.6875:
	s_or_b32 exec_lo, exec_lo, s94
	v_lshrrev_b32_e32 v4, 24, v112
	s_delay_alu instid0(VALU_DEP_1)
	v_and_or_b32 v1, 0x80, v4, v1
	flat_store_b8 v[2:3], v1
.LBB25_6876:
	s_wait_xcnt 0x0
	s_or_b32 exec_lo, exec_lo, s93
                                        ; implicit-def: $vgpr112
                                        ; implicit-def: $vgpr2_vgpr3
.LBB25_6877:
	s_and_not1_saveexec_b32 s92, s92
	s_cbranch_execz .LBB25_6887
; %bb.6878:
	v_and_b32_e32 v4, 0x7fffffff, v112
	s_mov_b32 s93, exec_lo
                                        ; implicit-def: $vgpr1
	s_delay_alu instid0(VALU_DEP_1)
	v_cmpx_gt_u32_e32 0x47800000, v4
	s_xor_b32 s93, exec_lo, s93
	s_cbranch_execz .LBB25_6884
; %bb.6879:
	s_mov_b32 s94, exec_lo
                                        ; implicit-def: $vgpr1
	v_cmpx_lt_u32_e32 0x387fffff, v4
	s_xor_b32 s94, exec_lo, s94
; %bb.6880:
	v_bfe_u32 v1, v112, 21, 1
	s_delay_alu instid0(VALU_DEP_1) | instskip(NEXT) | instid1(VALU_DEP_1)
	v_add3_u32 v1, v112, v1, 0x80fffff
	v_lshrrev_b32_e32 v1, 21, v1
; %bb.6881:
	s_and_not1_saveexec_b32 s94, s94
; %bb.6882:
	v_add_f32_e64 v1, 0x43000000, |v112|
; %bb.6883:
	s_or_b32 exec_lo, exec_lo, s94
                                        ; implicit-def: $vgpr4
.LBB25_6884:
	s_and_not1_saveexec_b32 s93, s93
; %bb.6885:
	v_mov_b32_e32 v1, 0x7f
	v_cmp_lt_u32_e32 vcc_lo, 0x7f800000, v4
	s_delay_alu instid0(VALU_DEP_2)
	v_cndmask_b32_e32 v1, 0x7c, v1, vcc_lo
; %bb.6886:
	s_or_b32 exec_lo, exec_lo, s93
	v_lshrrev_b32_e32 v4, 24, v112
	s_delay_alu instid0(VALU_DEP_1)
	v_and_or_b32 v1, 0x80, v4, v1
	flat_store_b8 v[2:3], v1
.LBB25_6887:
	s_wait_xcnt 0x0
	s_or_b32 exec_lo, exec_lo, s92
	s_delay_alu instid0(SALU_CYCLE_1)
	s_or_b32 s92, s0, exec_lo
                                        ; implicit-def: $vgpr1
                                        ; implicit-def: $vgpr112
                                        ; implicit-def: $vgpr2_vgpr3
.LBB25_6888:
	s_or_saveexec_b32 s91, s91
	s_mov_b32 s93, s89
	s_xor_b32 exec_lo, exec_lo, s91
	s_cbranch_execz .LBB25_6898
; %bb.6889:
	s_mov_b32 s93, s92
	s_mov_b32 s94, s89
	s_mov_b32 s95, exec_lo
	v_cmpx_lt_i16_e32 14, v1
	s_xor_b32 s95, exec_lo, s95
	s_cbranch_execz .LBB25_6893
; %bb.6890:
	s_mov_b32 vcc_hi, -1
	s_mov_b32 s93, s92
	s_mov_b32 s94, exec_lo
	v_cmpx_eq_u16_e32 15, v1
	s_cbranch_execz .LBB25_6892
; %bb.6891:
	v_bfe_u32 v1, v112, 16, 1
	v_cmp_o_f32_e32 vcc_lo, v112, v112
	s_xor_b32 vcc_hi, exec_lo, -1
	s_or_b32 s93, s92, exec_lo
	s_delay_alu instid0(VALU_DEP_2) | instskip(NEXT) | instid1(VALU_DEP_1)
	v_add3_u32 v1, v112, v1, 0x7fff
	v_lshrrev_b32_e32 v1, 16, v1
	s_delay_alu instid0(VALU_DEP_1)
	v_cndmask_b32_e32 v1, 0x7fc0, v1, vcc_lo
	flat_store_b16 v[2:3], v1
.LBB25_6892:
	s_wait_xcnt 0x0
	s_or_b32 exec_lo, exec_lo, s94
	s_delay_alu instid0(SALU_CYCLE_1)
	s_and_not1_b32 s94, s89, exec_lo
	s_and_b32 vcc_lo, vcc_hi, exec_lo
	s_and_not1_b32 vcc_hi, s92, exec_lo
	s_and_b32 s93, s93, exec_lo
	s_or_b32 s94, s94, vcc_lo
	s_or_b32 s93, vcc_hi, s93
                                        ; implicit-def: $vgpr1
                                        ; implicit-def: $vgpr112
                                        ; implicit-def: $vgpr2_vgpr3
.LBB25_6893:
	s_and_not1_saveexec_b32 s95, s95
	s_cbranch_execz .LBB25_6897
; %bb.6894:
	s_mov_b32 s30, -1
	s_mov_b32 vcc_hi, s93
	s_mov_b32 s31, exec_lo
	v_cmpx_eq_u16_e32 11, v1
	s_cbranch_execz .LBB25_6896
; %bb.6895:
	v_cmp_neq_f32_e32 vcc_lo, 0, v112
	s_xor_b32 s30, exec_lo, -1
	s_or_b32 vcc_hi, s93, exec_lo
	v_cndmask_b32_e64 v1, 0, 1, vcc_lo
	flat_store_b8 v[2:3], v1
.LBB25_6896:
	s_wait_xcnt 0x0
	s_or_b32 exec_lo, exec_lo, s31
	s_delay_alu instid0(SALU_CYCLE_1)
	s_and_not1_b32 s94, s94, exec_lo
	s_and_b32 vcc_lo, s30, exec_lo
	s_and_not1_b32 s93, s93, exec_lo
	s_and_b32 vcc_hi, vcc_hi, exec_lo
	s_or_b32 s94, s94, vcc_lo
	s_or_b32 s93, s93, vcc_hi
.LBB25_6897:
	s_or_b32 exec_lo, exec_lo, s95
	s_delay_alu instid0(SALU_CYCLE_1)
	s_and_not1_b32 s95, s89, exec_lo
	s_and_b32 s94, s94, exec_lo
	s_and_not1_b32 s92, s92, exec_lo
	s_and_b32 vcc_lo, s93, exec_lo
	s_or_b32 s93, s95, s94
	s_or_b32 s92, s92, vcc_lo
.LBB25_6898:
	s_or_b32 exec_lo, exec_lo, s91
	s_delay_alu instid0(SALU_CYCLE_1)
	s_and_not1_b32 s89, s89, exec_lo
	s_and_b32 s91, s93, exec_lo
	s_and_not1_b32 s0, s0, exec_lo
	s_and_b32 s92, s92, exec_lo
	s_or_b32 s89, s89, s91
	s_or_b32 s0, s0, s92
.LBB25_6899:
	s_or_b32 exec_lo, exec_lo, s90
	s_delay_alu instid0(SALU_CYCLE_1)
	s_and_not1_b32 s90, s76, exec_lo
	s_and_b32 s89, s89, exec_lo
	s_and_b32 s0, s0, exec_lo
	s_or_b32 s89, s90, s89
                                        ; implicit-def: $vgpr1
                                        ; implicit-def: $vgpr112
                                        ; implicit-def: $vgpr2_vgpr3
.LBB25_6900:
	s_and_not1_saveexec_b32 s78, s78
	s_cbranch_execz .LBB25_6942
; %bb.6901:
	s_mov_b32 s90, exec_lo
	v_cmpx_lt_i16_e32 4, v1
	s_xor_b32 s90, exec_lo, s90
	s_cbranch_execz .LBB25_6923
; %bb.6902:
	s_mov_b32 s91, exec_lo
	v_cmpx_lt_i16_e32 7, v1
	s_xor_b32 s91, exec_lo, s91
	s_cbranch_execz .LBB25_6912
; %bb.6903:
	s_mov_b32 s92, exec_lo
	v_cmpx_lt_i16_e32 8, v1
	s_xor_b32 s92, exec_lo, s92
	s_cbranch_execz .LBB25_6909
; %bb.6904:
	s_mov_b32 s93, exec_lo
	v_cmpx_lt_i16_e32 9, v1
	s_xor_b32 s93, exec_lo, s93
	s_cbranch_execz .LBB25_6906
; %bb.6905:
	v_cvt_f64_f32_e32 v[4:5], v112
	v_mov_b32_e32 v6, 0
                                        ; implicit-def: $vgpr112
	s_delay_alu instid0(VALU_DEP_1)
	v_mov_b32_e32 v7, v6
	flat_store_b128 v[2:3], v[4:7]
                                        ; implicit-def: $vgpr2_vgpr3
.LBB25_6906:
	s_wait_xcnt 0x0
	s_and_not1_saveexec_b32 s93, s93
	s_cbranch_execz .LBB25_6908
; %bb.6907:
	v_mov_b32_e32 v113, 0
	flat_store_b64 v[2:3], v[112:113]
.LBB25_6908:
	s_wait_xcnt 0x0
	s_or_b32 exec_lo, exec_lo, s93
                                        ; implicit-def: $vgpr112
                                        ; implicit-def: $vgpr2_vgpr3
.LBB25_6909:
	s_and_not1_saveexec_b32 s92, s92
	s_cbranch_execz .LBB25_6911
; %bb.6910:
	v_cvt_f16_f32_e32 v1, v112
	s_delay_alu instid0(VALU_DEP_1)
	v_and_b32_e32 v1, 0xffff, v1
	flat_store_b32 v[2:3], v1
.LBB25_6911:
	s_wait_xcnt 0x0
	s_or_b32 exec_lo, exec_lo, s92
                                        ; implicit-def: $vgpr112
                                        ; implicit-def: $vgpr2_vgpr3
                                        ; implicit-def: $vgpr1
.LBB25_6912:
	s_and_not1_saveexec_b32 s91, s91
	s_cbranch_execz .LBB25_6922
; %bb.6913:
	s_mov_b32 s92, exec_lo
	v_cmpx_lt_i16_e32 5, v1
	s_xor_b32 s92, exec_lo, s92
	s_cbranch_execz .LBB25_6919
; %bb.6914:
	s_mov_b32 s93, exec_lo
	v_cmpx_lt_i16_e32 6, v1
	s_xor_b32 s93, exec_lo, s93
	s_cbranch_execz .LBB25_6916
; %bb.6915:
	v_cvt_f64_f32_e32 v[4:5], v112
                                        ; implicit-def: $vgpr112
	flat_store_b64 v[2:3], v[4:5]
                                        ; implicit-def: $vgpr2_vgpr3
.LBB25_6916:
	s_wait_xcnt 0x0
	s_and_not1_saveexec_b32 s93, s93
	s_cbranch_execz .LBB25_6918
; %bb.6917:
	flat_store_b32 v[2:3], v112
.LBB25_6918:
	s_wait_xcnt 0x0
	s_or_b32 exec_lo, exec_lo, s93
                                        ; implicit-def: $vgpr112
                                        ; implicit-def: $vgpr2_vgpr3
.LBB25_6919:
	s_and_not1_saveexec_b32 s92, s92
	s_cbranch_execz .LBB25_6921
; %bb.6920:
	v_cvt_f16_f32_e32 v1, v112
	flat_store_b16 v[2:3], v1
.LBB25_6921:
	s_wait_xcnt 0x0
	s_or_b32 exec_lo, exec_lo, s92
.LBB25_6922:
	s_delay_alu instid0(SALU_CYCLE_1)
	s_or_b32 exec_lo, exec_lo, s91
                                        ; implicit-def: $vgpr1
                                        ; implicit-def: $vgpr112
                                        ; implicit-def: $vgpr2_vgpr3
.LBB25_6923:
	s_and_not1_saveexec_b32 s90, s90
	s_cbranch_execz .LBB25_6941
; %bb.6924:
	s_mov_b32 s91, exec_lo
	v_cmpx_lt_i16_e32 1, v1
	s_xor_b32 s91, exec_lo, s91
	s_cbranch_execz .LBB25_6934
; %bb.6925:
	s_mov_b32 s92, exec_lo
	v_cmpx_lt_i16_e32 2, v1
	s_xor_b32 s92, exec_lo, s92
	;; [unrolled: 5-line block ×3, first 2 shown]
	s_cbranch_execz .LBB25_6928
; %bb.6927:
	v_trunc_f32_e32 v1, v112
                                        ; implicit-def: $vgpr112
	s_delay_alu instid0(VALU_DEP_1) | instskip(NEXT) | instid1(VALU_DEP_1)
	v_mul_f32_e64 v4, 0x2f800000, |v1|
	v_floor_f32_e32 v5, v4
	v_ashrrev_i32_e32 v4, 31, v1
	s_delay_alu instid0(VALU_DEP_2) | instskip(SKIP_1) | instid1(VALU_DEP_3)
	v_fma_f32 v6, 0xcf800000, v5, |v1|
	v_cvt_u32_f32_e32 v1, v5
	v_mov_b32_e32 v5, v4
	s_delay_alu instid0(VALU_DEP_3) | instskip(NEXT) | instid1(VALU_DEP_3)
	v_cvt_u32_f32_e32 v6, v6
	v_xor_b32_e32 v7, v1, v4
	s_delay_alu instid0(VALU_DEP_2) | instskip(NEXT) | instid1(VALU_DEP_1)
	v_xor_b32_e32 v6, v6, v4
	v_sub_nc_u64_e32 v[4:5], v[6:7], v[4:5]
	flat_store_b64 v[2:3], v[4:5]
                                        ; implicit-def: $vgpr2_vgpr3
.LBB25_6928:
	s_wait_xcnt 0x0
	s_and_not1_saveexec_b32 s93, s93
	s_cbranch_execz .LBB25_6930
; %bb.6929:
	v_cvt_i32_f32_e32 v1, v112
	flat_store_b32 v[2:3], v1
.LBB25_6930:
	s_wait_xcnt 0x0
	s_or_b32 exec_lo, exec_lo, s93
                                        ; implicit-def: $vgpr112
                                        ; implicit-def: $vgpr2_vgpr3
.LBB25_6931:
	s_and_not1_saveexec_b32 s92, s92
	s_cbranch_execz .LBB25_6933
; %bb.6932:
	v_cvt_i32_f32_e32 v1, v112
	flat_store_b16 v[2:3], v1
.LBB25_6933:
	s_wait_xcnt 0x0
	s_or_b32 exec_lo, exec_lo, s92
                                        ; implicit-def: $vgpr112
                                        ; implicit-def: $vgpr2_vgpr3
                                        ; implicit-def: $vgpr1
.LBB25_6934:
	s_and_not1_saveexec_b32 s91, s91
	s_cbranch_execz .LBB25_6940
; %bb.6935:
	s_mov_b32 s92, exec_lo
	v_cmpx_lt_i16_e32 0, v1
	s_xor_b32 s92, exec_lo, s92
	s_cbranch_execz .LBB25_6937
; %bb.6936:
	v_cvt_i32_f32_e32 v1, v112
                                        ; implicit-def: $vgpr112
	flat_store_b8 v[2:3], v1
                                        ; implicit-def: $vgpr2_vgpr3
.LBB25_6937:
	s_wait_xcnt 0x0
	s_and_not1_saveexec_b32 s92, s92
	s_cbranch_execz .LBB25_6939
; %bb.6938:
	v_trunc_f32_e32 v1, v112
	s_delay_alu instid0(VALU_DEP_1) | instskip(NEXT) | instid1(VALU_DEP_1)
	v_mul_f32_e64 v4, 0x2f800000, |v1|
	v_floor_f32_e32 v4, v4
	s_delay_alu instid0(VALU_DEP_1) | instskip(SKIP_1) | instid1(VALU_DEP_2)
	v_fma_f32 v4, 0xcf800000, v4, |v1|
	v_ashrrev_i32_e32 v1, 31, v1
	v_cvt_u32_f32_e32 v4, v4
	s_delay_alu instid0(VALU_DEP_1) | instskip(NEXT) | instid1(VALU_DEP_1)
	v_xor_b32_e32 v4, v4, v1
	v_sub_nc_u32_e32 v1, v4, v1
	flat_store_b8 v[2:3], v1
.LBB25_6939:
	s_wait_xcnt 0x0
	s_or_b32 exec_lo, exec_lo, s92
.LBB25_6940:
	s_delay_alu instid0(SALU_CYCLE_1)
	s_or_b32 exec_lo, exec_lo, s91
.LBB25_6941:
	s_delay_alu instid0(SALU_CYCLE_1) | instskip(NEXT) | instid1(SALU_CYCLE_1)
	s_or_b32 exec_lo, exec_lo, s90
	s_or_b32 s0, s0, exec_lo
.LBB25_6942:
	s_or_b32 exec_lo, exec_lo, s78
	s_mov_b32 s90, 0
	s_mov_b32 s78, 0
	s_and_saveexec_b32 s91, s0
; %bb.6943:
	v_add_nc_u32_e32 v209, 0x200, v209
	s_mov_b32 s90, exec_lo
	s_delay_alu instid0(VALU_DEP_1)
	v_cmp_lt_i32_e32 vcc_lo, v209, v211
	s_and_b32 s78, vcc_lo, exec_lo
; %bb.6944:
	s_or_b32 exec_lo, exec_lo, s91
	s_delay_alu instid0(SALU_CYCLE_1)
	s_and_not1_b32 s0, s76, exec_lo
	s_and_b32 s89, s89, exec_lo
	s_and_b32 s91, s78, exec_lo
	s_or_b32 s78, s0, s89
	s_or_not1_b32 s90, s90, exec_lo
.LBB25_6945:
	s_or_b32 exec_lo, exec_lo, s79
	s_mov_b32 s0, 0
	s_mov_b32 s89, 0
                                        ; implicit-def: $vgpr4
                                        ; implicit-def: $vgpr2_vgpr3
	s_and_saveexec_b32 s79, s90
	s_cbranch_execz .LBB25_7807
; %bb.6946:
	s_mov_b32 s92, -1
	s_mov_b32 s90, 0
	s_mov_b32 s88, s78
	s_and_saveexec_b32 s89, s91
	s_cbranch_execz .LBB25_7074
; %bb.6947:
	v_dual_add_nc_u32 v1, s60, v209 :: v_dual_mov_b32 v3, 0
	s_mov_b32 s91, s78
	s_mov_b32 s88, exec_lo
	s_delay_alu instid0(VALU_DEP_1) | instskip(SKIP_1) | instid1(VALU_DEP_2)
	v_mul_lo_u32 v2, v1, v210
	v_and_b32_e32 v1, 0xff, v85
	v_add_nc_u64_e32 v[2:3], v[212:213], v[2:3]
	s_delay_alu instid0(VALU_DEP_2)
	v_cmpx_lt_i16_e32 10, v1
	s_xor_b32 s88, exec_lo, s88
	s_cbranch_execz .LBB25_7029
; %bb.6948:
	s_mov_b32 s91, s78
	s_mov_b32 s92, exec_lo
	v_cmpx_lt_i16_e32 25, v1
	s_xor_b32 s92, exec_lo, s92
	s_cbranch_execz .LBB25_6984
; %bb.6949:
	s_mov_b32 s93, s78
	s_mov_b32 s91, exec_lo
	;; [unrolled: 6-line block ×3, first 2 shown]
	v_cmpx_lt_i16_e32 43, v1
	s_xor_b32 s93, exec_lo, s93
	s_cbranch_execz .LBB25_6962
; %bb.6951:
	s_mov_b32 s94, 0
	s_mov_b32 s95, s78
	s_mov_b32 s0, exec_lo
	v_cmpx_lt_i16_e32 45, v1
	s_xor_b32 s0, exec_lo, s0
	s_cbranch_execz .LBB25_6955
; %bb.6952:
	s_mov_b32 vcc_hi, -1
	s_mov_b32 s95, exec_lo
	v_cmpx_eq_u16_e32 46, v1
	s_cbranch_execz .LBB25_6954
; %bb.6953:
	v_bfe_u32 v1, v102, 16, 1
	v_cmp_o_f32_e32 vcc_lo, v102, v102
	s_mov_b32 s94, exec_lo
	s_xor_b32 vcc_hi, exec_lo, -1
	s_delay_alu instid0(VALU_DEP_2) | instskip(NEXT) | instid1(VALU_DEP_1)
	v_add3_u32 v1, v102, v1, 0x7fff
	v_lshrrev_b32_e32 v1, 16, v1
	s_delay_alu instid0(VALU_DEP_1)
	v_cndmask_b32_e32 v1, 0x7fc0, v1, vcc_lo
	flat_store_b32 v[2:3], v1
.LBB25_6954:
	s_wait_xcnt 0x0
	s_or_b32 exec_lo, exec_lo, s95
	s_delay_alu instid0(SALU_CYCLE_1)
	s_and_not1_b32 s95, s78, exec_lo
	s_and_b32 vcc_lo, vcc_hi, exec_lo
	s_and_b32 s94, s94, exec_lo
	s_or_b32 s95, s95, vcc_lo
                                        ; implicit-def: $vgpr1
                                        ; implicit-def: $vgpr2_vgpr3
                                        ; implicit-def: $vgpr102
.LBB25_6955:
	s_and_not1_saveexec_b32 vcc_hi, s0
	s_cbranch_execz .LBB25_6961
; %bb.6956:
	s_mov_b32 s31, -1
	s_mov_b32 s0, s94
	s_mov_b32 s30, exec_lo
	v_cmpx_eq_u16_e32 44, v1
	s_cbranch_execz .LBB25_6960
; %bb.6957:
	v_bfe_u32 v4, v102, 23, 8
	v_mov_b32_e32 v1, 0xff
	s_mov_b32 s31, exec_lo
	s_delay_alu instid0(VALU_DEP_2)
	v_cmpx_ne_u32_e32 0xff, v4
	s_cbranch_execz .LBB25_6959
; %bb.6958:
	v_and_b32_e32 v1, 0x400000, v102
	v_and_or_b32 v4, 0x3fffff, v102, v4
	s_delay_alu instid0(VALU_DEP_2) | instskip(NEXT) | instid1(VALU_DEP_2)
	v_cmp_ne_u32_e32 vcc_lo, 0, v1
	v_cmp_ne_u32_e64 s0, 0, v4
	v_lshrrev_b32_e32 v1, 23, v102
	s_and_b32 s0, vcc_lo, s0
	s_delay_alu instid0(SALU_CYCLE_1) | instskip(NEXT) | instid1(VALU_DEP_1)
	v_cndmask_b32_e64 v4, 0, 1, s0
	v_add_nc_u32_e32 v1, v1, v4
.LBB25_6959:
	s_or_b32 exec_lo, exec_lo, s31
	s_delay_alu instid0(SALU_CYCLE_1)
	s_xor_b32 s31, exec_lo, -1
	s_or_b32 s0, s94, exec_lo
	flat_store_b8 v[2:3], v1
.LBB25_6960:
	s_wait_xcnt 0x0
	s_or_b32 exec_lo, exec_lo, s30
	s_delay_alu instid0(SALU_CYCLE_1)
	s_and_not1_b32 s95, s95, exec_lo
	s_and_b32 vcc_lo, s31, exec_lo
	s_and_not1_b32 s94, s94, exec_lo
	s_and_b32 s0, s0, exec_lo
	s_or_b32 s95, s95, vcc_lo
	s_or_b32 s94, s94, s0
.LBB25_6961:
	s_or_b32 exec_lo, exec_lo, vcc_hi
	s_delay_alu instid0(SALU_CYCLE_1) | instskip(SKIP_1) | instid1(SALU_CYCLE_1)
	s_and_not1_b32 s0, s78, exec_lo
	s_and_b32 s95, s95, exec_lo
                                        ; implicit-def: $vgpr1
                                        ; implicit-def: $vgpr102
                                        ; implicit-def: $vgpr2_vgpr3
	s_or_b32 s95, s0, s95
	s_and_b32 s0, s94, exec_lo
.LBB25_6962:
	s_and_not1_saveexec_b32 s93, s93
	s_cbranch_execz .LBB25_6966
; %bb.6963:
	s_mov_b32 s30, -1
	s_mov_b32 vcc_hi, s0
	s_mov_b32 s94, exec_lo
	v_cmpx_eq_u16_e32 29, v1
	s_cbranch_execz .LBB25_6965
; %bb.6964:
	v_trunc_f32_e32 v1, v102
	s_xor_b32 s30, exec_lo, -1
	s_or_b32 vcc_hi, s0, exec_lo
	s_delay_alu instid0(VALU_DEP_1) | instskip(NEXT) | instid1(VALU_DEP_1)
	v_mul_f32_e32 v4, 0x2f800000, v1
	v_floor_f32_e32 v4, v4
	s_delay_alu instid0(VALU_DEP_1) | instskip(SKIP_1) | instid1(VALU_DEP_2)
	v_fmamk_f32 v1, v4, 0xcf800000, v1
	v_cvt_u32_f32_e32 v5, v4
	v_cvt_u32_f32_e32 v4, v1
	flat_store_b64 v[2:3], v[4:5]
.LBB25_6965:
	s_wait_xcnt 0x0
	s_or_b32 exec_lo, exec_lo, s94
	s_delay_alu instid0(SALU_CYCLE_1)
	s_and_not1_b32 s94, s95, exec_lo
	s_and_b32 s95, s30, exec_lo
	s_and_not1_b32 s0, s0, exec_lo
	s_and_b32 vcc_lo, vcc_hi, exec_lo
	s_or_b32 s95, s94, s95
	s_or_b32 s0, s0, vcc_lo
.LBB25_6966:
	s_or_b32 exec_lo, exec_lo, s93
	s_delay_alu instid0(SALU_CYCLE_1)
	s_and_not1_b32 s93, s78, exec_lo
	s_and_b32 s94, s95, exec_lo
	s_and_b32 s0, s0, exec_lo
	s_or_b32 s93, s93, s94
                                        ; implicit-def: $vgpr2_vgpr3
                                        ; implicit-def: $vgpr1
                                        ; implicit-def: $vgpr102
.LBB25_6967:
	s_and_not1_saveexec_b32 s91, s91
	s_cbranch_execz .LBB25_6983
; %bb.6968:
	s_mov_b32 s94, exec_lo
	v_cmpx_lt_i16_e32 26, v1
	s_xor_b32 s94, exec_lo, s94
	s_cbranch_execz .LBB25_6974
; %bb.6969:
	v_cmp_lt_i16_e32 vcc_lo, 27, v1
	v_cvt_u32_f32_e32 v1, v102
	s_and_saveexec_b32 s95, vcc_lo
	s_delay_alu instid0(SALU_CYCLE_1)
	s_xor_b32 s95, exec_lo, s95
	s_cbranch_execz .LBB25_6971
; %bb.6970:
	flat_store_b32 v[2:3], v1
                                        ; implicit-def: $vgpr2_vgpr3
                                        ; implicit-def: $vgpr1
.LBB25_6971:
	s_wait_xcnt 0x0
	s_and_not1_saveexec_b32 s95, s95
	s_cbranch_execz .LBB25_6973
; %bb.6972:
	flat_store_b16 v[2:3], v1
.LBB25_6973:
	s_wait_xcnt 0x0
	s_or_b32 exec_lo, exec_lo, s95
                                        ; implicit-def: $vgpr2_vgpr3
                                        ; implicit-def: $vgpr102
.LBB25_6974:
	s_and_not1_saveexec_b32 s94, s94
	s_cbranch_execz .LBB25_6982
; %bb.6975:
	v_and_b32_e32 v1, 0x7fffffff, v102
	v_mov_b32_e32 v4, 0x80
	s_mov_b32 s95, exec_lo
	s_delay_alu instid0(VALU_DEP_2)
	v_cmpx_gt_u32_e32 0x43800000, v1
	s_cbranch_execz .LBB25_6981
; %bb.6976:
	v_cmp_lt_u32_e32 vcc_lo, 0x3bffffff, v1
	s_mov_b32 vcc_hi, 0
                                        ; implicit-def: $vgpr1
	s_and_saveexec_b32 s30, vcc_lo
	s_delay_alu instid0(SALU_CYCLE_1)
	s_xor_b32 vcc_lo, exec_lo, s30
	s_cbranch_execnz .LBB25_7979
; %bb.6977:
	s_and_not1_saveexec_b32 s30, vcc_lo
	s_cbranch_execnz .LBB25_7980
.LBB25_6978:
	s_or_b32 exec_lo, exec_lo, s30
	v_mov_b32_e32 v4, 0
	s_and_saveexec_b32 vcc_lo, vcc_hi
.LBB25_6979:
	v_lshrrev_b32_e32 v4, 24, v102
	s_delay_alu instid0(VALU_DEP_1)
	v_and_or_b32 v4, 0x80, v4, v1
.LBB25_6980:
	s_or_b32 exec_lo, exec_lo, vcc_lo
.LBB25_6981:
	s_delay_alu instid0(SALU_CYCLE_1)
	s_or_b32 exec_lo, exec_lo, s95
	flat_store_b8 v[2:3], v4
.LBB25_6982:
	s_wait_xcnt 0x0
	s_or_b32 exec_lo, exec_lo, s94
	s_delay_alu instid0(SALU_CYCLE_1)
	s_or_b32 s0, s0, exec_lo
.LBB25_6983:
	s_or_b32 exec_lo, exec_lo, s91
	s_delay_alu instid0(SALU_CYCLE_1)
	s_and_not1_b32 s91, s78, exec_lo
	s_and_b32 s93, s93, exec_lo
	s_and_b32 s0, s0, exec_lo
	s_or_b32 s91, s91, s93
                                        ; implicit-def: $vgpr1
                                        ; implicit-def: $vgpr102
                                        ; implicit-def: $vgpr2_vgpr3
.LBB25_6984:
	s_and_not1_saveexec_b32 s92, s92
	s_cbranch_execz .LBB25_7028
; %bb.6985:
	s_mov_b32 s94, s0
	s_mov_b32 s93, exec_lo
	v_cmpx_lt_i16_e32 22, v1
	s_xor_b32 s93, exec_lo, s93
	s_cbranch_execz .LBB25_7017
; %bb.6986:
	s_mov_b32 s94, exec_lo
	v_cmpx_lt_i16_e32 23, v1
	s_xor_b32 s94, exec_lo, s94
	s_cbranch_execz .LBB25_7006
; %bb.6987:
	;; [unrolled: 5-line block ×3, first 2 shown]
	v_and_b32_e32 v1, 0x7fffffff, v102
	v_mov_b32_e32 v4, 0x80
	s_mov_b32 vcc_hi, exec_lo
	s_delay_alu instid0(VALU_DEP_2)
	v_cmpx_gt_u32_e32 0x47800000, v1
	s_cbranch_execz .LBB25_6994
; %bb.6989:
	v_cmp_lt_u32_e32 vcc_lo, 0x37ffffff, v1
	s_mov_b32 s30, 0
                                        ; implicit-def: $vgpr1
	s_and_saveexec_b32 s31, vcc_lo
	s_delay_alu instid0(SALU_CYCLE_1)
	s_xor_b32 vcc_lo, exec_lo, s31
	s_cbranch_execnz .LBB25_7981
; %bb.6990:
	s_and_not1_saveexec_b32 s31, vcc_lo
	s_cbranch_execnz .LBB25_7982
.LBB25_6991:
	s_or_b32 exec_lo, exec_lo, s31
	v_mov_b32_e32 v4, 0
	s_and_saveexec_b32 vcc_lo, s30
.LBB25_6992:
	v_lshrrev_b32_e32 v4, 24, v102
	s_delay_alu instid0(VALU_DEP_1)
	v_and_or_b32 v4, 0x80, v4, v1
.LBB25_6993:
	s_or_b32 exec_lo, exec_lo, vcc_lo
.LBB25_6994:
	s_delay_alu instid0(SALU_CYCLE_1)
	s_or_b32 exec_lo, exec_lo, vcc_hi
	flat_store_b8 v[2:3], v4
                                        ; implicit-def: $vgpr102
                                        ; implicit-def: $vgpr2_vgpr3
.LBB25_6995:
	s_wait_xcnt 0x0
	s_and_not1_saveexec_b32 s95, s95
	s_cbranch_execz .LBB25_7005
; %bb.6996:
	v_and_b32_e32 v4, 0x7fffffff, v102
	s_mov_b32 vcc_hi, exec_lo
                                        ; implicit-def: $vgpr1
	s_delay_alu instid0(VALU_DEP_1)
	v_cmpx_gt_u32_e32 0x43f00000, v4
	s_xor_b32 vcc_hi, exec_lo, vcc_hi
	s_cbranch_execz .LBB25_7002
; %bb.6997:
	s_mov_b32 s30, exec_lo
                                        ; implicit-def: $vgpr1
	v_cmpx_lt_u32_e32 0x3c7fffff, v4
	s_xor_b32 s30, exec_lo, s30
; %bb.6998:
	v_bfe_u32 v1, v102, 20, 1
	s_delay_alu instid0(VALU_DEP_1) | instskip(NEXT) | instid1(VALU_DEP_1)
	v_add3_u32 v1, v102, v1, 0x407ffff
	v_and_b32_e32 v4, 0xff00000, v1
	v_lshrrev_b32_e32 v1, 20, v1
	s_delay_alu instid0(VALU_DEP_2) | instskip(NEXT) | instid1(VALU_DEP_2)
	v_cmp_ne_u32_e32 vcc_lo, 0x7f00000, v4
	v_cndmask_b32_e32 v1, 0x7e, v1, vcc_lo
; %bb.6999:
	s_and_not1_saveexec_b32 vcc_lo, s30
; %bb.7000:
	v_add_f32_e64 v1, 0x46800000, |v102|
; %bb.7001:
	s_or_b32 exec_lo, exec_lo, vcc_lo
                                        ; implicit-def: $vgpr4
.LBB25_7002:
	s_and_not1_saveexec_b32 vcc_hi, vcc_hi
; %bb.7003:
	v_mov_b32_e32 v1, 0x7f
	v_cmp_lt_u32_e32 vcc_lo, 0x7f800000, v4
	s_delay_alu instid0(VALU_DEP_2)
	v_cndmask_b32_e32 v1, 0x7e, v1, vcc_lo
; %bb.7004:
	s_or_b32 exec_lo, exec_lo, vcc_hi
	v_lshrrev_b32_e32 v4, 24, v102
	s_delay_alu instid0(VALU_DEP_1)
	v_and_or_b32 v1, 0x80, v4, v1
	flat_store_b8 v[2:3], v1
.LBB25_7005:
	s_wait_xcnt 0x0
	s_or_b32 exec_lo, exec_lo, s95
                                        ; implicit-def: $vgpr102
                                        ; implicit-def: $vgpr2_vgpr3
.LBB25_7006:
	s_and_not1_saveexec_b32 s94, s94
	s_cbranch_execz .LBB25_7016
; %bb.7007:
	v_and_b32_e32 v4, 0x7fffffff, v102
	s_mov_b32 s95, exec_lo
                                        ; implicit-def: $vgpr1
	s_delay_alu instid0(VALU_DEP_1)
	v_cmpx_gt_u32_e32 0x47800000, v4
	s_xor_b32 s95, exec_lo, s95
	s_cbranch_execz .LBB25_7013
; %bb.7008:
	v_cmp_lt_u32_e32 vcc_lo, 0x387fffff, v4
                                        ; implicit-def: $vgpr1
	s_and_saveexec_b32 vcc_hi, vcc_lo
	s_delay_alu instid0(SALU_CYCLE_1)
	s_xor_b32 vcc_lo, exec_lo, vcc_hi
; %bb.7009:
	v_bfe_u32 v1, v102, 21, 1
	s_delay_alu instid0(VALU_DEP_1) | instskip(NEXT) | instid1(VALU_DEP_1)
	v_add3_u32 v1, v102, v1, 0x80fffff
	v_lshrrev_b32_e32 v1, 21, v1
; %bb.7010:
	s_and_not1_saveexec_b32 vcc_lo, vcc_lo
; %bb.7011:
	v_add_f32_e64 v1, 0x43000000, |v102|
; %bb.7012:
	s_or_b32 exec_lo, exec_lo, vcc_lo
                                        ; implicit-def: $vgpr4
.LBB25_7013:
	s_and_not1_saveexec_b32 s95, s95
; %bb.7014:
	v_mov_b32_e32 v1, 0x7f
	v_cmp_lt_u32_e32 vcc_lo, 0x7f800000, v4
	s_delay_alu instid0(VALU_DEP_2)
	v_cndmask_b32_e32 v1, 0x7c, v1, vcc_lo
; %bb.7015:
	s_or_b32 exec_lo, exec_lo, s95
	v_lshrrev_b32_e32 v4, 24, v102
	s_delay_alu instid0(VALU_DEP_1)
	v_and_or_b32 v1, 0x80, v4, v1
	flat_store_b8 v[2:3], v1
.LBB25_7016:
	s_wait_xcnt 0x0
	s_or_b32 exec_lo, exec_lo, s94
	s_delay_alu instid0(SALU_CYCLE_1)
	s_or_b32 s94, s0, exec_lo
                                        ; implicit-def: $vgpr1
                                        ; implicit-def: $vgpr102
                                        ; implicit-def: $vgpr2_vgpr3
.LBB25_7017:
	s_or_saveexec_b32 s93, s93
	s_mov_b32 s95, s91
	s_xor_b32 exec_lo, exec_lo, s93
	s_cbranch_execz .LBB25_7027
; %bb.7018:
	s_mov_b32 s95, s94
	s_mov_b32 vcc_hi, s91
	s_mov_b32 s30, exec_lo
	v_cmpx_lt_i16_e32 14, v1
	s_xor_b32 s30, exec_lo, s30
	s_cbranch_execz .LBB25_7022
; %bb.7019:
	s_mov_b32 s31, -1
	s_mov_b32 s95, s94
	s_mov_b32 vcc_hi, exec_lo
	v_cmpx_eq_u16_e32 15, v1
	s_cbranch_execz .LBB25_7021
; %bb.7020:
	v_bfe_u32 v1, v102, 16, 1
	v_cmp_o_f32_e32 vcc_lo, v102, v102
	s_xor_b32 s31, exec_lo, -1
	s_or_b32 s95, s94, exec_lo
	s_delay_alu instid0(VALU_DEP_2) | instskip(NEXT) | instid1(VALU_DEP_1)
	v_add3_u32 v1, v102, v1, 0x7fff
	v_lshrrev_b32_e32 v1, 16, v1
	s_delay_alu instid0(VALU_DEP_1)
	v_cndmask_b32_e32 v1, 0x7fc0, v1, vcc_lo
	flat_store_b16 v[2:3], v1
.LBB25_7021:
	s_wait_xcnt 0x0
	s_or_b32 exec_lo, exec_lo, vcc_hi
	s_delay_alu instid0(SALU_CYCLE_1)
	s_and_not1_b32 vcc_lo, s91, exec_lo
	s_and_b32 vcc_hi, s31, exec_lo
	s_and_not1_b32 s31, s94, exec_lo
	s_and_b32 s95, s95, exec_lo
	s_or_b32 vcc_hi, vcc_lo, vcc_hi
	s_or_b32 s95, s31, s95
                                        ; implicit-def: $vgpr1
                                        ; implicit-def: $vgpr102
                                        ; implicit-def: $vgpr2_vgpr3
.LBB25_7022:
	s_and_not1_saveexec_b32 s30, s30
	s_cbranch_execz .LBB25_7026
; %bb.7023:
	s_mov_b32 s34, -1
	s_mov_b32 s31, s95
	s_mov_b32 s35, exec_lo
	v_cmpx_eq_u16_e32 11, v1
	s_cbranch_execz .LBB25_7025
; %bb.7024:
	v_cmp_neq_f32_e32 vcc_lo, 0, v102
	s_xor_b32 s34, exec_lo, -1
	s_or_b32 s31, s95, exec_lo
	v_cndmask_b32_e64 v1, 0, 1, vcc_lo
	flat_store_b8 v[2:3], v1
.LBB25_7025:
	s_wait_xcnt 0x0
	s_or_b32 exec_lo, exec_lo, s35
	s_delay_alu instid0(SALU_CYCLE_1)
	s_and_not1_b32 vcc_lo, vcc_hi, exec_lo
	s_and_b32 vcc_hi, s34, exec_lo
	s_and_not1_b32 s95, s95, exec_lo
	s_and_b32 s31, s31, exec_lo
	s_or_b32 vcc_hi, vcc_lo, vcc_hi
	s_or_b32 s95, s95, s31
.LBB25_7026:
	s_or_b32 exec_lo, exec_lo, s30
	s_delay_alu instid0(SALU_CYCLE_1)
	s_and_not1_b32 vcc_lo, s91, exec_lo
	s_and_b32 vcc_hi, vcc_hi, exec_lo
	s_and_not1_b32 s94, s94, exec_lo
	s_and_b32 s30, s95, exec_lo
	s_or_b32 s95, vcc_lo, vcc_hi
	s_or_b32 s94, s94, s30
.LBB25_7027:
	s_or_b32 exec_lo, exec_lo, s93
	s_delay_alu instid0(SALU_CYCLE_1)
	s_and_not1_b32 s91, s91, exec_lo
	s_and_b32 s93, s95, exec_lo
	s_and_not1_b32 s0, s0, exec_lo
	s_and_b32 s94, s94, exec_lo
	s_or_b32 s91, s91, s93
	s_or_b32 s0, s0, s94
.LBB25_7028:
	s_or_b32 exec_lo, exec_lo, s92
	s_delay_alu instid0(SALU_CYCLE_1)
	s_and_not1_b32 s92, s78, exec_lo
	s_and_b32 s91, s91, exec_lo
	s_and_b32 s0, s0, exec_lo
	s_or_b32 s91, s92, s91
                                        ; implicit-def: $vgpr1
                                        ; implicit-def: $vgpr102
                                        ; implicit-def: $vgpr2_vgpr3
.LBB25_7029:
	s_and_not1_saveexec_b32 s88, s88
	s_cbranch_execz .LBB25_7071
; %bb.7030:
	s_mov_b32 s92, exec_lo
	v_cmpx_lt_i16_e32 4, v1
	s_xor_b32 s92, exec_lo, s92
	s_cbranch_execz .LBB25_7052
; %bb.7031:
	s_mov_b32 s93, exec_lo
	v_cmpx_lt_i16_e32 7, v1
	s_xor_b32 s93, exec_lo, s93
	;; [unrolled: 5-line block ×4, first 2 shown]
	s_cbranch_execz .LBB25_7035
; %bb.7034:
	v_cvt_f64_f32_e32 v[4:5], v102
	v_mov_b32_e32 v6, 0
                                        ; implicit-def: $vgpr102
	s_delay_alu instid0(VALU_DEP_1)
	v_mov_b32_e32 v7, v6
	flat_store_b128 v[2:3], v[4:7]
                                        ; implicit-def: $vgpr2_vgpr3
.LBB25_7035:
	s_wait_xcnt 0x0
	s_and_not1_saveexec_b32 s95, s95
	s_cbranch_execz .LBB25_7037
; %bb.7036:
	v_mov_b32_e32 v103, 0
	flat_store_b64 v[2:3], v[102:103]
.LBB25_7037:
	s_wait_xcnt 0x0
	s_or_b32 exec_lo, exec_lo, s95
                                        ; implicit-def: $vgpr102
                                        ; implicit-def: $vgpr2_vgpr3
.LBB25_7038:
	s_and_not1_saveexec_b32 s94, s94
	s_cbranch_execz .LBB25_7040
; %bb.7039:
	v_cvt_f16_f32_e32 v1, v102
	s_delay_alu instid0(VALU_DEP_1)
	v_and_b32_e32 v1, 0xffff, v1
	flat_store_b32 v[2:3], v1
.LBB25_7040:
	s_wait_xcnt 0x0
	s_or_b32 exec_lo, exec_lo, s94
                                        ; implicit-def: $vgpr102
                                        ; implicit-def: $vgpr2_vgpr3
                                        ; implicit-def: $vgpr1
.LBB25_7041:
	s_and_not1_saveexec_b32 s93, s93
	s_cbranch_execz .LBB25_7051
; %bb.7042:
	s_mov_b32 s94, exec_lo
	v_cmpx_lt_i16_e32 5, v1
	s_xor_b32 s94, exec_lo, s94
	s_cbranch_execz .LBB25_7048
; %bb.7043:
	s_mov_b32 s95, exec_lo
	v_cmpx_lt_i16_e32 6, v1
	s_xor_b32 s95, exec_lo, s95
	s_cbranch_execz .LBB25_7045
; %bb.7044:
	v_cvt_f64_f32_e32 v[4:5], v102
                                        ; implicit-def: $vgpr102
	flat_store_b64 v[2:3], v[4:5]
                                        ; implicit-def: $vgpr2_vgpr3
.LBB25_7045:
	s_wait_xcnt 0x0
	s_and_not1_saveexec_b32 s95, s95
	s_cbranch_execz .LBB25_7047
; %bb.7046:
	flat_store_b32 v[2:3], v102
.LBB25_7047:
	s_wait_xcnt 0x0
	s_or_b32 exec_lo, exec_lo, s95
                                        ; implicit-def: $vgpr102
                                        ; implicit-def: $vgpr2_vgpr3
.LBB25_7048:
	s_and_not1_saveexec_b32 s94, s94
	s_cbranch_execz .LBB25_7050
; %bb.7049:
	v_cvt_f16_f32_e32 v1, v102
	flat_store_b16 v[2:3], v1
.LBB25_7050:
	s_wait_xcnt 0x0
	s_or_b32 exec_lo, exec_lo, s94
.LBB25_7051:
	s_delay_alu instid0(SALU_CYCLE_1)
	s_or_b32 exec_lo, exec_lo, s93
                                        ; implicit-def: $vgpr1
                                        ; implicit-def: $vgpr102
                                        ; implicit-def: $vgpr2_vgpr3
.LBB25_7052:
	s_and_not1_saveexec_b32 s92, s92
	s_cbranch_execz .LBB25_7070
; %bb.7053:
	s_mov_b32 s93, exec_lo
	v_cmpx_lt_i16_e32 1, v1
	s_xor_b32 s93, exec_lo, s93
	s_cbranch_execz .LBB25_7063
; %bb.7054:
	s_mov_b32 s94, exec_lo
	v_cmpx_lt_i16_e32 2, v1
	s_xor_b32 s94, exec_lo, s94
	;; [unrolled: 5-line block ×3, first 2 shown]
	s_cbranch_execz .LBB25_7057
; %bb.7056:
	v_trunc_f32_e32 v1, v102
                                        ; implicit-def: $vgpr102
	s_delay_alu instid0(VALU_DEP_1) | instskip(NEXT) | instid1(VALU_DEP_1)
	v_mul_f32_e64 v4, 0x2f800000, |v1|
	v_floor_f32_e32 v5, v4
	v_ashrrev_i32_e32 v4, 31, v1
	s_delay_alu instid0(VALU_DEP_2) | instskip(SKIP_1) | instid1(VALU_DEP_3)
	v_fma_f32 v6, 0xcf800000, v5, |v1|
	v_cvt_u32_f32_e32 v1, v5
	v_mov_b32_e32 v5, v4
	s_delay_alu instid0(VALU_DEP_3) | instskip(NEXT) | instid1(VALU_DEP_3)
	v_cvt_u32_f32_e32 v6, v6
	v_xor_b32_e32 v7, v1, v4
	s_delay_alu instid0(VALU_DEP_2) | instskip(NEXT) | instid1(VALU_DEP_1)
	v_xor_b32_e32 v6, v6, v4
	v_sub_nc_u64_e32 v[4:5], v[6:7], v[4:5]
	flat_store_b64 v[2:3], v[4:5]
                                        ; implicit-def: $vgpr2_vgpr3
.LBB25_7057:
	s_wait_xcnt 0x0
	s_and_not1_saveexec_b32 s95, s95
	s_cbranch_execz .LBB25_7059
; %bb.7058:
	v_cvt_i32_f32_e32 v1, v102
	flat_store_b32 v[2:3], v1
.LBB25_7059:
	s_wait_xcnt 0x0
	s_or_b32 exec_lo, exec_lo, s95
                                        ; implicit-def: $vgpr102
                                        ; implicit-def: $vgpr2_vgpr3
.LBB25_7060:
	s_and_not1_saveexec_b32 s94, s94
	s_cbranch_execz .LBB25_7062
; %bb.7061:
	v_cvt_i32_f32_e32 v1, v102
	flat_store_b16 v[2:3], v1
.LBB25_7062:
	s_wait_xcnt 0x0
	s_or_b32 exec_lo, exec_lo, s94
                                        ; implicit-def: $vgpr102
                                        ; implicit-def: $vgpr2_vgpr3
                                        ; implicit-def: $vgpr1
.LBB25_7063:
	s_and_not1_saveexec_b32 s93, s93
	s_cbranch_execz .LBB25_7069
; %bb.7064:
	s_mov_b32 s94, exec_lo
	v_cmpx_lt_i16_e32 0, v1
	s_xor_b32 s94, exec_lo, s94
	s_cbranch_execz .LBB25_7066
; %bb.7065:
	v_cvt_i32_f32_e32 v1, v102
                                        ; implicit-def: $vgpr102
	flat_store_b8 v[2:3], v1
                                        ; implicit-def: $vgpr2_vgpr3
.LBB25_7066:
	s_wait_xcnt 0x0
	s_and_not1_saveexec_b32 s94, s94
	s_cbranch_execz .LBB25_7068
; %bb.7067:
	v_trunc_f32_e32 v1, v102
	s_delay_alu instid0(VALU_DEP_1) | instskip(NEXT) | instid1(VALU_DEP_1)
	v_mul_f32_e64 v4, 0x2f800000, |v1|
	v_floor_f32_e32 v4, v4
	s_delay_alu instid0(VALU_DEP_1) | instskip(SKIP_1) | instid1(VALU_DEP_2)
	v_fma_f32 v4, 0xcf800000, v4, |v1|
	v_ashrrev_i32_e32 v1, 31, v1
	v_cvt_u32_f32_e32 v4, v4
	s_delay_alu instid0(VALU_DEP_1) | instskip(NEXT) | instid1(VALU_DEP_1)
	v_xor_b32_e32 v4, v4, v1
	v_sub_nc_u32_e32 v1, v4, v1
	flat_store_b8 v[2:3], v1
.LBB25_7068:
	s_wait_xcnt 0x0
	s_or_b32 exec_lo, exec_lo, s94
.LBB25_7069:
	s_delay_alu instid0(SALU_CYCLE_1)
	s_or_b32 exec_lo, exec_lo, s93
.LBB25_7070:
	s_delay_alu instid0(SALU_CYCLE_1) | instskip(NEXT) | instid1(SALU_CYCLE_1)
	s_or_b32 exec_lo, exec_lo, s92
	s_or_b32 s0, s0, exec_lo
.LBB25_7071:
	s_or_b32 exec_lo, exec_lo, s88
	s_mov_b32 s92, 0
	s_mov_b32 s88, 0
	s_and_saveexec_b32 s93, s0
; %bb.7072:
	v_add_nc_u32_e32 v209, 0x200, v209
	s_mov_b32 s92, exec_lo
	s_delay_alu instid0(VALU_DEP_1)
	v_cmp_lt_i32_e32 vcc_lo, v209, v211
	s_and_b32 s88, vcc_lo, exec_lo
; %bb.7073:
	s_or_b32 exec_lo, exec_lo, s93
	s_delay_alu instid0(SALU_CYCLE_1)
	s_and_not1_b32 s93, s78, exec_lo
	s_and_b32 s91, s91, exec_lo
	s_and_b32 s0, s88, exec_lo
	s_or_b32 s88, s93, s91
	s_or_not1_b32 s92, s92, exec_lo
.LBB25_7074:
	s_or_b32 exec_lo, exec_lo, s89
	s_mov_b32 s91, 0
	s_mov_b32 s93, 0
                                        ; implicit-def: $vgpr4
                                        ; implicit-def: $vgpr2_vgpr3
	s_and_saveexec_b32 s89, s92
	s_cbranch_execz .LBB25_7806
; %bb.7075:
	s_mov_b32 s94, -1
	s_mov_b32 s92, 0
	s_mov_b32 s90, s88
	;; [unrolled: 1-line block ×3, first 2 shown]
	s_and_saveexec_b32 s91, s0
	s_cbranch_execz .LBB25_7203
; %bb.7076:
	v_dual_add_nc_u32 v1, s60, v209 :: v_dual_mov_b32 v3, 0
	s_mov_b32 s0, 0
	s_mov_b32 s93, s88
	s_mov_b32 s90, exec_lo
	s_delay_alu instid0(VALU_DEP_1) | instskip(SKIP_1) | instid1(VALU_DEP_2)
	v_mul_lo_u32 v2, v1, v210
	v_and_b32_e32 v1, 0xff, v85
	v_add_nc_u64_e32 v[2:3], v[212:213], v[2:3]
	s_delay_alu instid0(VALU_DEP_2)
	v_cmpx_lt_i16_e32 10, v1
	s_xor_b32 s90, exec_lo, s90
	s_cbranch_execz .LBB25_7158
; %bb.7077:
	s_mov_b32 s93, s88
	s_mov_b32 s94, exec_lo
	v_cmpx_lt_i16_e32 25, v1
	s_xor_b32 s94, exec_lo, s94
	s_cbranch_execz .LBB25_7113
; %bb.7078:
	s_mov_b32 s95, s88
	s_mov_b32 s93, exec_lo
	;; [unrolled: 6-line block ×3, first 2 shown]
	v_cmpx_lt_i16_e32 43, v1
	s_xor_b32 s95, exec_lo, s95
	s_cbranch_execz .LBB25_7091
; %bb.7080:
	s_mov_b32 vcc_hi, 0
	s_mov_b32 s30, s88
	s_mov_b32 s0, exec_lo
	v_cmpx_lt_i16_e32 45, v1
	s_xor_b32 s0, exec_lo, s0
	s_cbranch_execz .LBB25_7084
; %bb.7081:
	s_mov_b32 s31, -1
	s_mov_b32 s30, exec_lo
	v_cmpx_eq_u16_e32 46, v1
	s_cbranch_execz .LBB25_7083
; %bb.7082:
	v_bfe_u32 v1, v100, 16, 1
	v_cmp_o_f32_e32 vcc_lo, v100, v100
	s_mov_b32 vcc_hi, exec_lo
	s_xor_b32 s31, exec_lo, -1
	s_delay_alu instid0(VALU_DEP_2) | instskip(NEXT) | instid1(VALU_DEP_1)
	v_add3_u32 v1, v100, v1, 0x7fff
	v_lshrrev_b32_e32 v1, 16, v1
	s_delay_alu instid0(VALU_DEP_1)
	v_cndmask_b32_e32 v1, 0x7fc0, v1, vcc_lo
	flat_store_b32 v[2:3], v1
.LBB25_7083:
	s_wait_xcnt 0x0
	s_or_b32 exec_lo, exec_lo, s30
	s_delay_alu instid0(SALU_CYCLE_1)
	s_and_not1_b32 vcc_lo, s88, exec_lo
	s_and_b32 s30, s31, exec_lo
	s_and_b32 vcc_hi, vcc_hi, exec_lo
	s_or_b32 s30, vcc_lo, s30
                                        ; implicit-def: $vgpr1
                                        ; implicit-def: $vgpr2_vgpr3
                                        ; implicit-def: $vgpr100
.LBB25_7084:
	s_and_not1_saveexec_b32 s31, s0
	s_cbranch_execz .LBB25_7090
; %bb.7085:
	s_mov_b32 s35, -1
	s_mov_b32 s0, vcc_hi
	s_mov_b32 s34, exec_lo
	v_cmpx_eq_u16_e32 44, v1
	s_cbranch_execz .LBB25_7089
; %bb.7086:
	v_bfe_u32 v4, v100, 23, 8
	v_mov_b32_e32 v1, 0xff
	s_mov_b32 s35, exec_lo
	s_delay_alu instid0(VALU_DEP_2)
	v_cmpx_ne_u32_e32 0xff, v4
	s_cbranch_execz .LBB25_7088
; %bb.7087:
	v_and_b32_e32 v1, 0x400000, v100
	v_and_or_b32 v4, 0x3fffff, v100, v4
	s_delay_alu instid0(VALU_DEP_2) | instskip(NEXT) | instid1(VALU_DEP_2)
	v_cmp_ne_u32_e32 vcc_lo, 0, v1
	v_cmp_ne_u32_e64 s0, 0, v4
	v_lshrrev_b32_e32 v1, 23, v100
	s_and_b32 s0, vcc_lo, s0
	s_delay_alu instid0(SALU_CYCLE_1) | instskip(NEXT) | instid1(VALU_DEP_1)
	v_cndmask_b32_e64 v4, 0, 1, s0
	v_add_nc_u32_e32 v1, v1, v4
.LBB25_7088:
	s_or_b32 exec_lo, exec_lo, s35
	s_delay_alu instid0(SALU_CYCLE_1)
	s_xor_b32 s35, exec_lo, -1
	s_or_b32 s0, vcc_hi, exec_lo
	flat_store_b8 v[2:3], v1
.LBB25_7089:
	s_wait_xcnt 0x0
	s_or_b32 exec_lo, exec_lo, s34
	s_delay_alu instid0(SALU_CYCLE_1)
	s_and_not1_b32 vcc_lo, s30, exec_lo
	s_and_b32 s30, s35, exec_lo
	s_and_not1_b32 vcc_hi, vcc_hi, exec_lo
	s_and_b32 s0, s0, exec_lo
	s_or_b32 s30, vcc_lo, s30
	s_or_b32 vcc_hi, vcc_hi, s0
.LBB25_7090:
	s_or_b32 exec_lo, exec_lo, s31
	s_delay_alu instid0(SALU_CYCLE_1) | instskip(SKIP_1) | instid1(SALU_CYCLE_1)
	s_and_not1_b32 s0, s88, exec_lo
	s_and_b32 vcc_lo, s30, exec_lo
                                        ; implicit-def: $vgpr1
                                        ; implicit-def: $vgpr100
                                        ; implicit-def: $vgpr2_vgpr3
	s_or_b32 s30, s0, vcc_lo
	s_and_b32 s0, vcc_hi, exec_lo
.LBB25_7091:
	s_and_not1_saveexec_b32 s95, s95
	s_cbranch_execz .LBB25_7095
; %bb.7092:
	s_mov_b32 s34, -1
	s_mov_b32 s31, s0
	s_mov_b32 vcc_hi, exec_lo
	v_cmpx_eq_u16_e32 29, v1
	s_cbranch_execz .LBB25_7094
; %bb.7093:
	v_trunc_f32_e32 v1, v100
	s_xor_b32 s34, exec_lo, -1
	s_or_b32 s31, s0, exec_lo
	s_delay_alu instid0(VALU_DEP_1) | instskip(NEXT) | instid1(VALU_DEP_1)
	v_mul_f32_e32 v4, 0x2f800000, v1
	v_floor_f32_e32 v4, v4
	s_delay_alu instid0(VALU_DEP_1) | instskip(SKIP_1) | instid1(VALU_DEP_2)
	v_fmamk_f32 v1, v4, 0xcf800000, v1
	v_cvt_u32_f32_e32 v5, v4
	v_cvt_u32_f32_e32 v4, v1
	flat_store_b64 v[2:3], v[4:5]
.LBB25_7094:
	s_wait_xcnt 0x0
	s_or_b32 exec_lo, exec_lo, vcc_hi
	s_delay_alu instid0(SALU_CYCLE_1)
	s_and_not1_b32 vcc_lo, s30, exec_lo
	s_and_b32 vcc_hi, s34, exec_lo
	s_and_not1_b32 s0, s0, exec_lo
	s_and_b32 s31, s31, exec_lo
	s_or_b32 s30, vcc_lo, vcc_hi
	s_or_b32 s0, s0, s31
.LBB25_7095:
	s_or_b32 exec_lo, exec_lo, s95
	s_delay_alu instid0(SALU_CYCLE_1)
	s_and_not1_b32 s95, s88, exec_lo
	s_and_b32 vcc_lo, s30, exec_lo
	s_and_b32 s0, s0, exec_lo
	s_or_b32 s95, s95, vcc_lo
                                        ; implicit-def: $vgpr2_vgpr3
                                        ; implicit-def: $vgpr1
                                        ; implicit-def: $vgpr100
.LBB25_7096:
	s_and_not1_saveexec_b32 s93, s93
	s_cbranch_execz .LBB25_7112
; %bb.7097:
	s_mov_b32 vcc_hi, exec_lo
	v_cmpx_lt_i16_e32 26, v1
	s_xor_b32 vcc_hi, exec_lo, vcc_hi
	s_cbranch_execz .LBB25_7103
; %bb.7098:
	v_cmp_lt_i16_e32 vcc_lo, 27, v1
	v_cvt_u32_f32_e32 v1, v100
	s_and_saveexec_b32 s30, vcc_lo
	s_delay_alu instid0(SALU_CYCLE_1)
	s_xor_b32 vcc_lo, exec_lo, s30
	s_cbranch_execz .LBB25_7100
; %bb.7099:
	flat_store_b32 v[2:3], v1
                                        ; implicit-def: $vgpr2_vgpr3
                                        ; implicit-def: $vgpr1
.LBB25_7100:
	s_wait_xcnt 0x0
	s_and_not1_saveexec_b32 vcc_lo, vcc_lo
	s_cbranch_execz .LBB25_7102
; %bb.7101:
	flat_store_b16 v[2:3], v1
.LBB25_7102:
	s_wait_xcnt 0x0
	s_or_b32 exec_lo, exec_lo, vcc_lo
                                        ; implicit-def: $vgpr2_vgpr3
                                        ; implicit-def: $vgpr100
.LBB25_7103:
	s_and_not1_saveexec_b32 vcc_hi, vcc_hi
	s_cbranch_execz .LBB25_7111
; %bb.7104:
	v_and_b32_e32 v1, 0x7fffffff, v100
	v_mov_b32_e32 v4, 0x80
	s_mov_b32 s30, exec_lo
	s_delay_alu instid0(VALU_DEP_2)
	v_cmpx_gt_u32_e32 0x43800000, v1
	s_cbranch_execz .LBB25_7110
; %bb.7105:
	v_cmp_lt_u32_e32 vcc_lo, 0x3bffffff, v1
	s_mov_b32 s31, 0
                                        ; implicit-def: $vgpr1
	s_and_saveexec_b32 s34, vcc_lo
	s_delay_alu instid0(SALU_CYCLE_1)
	s_xor_b32 vcc_lo, exec_lo, s34
	s_cbranch_execnz .LBB25_7983
; %bb.7106:
	s_and_not1_saveexec_b32 s34, vcc_lo
	s_cbranch_execnz .LBB25_7984
.LBB25_7107:
	s_or_b32 exec_lo, exec_lo, s34
	v_mov_b32_e32 v4, 0
	s_and_saveexec_b32 vcc_lo, s31
.LBB25_7108:
	v_lshrrev_b32_e32 v4, 24, v100
	s_delay_alu instid0(VALU_DEP_1)
	v_and_or_b32 v4, 0x80, v4, v1
.LBB25_7109:
	s_or_b32 exec_lo, exec_lo, vcc_lo
.LBB25_7110:
	s_delay_alu instid0(SALU_CYCLE_1)
	s_or_b32 exec_lo, exec_lo, s30
	flat_store_b8 v[2:3], v4
.LBB25_7111:
	s_wait_xcnt 0x0
	s_or_b32 exec_lo, exec_lo, vcc_hi
	s_delay_alu instid0(SALU_CYCLE_1)
	s_or_b32 s0, s0, exec_lo
.LBB25_7112:
	s_or_b32 exec_lo, exec_lo, s93
	s_delay_alu instid0(SALU_CYCLE_1)
	s_and_not1_b32 s93, s88, exec_lo
	s_and_b32 s95, s95, exec_lo
	s_and_b32 s0, s0, exec_lo
	s_or_b32 s93, s93, s95
                                        ; implicit-def: $vgpr1
                                        ; implicit-def: $vgpr100
                                        ; implicit-def: $vgpr2_vgpr3
.LBB25_7113:
	s_and_not1_saveexec_b32 s94, s94
	s_cbranch_execz .LBB25_7157
; %bb.7114:
	s_mov_b32 vcc_hi, s0
	s_mov_b32 s95, exec_lo
	v_cmpx_lt_i16_e32 22, v1
	s_xor_b32 s95, exec_lo, s95
	s_cbranch_execz .LBB25_7146
; %bb.7115:
	s_mov_b32 vcc_hi, exec_lo
	v_cmpx_lt_i16_e32 23, v1
	s_xor_b32 vcc_hi, exec_lo, vcc_hi
	s_cbranch_execz .LBB25_7135
; %bb.7116:
	s_mov_b32 s30, exec_lo
	v_cmpx_lt_i16_e32 24, v1
	s_xor_b32 s30, exec_lo, s30
	s_cbranch_execz .LBB25_7124
; %bb.7117:
	v_and_b32_e32 v1, 0x7fffffff, v100
	v_mov_b32_e32 v4, 0x80
	s_mov_b32 s31, exec_lo
	s_delay_alu instid0(VALU_DEP_2)
	v_cmpx_gt_u32_e32 0x47800000, v1
	s_cbranch_execz .LBB25_7123
; %bb.7118:
	v_cmp_lt_u32_e32 vcc_lo, 0x37ffffff, v1
	s_mov_b32 s34, 0
                                        ; implicit-def: $vgpr1
	s_and_saveexec_b32 s35, vcc_lo
	s_delay_alu instid0(SALU_CYCLE_1)
	s_xor_b32 vcc_lo, exec_lo, s35
	s_cbranch_execnz .LBB25_7985
; %bb.7119:
	s_and_not1_saveexec_b32 s35, vcc_lo
	s_cbranch_execnz .LBB25_7986
.LBB25_7120:
	s_or_b32 exec_lo, exec_lo, s35
	v_mov_b32_e32 v4, 0
	s_and_saveexec_b32 vcc_lo, s34
.LBB25_7121:
	v_lshrrev_b32_e32 v4, 24, v100
	s_delay_alu instid0(VALU_DEP_1)
	v_and_or_b32 v4, 0x80, v4, v1
.LBB25_7122:
	s_or_b32 exec_lo, exec_lo, vcc_lo
.LBB25_7123:
	s_delay_alu instid0(SALU_CYCLE_1)
	s_or_b32 exec_lo, exec_lo, s31
	flat_store_b8 v[2:3], v4
                                        ; implicit-def: $vgpr100
                                        ; implicit-def: $vgpr2_vgpr3
.LBB25_7124:
	s_wait_xcnt 0x0
	s_and_not1_saveexec_b32 s30, s30
	s_cbranch_execz .LBB25_7134
; %bb.7125:
	v_and_b32_e32 v4, 0x7fffffff, v100
	s_mov_b32 s31, exec_lo
                                        ; implicit-def: $vgpr1
	s_delay_alu instid0(VALU_DEP_1)
	v_cmpx_gt_u32_e32 0x43f00000, v4
	s_xor_b32 s31, exec_lo, s31
	s_cbranch_execz .LBB25_7131
; %bb.7126:
	s_mov_b32 s34, exec_lo
                                        ; implicit-def: $vgpr1
	v_cmpx_lt_u32_e32 0x3c7fffff, v4
	s_xor_b32 s34, exec_lo, s34
; %bb.7127:
	v_bfe_u32 v1, v100, 20, 1
	s_delay_alu instid0(VALU_DEP_1) | instskip(NEXT) | instid1(VALU_DEP_1)
	v_add3_u32 v1, v100, v1, 0x407ffff
	v_and_b32_e32 v4, 0xff00000, v1
	v_lshrrev_b32_e32 v1, 20, v1
	s_delay_alu instid0(VALU_DEP_2) | instskip(NEXT) | instid1(VALU_DEP_2)
	v_cmp_ne_u32_e32 vcc_lo, 0x7f00000, v4
	v_cndmask_b32_e32 v1, 0x7e, v1, vcc_lo
; %bb.7128:
	s_and_not1_saveexec_b32 vcc_lo, s34
; %bb.7129:
	v_add_f32_e64 v1, 0x46800000, |v100|
; %bb.7130:
	s_or_b32 exec_lo, exec_lo, vcc_lo
                                        ; implicit-def: $vgpr4
.LBB25_7131:
	s_and_not1_saveexec_b32 s31, s31
; %bb.7132:
	v_mov_b32_e32 v1, 0x7f
	v_cmp_lt_u32_e32 vcc_lo, 0x7f800000, v4
	s_delay_alu instid0(VALU_DEP_2)
	v_cndmask_b32_e32 v1, 0x7e, v1, vcc_lo
; %bb.7133:
	s_or_b32 exec_lo, exec_lo, s31
	v_lshrrev_b32_e32 v4, 24, v100
	s_delay_alu instid0(VALU_DEP_1)
	v_and_or_b32 v1, 0x80, v4, v1
	flat_store_b8 v[2:3], v1
.LBB25_7134:
	s_wait_xcnt 0x0
	s_or_b32 exec_lo, exec_lo, s30
                                        ; implicit-def: $vgpr100
                                        ; implicit-def: $vgpr2_vgpr3
.LBB25_7135:
	s_and_not1_saveexec_b32 vcc_hi, vcc_hi
	s_cbranch_execz .LBB25_7145
; %bb.7136:
	v_and_b32_e32 v4, 0x7fffffff, v100
	s_mov_b32 s30, exec_lo
                                        ; implicit-def: $vgpr1
	s_delay_alu instid0(VALU_DEP_1)
	v_cmpx_gt_u32_e32 0x47800000, v4
	s_xor_b32 s30, exec_lo, s30
	s_cbranch_execz .LBB25_7142
; %bb.7137:
	v_cmp_lt_u32_e32 vcc_lo, 0x387fffff, v4
                                        ; implicit-def: $vgpr1
	s_and_saveexec_b32 s31, vcc_lo
	s_delay_alu instid0(SALU_CYCLE_1)
	s_xor_b32 vcc_lo, exec_lo, s31
; %bb.7138:
	v_bfe_u32 v1, v100, 21, 1
	s_delay_alu instid0(VALU_DEP_1) | instskip(NEXT) | instid1(VALU_DEP_1)
	v_add3_u32 v1, v100, v1, 0x80fffff
	v_lshrrev_b32_e32 v1, 21, v1
; %bb.7139:
	s_and_not1_saveexec_b32 vcc_lo, vcc_lo
; %bb.7140:
	v_add_f32_e64 v1, 0x43000000, |v100|
; %bb.7141:
	s_or_b32 exec_lo, exec_lo, vcc_lo
                                        ; implicit-def: $vgpr4
.LBB25_7142:
	s_and_not1_saveexec_b32 s30, s30
; %bb.7143:
	v_mov_b32_e32 v1, 0x7f
	v_cmp_lt_u32_e32 vcc_lo, 0x7f800000, v4
	s_delay_alu instid0(VALU_DEP_2)
	v_cndmask_b32_e32 v1, 0x7c, v1, vcc_lo
; %bb.7144:
	s_or_b32 exec_lo, exec_lo, s30
	v_lshrrev_b32_e32 v4, 24, v100
	s_delay_alu instid0(VALU_DEP_1)
	v_and_or_b32 v1, 0x80, v4, v1
	flat_store_b8 v[2:3], v1
.LBB25_7145:
	s_wait_xcnt 0x0
	s_or_b32 exec_lo, exec_lo, vcc_hi
	s_delay_alu instid0(SALU_CYCLE_1)
	s_or_b32 vcc_hi, s0, exec_lo
                                        ; implicit-def: $vgpr1
                                        ; implicit-def: $vgpr100
                                        ; implicit-def: $vgpr2_vgpr3
.LBB25_7146:
	s_or_saveexec_b32 s95, s95
	s_mov_b32 vcc_lo, s93
	s_xor_b32 exec_lo, exec_lo, s95
	s_cbranch_execz .LBB25_7156
; %bb.7147:
	s_mov_b32 s30, vcc_hi
	s_mov_b32 s31, s93
	s_mov_b32 s34, exec_lo
	v_cmpx_lt_i16_e32 14, v1
	s_xor_b32 s34, exec_lo, s34
	s_cbranch_execz .LBB25_7151
; %bb.7148:
	s_mov_b32 s35, -1
	s_mov_b32 s30, vcc_hi
	s_mov_b32 s31, exec_lo
	v_cmpx_eq_u16_e32 15, v1
	s_cbranch_execz .LBB25_7150
; %bb.7149:
	v_bfe_u32 v1, v100, 16, 1
	v_cmp_o_f32_e32 vcc_lo, v100, v100
	s_xor_b32 s35, exec_lo, -1
	s_or_b32 s30, vcc_hi, exec_lo
	s_delay_alu instid0(VALU_DEP_2) | instskip(NEXT) | instid1(VALU_DEP_1)
	v_add3_u32 v1, v100, v1, 0x7fff
	v_lshrrev_b32_e32 v1, 16, v1
	s_delay_alu instid0(VALU_DEP_1)
	v_cndmask_b32_e32 v1, 0x7fc0, v1, vcc_lo
	flat_store_b16 v[2:3], v1
.LBB25_7150:
	s_wait_xcnt 0x0
	s_or_b32 exec_lo, exec_lo, s31
	s_delay_alu instid0(SALU_CYCLE_1)
	s_and_not1_b32 vcc_lo, s93, exec_lo
	s_and_b32 s31, s35, exec_lo
	s_and_not1_b32 s35, vcc_hi, exec_lo
	s_and_b32 s30, s30, exec_lo
	s_or_b32 s31, vcc_lo, s31
	s_or_b32 s30, s35, s30
                                        ; implicit-def: $vgpr1
                                        ; implicit-def: $vgpr100
                                        ; implicit-def: $vgpr2_vgpr3
.LBB25_7151:
	s_and_not1_saveexec_b32 s34, s34
	s_cbranch_execz .LBB25_7155
; %bb.7152:
	s_mov_b32 s36, -1
	s_mov_b32 s35, s30
	s_mov_b32 s37, exec_lo
	v_cmpx_eq_u16_e32 11, v1
	s_cbranch_execz .LBB25_7154
; %bb.7153:
	v_cmp_neq_f32_e32 vcc_lo, 0, v100
	s_xor_b32 s36, exec_lo, -1
	s_or_b32 s35, s30, exec_lo
	v_cndmask_b32_e64 v1, 0, 1, vcc_lo
	flat_store_b8 v[2:3], v1
.LBB25_7154:
	s_wait_xcnt 0x0
	s_or_b32 exec_lo, exec_lo, s37
	s_delay_alu instid0(SALU_CYCLE_1)
	s_and_not1_b32 vcc_lo, s31, exec_lo
	s_and_b32 s31, s36, exec_lo
	s_and_not1_b32 s30, s30, exec_lo
	s_and_b32 s35, s35, exec_lo
	s_or_b32 s31, vcc_lo, s31
	s_or_b32 s30, s30, s35
.LBB25_7155:
	s_or_b32 exec_lo, exec_lo, s34
	s_delay_alu instid0(SALU_CYCLE_1)
	s_and_not1_b32 vcc_lo, s93, exec_lo
	s_and_b32 s31, s31, exec_lo
	s_and_not1_b32 vcc_hi, vcc_hi, exec_lo
	s_and_b32 s30, s30, exec_lo
	s_or_b32 vcc_lo, vcc_lo, s31
	s_or_b32 vcc_hi, vcc_hi, s30
.LBB25_7156:
	s_or_b32 exec_lo, exec_lo, s95
	s_delay_alu instid0(SALU_CYCLE_1)
	s_and_not1_b32 s93, s93, exec_lo
	s_and_b32 s95, vcc_lo, exec_lo
	s_and_not1_b32 s0, s0, exec_lo
	s_and_b32 vcc_lo, vcc_hi, exec_lo
	s_or_b32 s93, s93, s95
	s_or_b32 s0, s0, vcc_lo
.LBB25_7157:
	s_or_b32 exec_lo, exec_lo, s94
	s_delay_alu instid0(SALU_CYCLE_1)
	s_and_not1_b32 s94, s88, exec_lo
	s_and_b32 s93, s93, exec_lo
	s_and_b32 s0, s0, exec_lo
	s_or_b32 s93, s94, s93
                                        ; implicit-def: $vgpr1
                                        ; implicit-def: $vgpr100
                                        ; implicit-def: $vgpr2_vgpr3
.LBB25_7158:
	s_and_not1_saveexec_b32 s90, s90
	s_cbranch_execz .LBB25_7200
; %bb.7159:
	s_mov_b32 s94, exec_lo
	v_cmpx_lt_i16_e32 4, v1
	s_xor_b32 s94, exec_lo, s94
	s_cbranch_execz .LBB25_7181
; %bb.7160:
	s_mov_b32 s95, exec_lo
	v_cmpx_lt_i16_e32 7, v1
	s_xor_b32 s95, exec_lo, s95
	s_cbranch_execz .LBB25_7170
; %bb.7161:
	s_mov_b32 vcc_hi, exec_lo
	v_cmpx_lt_i16_e32 8, v1
	s_xor_b32 vcc_hi, exec_lo, vcc_hi
	s_cbranch_execz .LBB25_7167
; %bb.7162:
	v_cmp_lt_i16_e32 vcc_lo, 9, v1
	s_and_saveexec_b32 s30, vcc_lo
	s_delay_alu instid0(SALU_CYCLE_1)
	s_xor_b32 vcc_lo, exec_lo, s30
	s_cbranch_execz .LBB25_7164
; %bb.7163:
	v_cvt_f64_f32_e32 v[4:5], v100
	v_mov_b32_e32 v6, 0
                                        ; implicit-def: $vgpr100
	s_delay_alu instid0(VALU_DEP_1)
	v_mov_b32_e32 v7, v6
	flat_store_b128 v[2:3], v[4:7]
                                        ; implicit-def: $vgpr2_vgpr3
.LBB25_7164:
	s_wait_xcnt 0x0
	s_and_not1_saveexec_b32 vcc_lo, vcc_lo
	s_cbranch_execz .LBB25_7166
; %bb.7165:
	v_mov_b32_e32 v101, 0
	flat_store_b64 v[2:3], v[100:101]
.LBB25_7166:
	s_wait_xcnt 0x0
	s_or_b32 exec_lo, exec_lo, vcc_lo
                                        ; implicit-def: $vgpr100
                                        ; implicit-def: $vgpr2_vgpr3
.LBB25_7167:
	s_and_not1_saveexec_b32 vcc_lo, vcc_hi
	s_cbranch_execz .LBB25_7169
; %bb.7168:
	v_cvt_f16_f32_e32 v1, v100
	s_delay_alu instid0(VALU_DEP_1)
	v_and_b32_e32 v1, 0xffff, v1
	flat_store_b32 v[2:3], v1
.LBB25_7169:
	s_wait_xcnt 0x0
	s_or_b32 exec_lo, exec_lo, vcc_lo
                                        ; implicit-def: $vgpr100
                                        ; implicit-def: $vgpr2_vgpr3
                                        ; implicit-def: $vgpr1
.LBB25_7170:
	s_and_not1_saveexec_b32 s95, s95
	s_cbranch_execz .LBB25_7180
; %bb.7171:
	s_mov_b32 vcc_hi, exec_lo
	v_cmpx_lt_i16_e32 5, v1
	s_xor_b32 vcc_hi, exec_lo, vcc_hi
	s_cbranch_execz .LBB25_7177
; %bb.7172:
	v_cmp_lt_i16_e32 vcc_lo, 6, v1
	s_and_saveexec_b32 s30, vcc_lo
	s_delay_alu instid0(SALU_CYCLE_1)
	s_xor_b32 vcc_lo, exec_lo, s30
	s_cbranch_execz .LBB25_7174
; %bb.7173:
	v_cvt_f64_f32_e32 v[4:5], v100
                                        ; implicit-def: $vgpr100
	flat_store_b64 v[2:3], v[4:5]
                                        ; implicit-def: $vgpr2_vgpr3
.LBB25_7174:
	s_wait_xcnt 0x0
	s_and_not1_saveexec_b32 vcc_lo, vcc_lo
	s_cbranch_execz .LBB25_7176
; %bb.7175:
	flat_store_b32 v[2:3], v100
.LBB25_7176:
	s_wait_xcnt 0x0
	s_or_b32 exec_lo, exec_lo, vcc_lo
                                        ; implicit-def: $vgpr100
                                        ; implicit-def: $vgpr2_vgpr3
.LBB25_7177:
	s_and_not1_saveexec_b32 vcc_lo, vcc_hi
	s_cbranch_execz .LBB25_7179
; %bb.7178:
	v_cvt_f16_f32_e32 v1, v100
	flat_store_b16 v[2:3], v1
.LBB25_7179:
	s_wait_xcnt 0x0
	s_or_b32 exec_lo, exec_lo, vcc_lo
.LBB25_7180:
	s_delay_alu instid0(SALU_CYCLE_1)
	s_or_b32 exec_lo, exec_lo, s95
                                        ; implicit-def: $vgpr1
                                        ; implicit-def: $vgpr100
                                        ; implicit-def: $vgpr2_vgpr3
.LBB25_7181:
	s_and_not1_saveexec_b32 s94, s94
	s_cbranch_execz .LBB25_7199
; %bb.7182:
	s_mov_b32 s95, exec_lo
	v_cmpx_lt_i16_e32 1, v1
	s_xor_b32 s95, exec_lo, s95
	s_cbranch_execz .LBB25_7192
; %bb.7183:
	s_mov_b32 vcc_hi, exec_lo
	v_cmpx_lt_i16_e32 2, v1
	s_xor_b32 vcc_hi, exec_lo, vcc_hi
	s_cbranch_execz .LBB25_7189
; %bb.7184:
	v_cmp_lt_i16_e32 vcc_lo, 3, v1
	s_and_saveexec_b32 s30, vcc_lo
	s_delay_alu instid0(SALU_CYCLE_1)
	s_xor_b32 vcc_lo, exec_lo, s30
	s_cbranch_execz .LBB25_7186
; %bb.7185:
	v_trunc_f32_e32 v1, v100
                                        ; implicit-def: $vgpr100
	s_delay_alu instid0(VALU_DEP_1) | instskip(NEXT) | instid1(VALU_DEP_1)
	v_mul_f32_e64 v4, 0x2f800000, |v1|
	v_floor_f32_e32 v5, v4
	v_ashrrev_i32_e32 v4, 31, v1
	s_delay_alu instid0(VALU_DEP_2) | instskip(SKIP_1) | instid1(VALU_DEP_3)
	v_fma_f32 v6, 0xcf800000, v5, |v1|
	v_cvt_u32_f32_e32 v1, v5
	v_mov_b32_e32 v5, v4
	s_delay_alu instid0(VALU_DEP_3) | instskip(NEXT) | instid1(VALU_DEP_3)
	v_cvt_u32_f32_e32 v6, v6
	v_xor_b32_e32 v7, v1, v4
	s_delay_alu instid0(VALU_DEP_2) | instskip(NEXT) | instid1(VALU_DEP_1)
	v_xor_b32_e32 v6, v6, v4
	v_sub_nc_u64_e32 v[4:5], v[6:7], v[4:5]
	flat_store_b64 v[2:3], v[4:5]
                                        ; implicit-def: $vgpr2_vgpr3
.LBB25_7186:
	s_wait_xcnt 0x0
	s_and_not1_saveexec_b32 vcc_lo, vcc_lo
	s_cbranch_execz .LBB25_7188
; %bb.7187:
	v_cvt_i32_f32_e32 v1, v100
	flat_store_b32 v[2:3], v1
.LBB25_7188:
	s_wait_xcnt 0x0
	s_or_b32 exec_lo, exec_lo, vcc_lo
                                        ; implicit-def: $vgpr100
                                        ; implicit-def: $vgpr2_vgpr3
.LBB25_7189:
	s_and_not1_saveexec_b32 vcc_lo, vcc_hi
	s_cbranch_execz .LBB25_7191
; %bb.7190:
	v_cvt_i32_f32_e32 v1, v100
	flat_store_b16 v[2:3], v1
.LBB25_7191:
	s_wait_xcnt 0x0
	s_or_b32 exec_lo, exec_lo, vcc_lo
                                        ; implicit-def: $vgpr100
                                        ; implicit-def: $vgpr2_vgpr3
                                        ; implicit-def: $vgpr1
.LBB25_7192:
	s_and_not1_saveexec_b32 s95, s95
	s_cbranch_execz .LBB25_7198
; %bb.7193:
	v_cmp_lt_i16_e32 vcc_lo, 0, v1
	s_and_saveexec_b32 vcc_hi, vcc_lo
	s_delay_alu instid0(SALU_CYCLE_1)
	s_xor_b32 vcc_lo, exec_lo, vcc_hi
	s_cbranch_execz .LBB25_7195
; %bb.7194:
	v_cvt_i32_f32_e32 v1, v100
                                        ; implicit-def: $vgpr100
	flat_store_b8 v[2:3], v1
                                        ; implicit-def: $vgpr2_vgpr3
.LBB25_7195:
	s_wait_xcnt 0x0
	s_and_not1_saveexec_b32 vcc_lo, vcc_lo
	s_cbranch_execz .LBB25_7197
; %bb.7196:
	v_trunc_f32_e32 v1, v100
	s_delay_alu instid0(VALU_DEP_1) | instskip(NEXT) | instid1(VALU_DEP_1)
	v_mul_f32_e64 v4, 0x2f800000, |v1|
	v_floor_f32_e32 v4, v4
	s_delay_alu instid0(VALU_DEP_1) | instskip(SKIP_1) | instid1(VALU_DEP_2)
	v_fma_f32 v4, 0xcf800000, v4, |v1|
	v_ashrrev_i32_e32 v1, 31, v1
	v_cvt_u32_f32_e32 v4, v4
	s_delay_alu instid0(VALU_DEP_1) | instskip(NEXT) | instid1(VALU_DEP_1)
	v_xor_b32_e32 v4, v4, v1
	v_sub_nc_u32_e32 v1, v4, v1
	flat_store_b8 v[2:3], v1
.LBB25_7197:
	s_wait_xcnt 0x0
	s_or_b32 exec_lo, exec_lo, vcc_lo
.LBB25_7198:
	s_delay_alu instid0(SALU_CYCLE_1)
	s_or_b32 exec_lo, exec_lo, s95
.LBB25_7199:
	s_delay_alu instid0(SALU_CYCLE_1) | instskip(NEXT) | instid1(SALU_CYCLE_1)
	s_or_b32 exec_lo, exec_lo, s94
	s_or_b32 s0, s0, exec_lo
.LBB25_7200:
	s_or_b32 exec_lo, exec_lo, s90
	s_mov_b32 s94, 0
	s_mov_b32 s90, 0
	s_and_saveexec_b32 s95, s0
; %bb.7201:
	v_add_nc_u32_e32 v209, 0x200, v209
	s_mov_b32 s94, exec_lo
	s_delay_alu instid0(VALU_DEP_1)
	v_cmp_lt_i32_e32 vcc_lo, v209, v211
	s_and_b32 s90, vcc_lo, exec_lo
; %bb.7202:
	s_or_b32 exec_lo, exec_lo, s95
	s_delay_alu instid0(SALU_CYCLE_1)
	s_and_not1_b32 s0, s88, exec_lo
	s_and_b32 s93, s93, exec_lo
	s_and_b32 s95, s90, exec_lo
	s_or_b32 s90, s0, s93
	s_or_not1_b32 s94, s94, exec_lo
.LBB25_7203:
	s_or_b32 exec_lo, exec_lo, s91
	s_mov_b32 s0, 0
	s_mov_b32 s93, 0
                                        ; implicit-def: $vgpr4
                                        ; implicit-def: $vgpr2_vgpr3
	s_and_saveexec_b32 s91, s94
	s_cbranch_execz .LBB25_7805
; %bb.7204:
	s_mov_b32 vcc_hi, -1
	s_mov_b32 s94, 0
	s_mov_b32 s92, s90
	s_and_saveexec_b32 s93, s95
	s_cbranch_execz .LBB25_7332
; %bb.7205:
	v_dual_add_nc_u32 v1, s60, v209 :: v_dual_mov_b32 v3, 0
	s_mov_b32 s95, s90
	s_mov_b32 s92, exec_lo
	s_delay_alu instid0(VALU_DEP_1) | instskip(SKIP_1) | instid1(VALU_DEP_2)
	v_mul_lo_u32 v2, v1, v210
	v_and_b32_e32 v1, 0xff, v85
	v_add_nc_u64_e32 v[2:3], v[212:213], v[2:3]
	s_delay_alu instid0(VALU_DEP_2)
	v_cmpx_lt_i16_e32 10, v1
	s_xor_b32 s92, exec_lo, s92
	s_cbranch_execz .LBB25_7287
; %bb.7206:
	s_mov_b32 s95, s90
	s_mov_b32 vcc_hi, exec_lo
	v_cmpx_lt_i16_e32 25, v1
	s_xor_b32 vcc_hi, exec_lo, vcc_hi
	s_cbranch_execz .LBB25_7242
; %bb.7207:
	s_mov_b32 s30, s90
	s_mov_b32 s95, exec_lo
	v_cmpx_lt_i16_e32 28, v1
	s_xor_b32 s95, exec_lo, s95
	s_cbranch_execz .LBB25_7225
; %bb.7208:
	s_mov_b32 s34, s90
	s_mov_b32 s30, exec_lo
	v_cmpx_lt_i16_e32 43, v1
	s_xor_b32 s30, exec_lo, s30
	s_cbranch_execz .LBB25_7220
; %bb.7209:
	s_mov_b32 s31, 0
	s_mov_b32 s34, s90
	s_mov_b32 s0, exec_lo
	v_cmpx_lt_i16_e32 45, v1
	s_xor_b32 s0, exec_lo, s0
	s_cbranch_execz .LBB25_7213
; %bb.7210:
	s_mov_b32 s35, -1
	s_mov_b32 s34, exec_lo
	v_cmpx_eq_u16_e32 46, v1
	s_cbranch_execz .LBB25_7212
; %bb.7211:
	v_bfe_u32 v1, v98, 16, 1
	v_cmp_o_f32_e32 vcc_lo, v98, v98
	s_mov_b32 s31, exec_lo
	s_xor_b32 s35, exec_lo, -1
	s_delay_alu instid0(VALU_DEP_2) | instskip(NEXT) | instid1(VALU_DEP_1)
	v_add3_u32 v1, v98, v1, 0x7fff
	v_lshrrev_b32_e32 v1, 16, v1
	s_delay_alu instid0(VALU_DEP_1)
	v_cndmask_b32_e32 v1, 0x7fc0, v1, vcc_lo
	flat_store_b32 v[2:3], v1
.LBB25_7212:
	s_wait_xcnt 0x0
	s_or_b32 exec_lo, exec_lo, s34
	s_delay_alu instid0(SALU_CYCLE_1)
	s_and_not1_b32 vcc_lo, s90, exec_lo
	s_and_b32 s34, s35, exec_lo
	s_and_b32 s31, s31, exec_lo
	s_or_b32 s34, vcc_lo, s34
                                        ; implicit-def: $vgpr1
                                        ; implicit-def: $vgpr2_vgpr3
                                        ; implicit-def: $vgpr98
.LBB25_7213:
	s_and_not1_saveexec_b32 s35, s0
	s_cbranch_execz .LBB25_7219
; %bb.7214:
	s_mov_b32 s37, -1
	s_mov_b32 s0, s31
	s_mov_b32 s36, exec_lo
	v_cmpx_eq_u16_e32 44, v1
	s_cbranch_execz .LBB25_7218
; %bb.7215:
	v_bfe_u32 v4, v98, 23, 8
	v_mov_b32_e32 v1, 0xff
	s_mov_b32 s37, exec_lo
	s_delay_alu instid0(VALU_DEP_2)
	v_cmpx_ne_u32_e32 0xff, v4
	s_cbranch_execz .LBB25_7217
; %bb.7216:
	v_and_b32_e32 v1, 0x400000, v98
	v_and_or_b32 v4, 0x3fffff, v98, v4
	s_delay_alu instid0(VALU_DEP_2) | instskip(NEXT) | instid1(VALU_DEP_2)
	v_cmp_ne_u32_e32 vcc_lo, 0, v1
	v_cmp_ne_u32_e64 s0, 0, v4
	v_lshrrev_b32_e32 v1, 23, v98
	s_and_b32 s0, vcc_lo, s0
	s_delay_alu instid0(SALU_CYCLE_1) | instskip(NEXT) | instid1(VALU_DEP_1)
	v_cndmask_b32_e64 v4, 0, 1, s0
	v_add_nc_u32_e32 v1, v1, v4
.LBB25_7217:
	s_or_b32 exec_lo, exec_lo, s37
	s_delay_alu instid0(SALU_CYCLE_1)
	s_xor_b32 s37, exec_lo, -1
	s_or_b32 s0, s31, exec_lo
	flat_store_b8 v[2:3], v1
.LBB25_7218:
	s_wait_xcnt 0x0
	s_or_b32 exec_lo, exec_lo, s36
	s_delay_alu instid0(SALU_CYCLE_1)
	s_and_not1_b32 vcc_lo, s34, exec_lo
	s_and_b32 s34, s37, exec_lo
	s_and_not1_b32 s31, s31, exec_lo
	s_and_b32 s0, s0, exec_lo
	s_or_b32 s34, vcc_lo, s34
	s_or_b32 s31, s31, s0
.LBB25_7219:
	s_or_b32 exec_lo, exec_lo, s35
	s_delay_alu instid0(SALU_CYCLE_1) | instskip(SKIP_1) | instid1(SALU_CYCLE_1)
	s_and_not1_b32 s0, s90, exec_lo
	s_and_b32 vcc_lo, s34, exec_lo
                                        ; implicit-def: $vgpr1
                                        ; implicit-def: $vgpr98
                                        ; implicit-def: $vgpr2_vgpr3
	s_or_b32 s34, s0, vcc_lo
	s_and_b32 s0, s31, exec_lo
.LBB25_7220:
	s_and_not1_saveexec_b32 s30, s30
	s_cbranch_execz .LBB25_7224
; %bb.7221:
	s_mov_b32 s36, -1
	s_mov_b32 s35, s0
	s_mov_b32 s31, exec_lo
	v_cmpx_eq_u16_e32 29, v1
	s_cbranch_execz .LBB25_7223
; %bb.7222:
	v_trunc_f32_e32 v1, v98
	s_xor_b32 s36, exec_lo, -1
	s_or_b32 s35, s0, exec_lo
	s_delay_alu instid0(VALU_DEP_1) | instskip(NEXT) | instid1(VALU_DEP_1)
	v_mul_f32_e32 v4, 0x2f800000, v1
	v_floor_f32_e32 v4, v4
	s_delay_alu instid0(VALU_DEP_1) | instskip(SKIP_1) | instid1(VALU_DEP_2)
	v_fmamk_f32 v1, v4, 0xcf800000, v1
	v_cvt_u32_f32_e32 v5, v4
	v_cvt_u32_f32_e32 v4, v1
	flat_store_b64 v[2:3], v[4:5]
.LBB25_7223:
	s_wait_xcnt 0x0
	s_or_b32 exec_lo, exec_lo, s31
	s_delay_alu instid0(SALU_CYCLE_1)
	s_and_not1_b32 vcc_lo, s34, exec_lo
	s_and_b32 s31, s36, exec_lo
	s_and_not1_b32 s0, s0, exec_lo
	s_and_b32 s35, s35, exec_lo
	s_or_b32 s34, vcc_lo, s31
	s_or_b32 s0, s0, s35
.LBB25_7224:
	s_or_b32 exec_lo, exec_lo, s30
	s_delay_alu instid0(SALU_CYCLE_1)
	s_and_not1_b32 vcc_lo, s90, exec_lo
	s_and_b32 s30, s34, exec_lo
	s_and_b32 s0, s0, exec_lo
	s_or_b32 s30, vcc_lo, s30
                                        ; implicit-def: $vgpr2_vgpr3
                                        ; implicit-def: $vgpr1
                                        ; implicit-def: $vgpr98
.LBB25_7225:
	s_and_not1_saveexec_b32 s95, s95
	s_cbranch_execz .LBB25_7241
; %bb.7226:
	s_mov_b32 s31, exec_lo
	v_cmpx_lt_i16_e32 26, v1
	s_xor_b32 s31, exec_lo, s31
	s_cbranch_execz .LBB25_7232
; %bb.7227:
	v_cmp_lt_i16_e32 vcc_lo, 27, v1
	v_cvt_u32_f32_e32 v1, v98
	s_and_saveexec_b32 s34, vcc_lo
	s_delay_alu instid0(SALU_CYCLE_1)
	s_xor_b32 vcc_lo, exec_lo, s34
	s_cbranch_execz .LBB25_7229
; %bb.7228:
	flat_store_b32 v[2:3], v1
                                        ; implicit-def: $vgpr2_vgpr3
                                        ; implicit-def: $vgpr1
.LBB25_7229:
	s_wait_xcnt 0x0
	s_and_not1_saveexec_b32 vcc_lo, vcc_lo
	s_cbranch_execz .LBB25_7231
; %bb.7230:
	flat_store_b16 v[2:3], v1
.LBB25_7231:
	s_wait_xcnt 0x0
	s_or_b32 exec_lo, exec_lo, vcc_lo
                                        ; implicit-def: $vgpr2_vgpr3
                                        ; implicit-def: $vgpr98
.LBB25_7232:
	s_and_not1_saveexec_b32 s31, s31
	s_cbranch_execz .LBB25_7240
; %bb.7233:
	v_and_b32_e32 v1, 0x7fffffff, v98
	v_mov_b32_e32 v4, 0x80
	s_mov_b32 s34, exec_lo
	s_delay_alu instid0(VALU_DEP_2)
	v_cmpx_gt_u32_e32 0x43800000, v1
	s_cbranch_execz .LBB25_7239
; %bb.7234:
	v_cmp_lt_u32_e32 vcc_lo, 0x3bffffff, v1
	s_mov_b32 s35, 0
                                        ; implicit-def: $vgpr1
	s_and_saveexec_b32 s36, vcc_lo
	s_delay_alu instid0(SALU_CYCLE_1)
	s_xor_b32 vcc_lo, exec_lo, s36
	s_cbranch_execnz .LBB25_7987
; %bb.7235:
	s_and_not1_saveexec_b32 s36, vcc_lo
	s_cbranch_execnz .LBB25_7988
.LBB25_7236:
	s_or_b32 exec_lo, exec_lo, s36
	v_mov_b32_e32 v4, 0
	s_and_saveexec_b32 vcc_lo, s35
.LBB25_7237:
	v_lshrrev_b32_e32 v4, 24, v98
	s_delay_alu instid0(VALU_DEP_1)
	v_and_or_b32 v4, 0x80, v4, v1
.LBB25_7238:
	s_or_b32 exec_lo, exec_lo, vcc_lo
.LBB25_7239:
	s_delay_alu instid0(SALU_CYCLE_1)
	s_or_b32 exec_lo, exec_lo, s34
	flat_store_b8 v[2:3], v4
.LBB25_7240:
	s_wait_xcnt 0x0
	s_or_b32 exec_lo, exec_lo, s31
	s_delay_alu instid0(SALU_CYCLE_1)
	s_or_b32 s0, s0, exec_lo
.LBB25_7241:
	s_or_b32 exec_lo, exec_lo, s95
	s_delay_alu instid0(SALU_CYCLE_1)
	s_and_not1_b32 s95, s90, exec_lo
	s_and_b32 vcc_lo, s30, exec_lo
	s_and_b32 s0, s0, exec_lo
	s_or_b32 s95, s95, vcc_lo
                                        ; implicit-def: $vgpr1
                                        ; implicit-def: $vgpr98
                                        ; implicit-def: $vgpr2_vgpr3
.LBB25_7242:
	s_and_not1_saveexec_b32 vcc_hi, vcc_hi
	s_cbranch_execz .LBB25_7286
; %bb.7243:
	s_mov_b32 s31, s0
	s_mov_b32 s30, exec_lo
	v_cmpx_lt_i16_e32 22, v1
	s_xor_b32 s30, exec_lo, s30
	s_cbranch_execz .LBB25_7275
; %bb.7244:
	s_mov_b32 s31, exec_lo
	v_cmpx_lt_i16_e32 23, v1
	s_xor_b32 s31, exec_lo, s31
	s_cbranch_execz .LBB25_7264
; %bb.7245:
	;; [unrolled: 5-line block ×3, first 2 shown]
	v_and_b32_e32 v1, 0x7fffffff, v98
	v_mov_b32_e32 v4, 0x80
	s_mov_b32 s35, exec_lo
	s_delay_alu instid0(VALU_DEP_2)
	v_cmpx_gt_u32_e32 0x47800000, v1
	s_cbranch_execz .LBB25_7252
; %bb.7247:
	v_cmp_lt_u32_e32 vcc_lo, 0x37ffffff, v1
	s_mov_b32 s36, 0
                                        ; implicit-def: $vgpr1
	s_and_saveexec_b32 s37, vcc_lo
	s_delay_alu instid0(SALU_CYCLE_1)
	s_xor_b32 vcc_lo, exec_lo, s37
	s_cbranch_execnz .LBB25_7989
; %bb.7248:
	s_and_not1_saveexec_b32 s37, vcc_lo
	s_cbranch_execnz .LBB25_7990
.LBB25_7249:
	s_or_b32 exec_lo, exec_lo, s37
	v_mov_b32_e32 v4, 0
	s_and_saveexec_b32 vcc_lo, s36
.LBB25_7250:
	v_lshrrev_b32_e32 v4, 24, v98
	s_delay_alu instid0(VALU_DEP_1)
	v_and_or_b32 v4, 0x80, v4, v1
.LBB25_7251:
	s_or_b32 exec_lo, exec_lo, vcc_lo
.LBB25_7252:
	s_delay_alu instid0(SALU_CYCLE_1)
	s_or_b32 exec_lo, exec_lo, s35
	flat_store_b8 v[2:3], v4
                                        ; implicit-def: $vgpr98
                                        ; implicit-def: $vgpr2_vgpr3
.LBB25_7253:
	s_wait_xcnt 0x0
	s_and_not1_saveexec_b32 s34, s34
	s_cbranch_execz .LBB25_7263
; %bb.7254:
	v_and_b32_e32 v4, 0x7fffffff, v98
	s_mov_b32 s35, exec_lo
                                        ; implicit-def: $vgpr1
	s_delay_alu instid0(VALU_DEP_1)
	v_cmpx_gt_u32_e32 0x43f00000, v4
	s_xor_b32 s35, exec_lo, s35
	s_cbranch_execz .LBB25_7260
; %bb.7255:
	s_mov_b32 s36, exec_lo
                                        ; implicit-def: $vgpr1
	v_cmpx_lt_u32_e32 0x3c7fffff, v4
	s_xor_b32 s36, exec_lo, s36
; %bb.7256:
	v_bfe_u32 v1, v98, 20, 1
	s_delay_alu instid0(VALU_DEP_1) | instskip(NEXT) | instid1(VALU_DEP_1)
	v_add3_u32 v1, v98, v1, 0x407ffff
	v_and_b32_e32 v4, 0xff00000, v1
	v_lshrrev_b32_e32 v1, 20, v1
	s_delay_alu instid0(VALU_DEP_2) | instskip(NEXT) | instid1(VALU_DEP_2)
	v_cmp_ne_u32_e32 vcc_lo, 0x7f00000, v4
	v_cndmask_b32_e32 v1, 0x7e, v1, vcc_lo
; %bb.7257:
	s_and_not1_saveexec_b32 vcc_lo, s36
; %bb.7258:
	v_add_f32_e64 v1, 0x46800000, |v98|
; %bb.7259:
	s_or_b32 exec_lo, exec_lo, vcc_lo
                                        ; implicit-def: $vgpr4
.LBB25_7260:
	s_and_not1_saveexec_b32 s35, s35
; %bb.7261:
	v_mov_b32_e32 v1, 0x7f
	v_cmp_lt_u32_e32 vcc_lo, 0x7f800000, v4
	s_delay_alu instid0(VALU_DEP_2)
	v_cndmask_b32_e32 v1, 0x7e, v1, vcc_lo
; %bb.7262:
	s_or_b32 exec_lo, exec_lo, s35
	v_lshrrev_b32_e32 v4, 24, v98
	s_delay_alu instid0(VALU_DEP_1)
	v_and_or_b32 v1, 0x80, v4, v1
	flat_store_b8 v[2:3], v1
.LBB25_7263:
	s_wait_xcnt 0x0
	s_or_b32 exec_lo, exec_lo, s34
                                        ; implicit-def: $vgpr98
                                        ; implicit-def: $vgpr2_vgpr3
.LBB25_7264:
	s_and_not1_saveexec_b32 s31, s31
	s_cbranch_execz .LBB25_7274
; %bb.7265:
	v_and_b32_e32 v4, 0x7fffffff, v98
	s_mov_b32 s34, exec_lo
                                        ; implicit-def: $vgpr1
	s_delay_alu instid0(VALU_DEP_1)
	v_cmpx_gt_u32_e32 0x47800000, v4
	s_xor_b32 s34, exec_lo, s34
	s_cbranch_execz .LBB25_7271
; %bb.7266:
	v_cmp_lt_u32_e32 vcc_lo, 0x387fffff, v4
                                        ; implicit-def: $vgpr1
	s_and_saveexec_b32 s35, vcc_lo
	s_delay_alu instid0(SALU_CYCLE_1)
	s_xor_b32 vcc_lo, exec_lo, s35
; %bb.7267:
	v_bfe_u32 v1, v98, 21, 1
	s_delay_alu instid0(VALU_DEP_1) | instskip(NEXT) | instid1(VALU_DEP_1)
	v_add3_u32 v1, v98, v1, 0x80fffff
	v_lshrrev_b32_e32 v1, 21, v1
; %bb.7268:
	s_and_not1_saveexec_b32 vcc_lo, vcc_lo
; %bb.7269:
	v_add_f32_e64 v1, 0x43000000, |v98|
; %bb.7270:
	s_or_b32 exec_lo, exec_lo, vcc_lo
                                        ; implicit-def: $vgpr4
.LBB25_7271:
	s_and_not1_saveexec_b32 s34, s34
; %bb.7272:
	v_mov_b32_e32 v1, 0x7f
	v_cmp_lt_u32_e32 vcc_lo, 0x7f800000, v4
	s_delay_alu instid0(VALU_DEP_2)
	v_cndmask_b32_e32 v1, 0x7c, v1, vcc_lo
; %bb.7273:
	s_or_b32 exec_lo, exec_lo, s34
	v_lshrrev_b32_e32 v4, 24, v98
	s_delay_alu instid0(VALU_DEP_1)
	v_and_or_b32 v1, 0x80, v4, v1
	flat_store_b8 v[2:3], v1
.LBB25_7274:
	s_wait_xcnt 0x0
	s_or_b32 exec_lo, exec_lo, s31
	s_delay_alu instid0(SALU_CYCLE_1)
	s_or_b32 s31, s0, exec_lo
                                        ; implicit-def: $vgpr1
                                        ; implicit-def: $vgpr98
                                        ; implicit-def: $vgpr2_vgpr3
.LBB25_7275:
	s_or_saveexec_b32 s30, s30
	s_mov_b32 vcc_lo, s95
	s_xor_b32 exec_lo, exec_lo, s30
	s_cbranch_execz .LBB25_7285
; %bb.7276:
	s_mov_b32 s34, s31
	s_mov_b32 s35, s95
	s_mov_b32 s36, exec_lo
	v_cmpx_lt_i16_e32 14, v1
	s_xor_b32 s36, exec_lo, s36
	s_cbranch_execz .LBB25_7280
; %bb.7277:
	s_mov_b32 s37, -1
	s_mov_b32 s34, s31
	s_mov_b32 s35, exec_lo
	v_cmpx_eq_u16_e32 15, v1
	s_cbranch_execz .LBB25_7279
; %bb.7278:
	v_bfe_u32 v1, v98, 16, 1
	v_cmp_o_f32_e32 vcc_lo, v98, v98
	s_xor_b32 s37, exec_lo, -1
	s_or_b32 s34, s31, exec_lo
	s_delay_alu instid0(VALU_DEP_2) | instskip(NEXT) | instid1(VALU_DEP_1)
	v_add3_u32 v1, v98, v1, 0x7fff
	v_lshrrev_b32_e32 v1, 16, v1
	s_delay_alu instid0(VALU_DEP_1)
	v_cndmask_b32_e32 v1, 0x7fc0, v1, vcc_lo
	flat_store_b16 v[2:3], v1
.LBB25_7279:
	s_wait_xcnt 0x0
	s_or_b32 exec_lo, exec_lo, s35
	s_delay_alu instid0(SALU_CYCLE_1)
	s_and_not1_b32 vcc_lo, s95, exec_lo
	s_and_b32 s35, s37, exec_lo
	s_and_not1_b32 s37, s31, exec_lo
	s_and_b32 s34, s34, exec_lo
	s_or_b32 s35, vcc_lo, s35
	s_or_b32 s34, s37, s34
                                        ; implicit-def: $vgpr1
                                        ; implicit-def: $vgpr98
                                        ; implicit-def: $vgpr2_vgpr3
.LBB25_7280:
	s_and_not1_saveexec_b32 s36, s36
	s_cbranch_execz .LBB25_7284
; %bb.7281:
	s_mov_b32 s38, -1
	s_mov_b32 s37, s34
	s_mov_b32 s39, exec_lo
	v_cmpx_eq_u16_e32 11, v1
	s_cbranch_execz .LBB25_7283
; %bb.7282:
	v_cmp_neq_f32_e32 vcc_lo, 0, v98
	s_xor_b32 s38, exec_lo, -1
	s_or_b32 s37, s34, exec_lo
	v_cndmask_b32_e64 v1, 0, 1, vcc_lo
	flat_store_b8 v[2:3], v1
.LBB25_7283:
	s_wait_xcnt 0x0
	s_or_b32 exec_lo, exec_lo, s39
	s_delay_alu instid0(SALU_CYCLE_1)
	s_and_not1_b32 vcc_lo, s35, exec_lo
	s_and_b32 s35, s38, exec_lo
	s_and_not1_b32 s34, s34, exec_lo
	s_and_b32 s37, s37, exec_lo
	s_or_b32 s35, vcc_lo, s35
	s_or_b32 s34, s34, s37
.LBB25_7284:
	s_or_b32 exec_lo, exec_lo, s36
	s_delay_alu instid0(SALU_CYCLE_1)
	s_and_not1_b32 vcc_lo, s95, exec_lo
	s_and_b32 s35, s35, exec_lo
	s_and_not1_b32 s31, s31, exec_lo
	s_and_b32 s34, s34, exec_lo
	s_or_b32 vcc_lo, vcc_lo, s35
	s_or_b32 s31, s31, s34
.LBB25_7285:
	s_or_b32 exec_lo, exec_lo, s30
	s_delay_alu instid0(SALU_CYCLE_1)
	s_and_not1_b32 s95, s95, exec_lo
	s_and_b32 vcc_lo, vcc_lo, exec_lo
	s_and_not1_b32 s0, s0, exec_lo
	s_and_b32 s30, s31, exec_lo
	s_or_b32 s95, s95, vcc_lo
	s_or_b32 s0, s0, s30
.LBB25_7286:
	s_or_b32 exec_lo, exec_lo, vcc_hi
	s_delay_alu instid0(SALU_CYCLE_1)
	s_and_not1_b32 vcc_lo, s90, exec_lo
	s_and_b32 s95, s95, exec_lo
	s_and_b32 s0, s0, exec_lo
	s_or_b32 s95, vcc_lo, s95
                                        ; implicit-def: $vgpr1
                                        ; implicit-def: $vgpr98
                                        ; implicit-def: $vgpr2_vgpr3
.LBB25_7287:
	s_and_not1_saveexec_b32 s92, s92
	s_cbranch_execz .LBB25_7329
; %bb.7288:
	s_mov_b32 vcc_hi, exec_lo
	v_cmpx_lt_i16_e32 4, v1
	s_xor_b32 vcc_hi, exec_lo, vcc_hi
	s_cbranch_execz .LBB25_7310
; %bb.7289:
	s_mov_b32 s30, exec_lo
	v_cmpx_lt_i16_e32 7, v1
	s_xor_b32 s30, exec_lo, s30
	s_cbranch_execz .LBB25_7299
; %bb.7290:
	s_mov_b32 s31, exec_lo
	v_cmpx_lt_i16_e32 8, v1
	s_xor_b32 s31, exec_lo, s31
	s_cbranch_execz .LBB25_7296
; %bb.7291:
	v_cmp_lt_i16_e32 vcc_lo, 9, v1
	s_and_saveexec_b32 s34, vcc_lo
	s_delay_alu instid0(SALU_CYCLE_1)
	s_xor_b32 vcc_lo, exec_lo, s34
	s_cbranch_execz .LBB25_7293
; %bb.7292:
	v_cvt_f64_f32_e32 v[4:5], v98
	v_mov_b32_e32 v6, 0
                                        ; implicit-def: $vgpr98
	s_delay_alu instid0(VALU_DEP_1)
	v_mov_b32_e32 v7, v6
	flat_store_b128 v[2:3], v[4:7]
                                        ; implicit-def: $vgpr2_vgpr3
.LBB25_7293:
	s_wait_xcnt 0x0
	s_and_not1_saveexec_b32 vcc_lo, vcc_lo
	s_cbranch_execz .LBB25_7295
; %bb.7294:
	v_mov_b32_e32 v99, 0
	flat_store_b64 v[2:3], v[98:99]
.LBB25_7295:
	s_wait_xcnt 0x0
	s_or_b32 exec_lo, exec_lo, vcc_lo
                                        ; implicit-def: $vgpr98
                                        ; implicit-def: $vgpr2_vgpr3
.LBB25_7296:
	s_and_not1_saveexec_b32 vcc_lo, s31
	s_cbranch_execz .LBB25_7298
; %bb.7297:
	v_cvt_f16_f32_e32 v1, v98
	s_delay_alu instid0(VALU_DEP_1)
	v_and_b32_e32 v1, 0xffff, v1
	flat_store_b32 v[2:3], v1
.LBB25_7298:
	s_wait_xcnt 0x0
	s_or_b32 exec_lo, exec_lo, vcc_lo
                                        ; implicit-def: $vgpr98
                                        ; implicit-def: $vgpr2_vgpr3
                                        ; implicit-def: $vgpr1
.LBB25_7299:
	s_and_not1_saveexec_b32 s30, s30
	s_cbranch_execz .LBB25_7309
; %bb.7300:
	s_mov_b32 s31, exec_lo
	v_cmpx_lt_i16_e32 5, v1
	s_xor_b32 s31, exec_lo, s31
	s_cbranch_execz .LBB25_7306
; %bb.7301:
	v_cmp_lt_i16_e32 vcc_lo, 6, v1
	s_and_saveexec_b32 s34, vcc_lo
	s_delay_alu instid0(SALU_CYCLE_1)
	s_xor_b32 vcc_lo, exec_lo, s34
	s_cbranch_execz .LBB25_7303
; %bb.7302:
	v_cvt_f64_f32_e32 v[4:5], v98
                                        ; implicit-def: $vgpr98
	flat_store_b64 v[2:3], v[4:5]
                                        ; implicit-def: $vgpr2_vgpr3
.LBB25_7303:
	s_wait_xcnt 0x0
	s_and_not1_saveexec_b32 vcc_lo, vcc_lo
	s_cbranch_execz .LBB25_7305
; %bb.7304:
	flat_store_b32 v[2:3], v98
.LBB25_7305:
	s_wait_xcnt 0x0
	s_or_b32 exec_lo, exec_lo, vcc_lo
                                        ; implicit-def: $vgpr98
                                        ; implicit-def: $vgpr2_vgpr3
.LBB25_7306:
	s_and_not1_saveexec_b32 vcc_lo, s31
	s_cbranch_execz .LBB25_7308
; %bb.7307:
	v_cvt_f16_f32_e32 v1, v98
	flat_store_b16 v[2:3], v1
.LBB25_7308:
	s_wait_xcnt 0x0
	s_or_b32 exec_lo, exec_lo, vcc_lo
.LBB25_7309:
	s_delay_alu instid0(SALU_CYCLE_1)
	s_or_b32 exec_lo, exec_lo, s30
                                        ; implicit-def: $vgpr1
                                        ; implicit-def: $vgpr98
                                        ; implicit-def: $vgpr2_vgpr3
.LBB25_7310:
	s_and_not1_saveexec_b32 vcc_hi, vcc_hi
	s_cbranch_execz .LBB25_7328
; %bb.7311:
	s_mov_b32 s30, exec_lo
	v_cmpx_lt_i16_e32 1, v1
	s_xor_b32 s30, exec_lo, s30
	s_cbranch_execz .LBB25_7321
; %bb.7312:
	s_mov_b32 s31, exec_lo
	v_cmpx_lt_i16_e32 2, v1
	s_xor_b32 s31, exec_lo, s31
	s_cbranch_execz .LBB25_7318
; %bb.7313:
	v_cmp_lt_i16_e32 vcc_lo, 3, v1
	s_and_saveexec_b32 s34, vcc_lo
	s_delay_alu instid0(SALU_CYCLE_1)
	s_xor_b32 vcc_lo, exec_lo, s34
	s_cbranch_execz .LBB25_7315
; %bb.7314:
	v_trunc_f32_e32 v1, v98
                                        ; implicit-def: $vgpr98
	s_delay_alu instid0(VALU_DEP_1) | instskip(NEXT) | instid1(VALU_DEP_1)
	v_mul_f32_e64 v4, 0x2f800000, |v1|
	v_floor_f32_e32 v5, v4
	v_ashrrev_i32_e32 v4, 31, v1
	s_delay_alu instid0(VALU_DEP_2) | instskip(SKIP_1) | instid1(VALU_DEP_3)
	v_fma_f32 v6, 0xcf800000, v5, |v1|
	v_cvt_u32_f32_e32 v1, v5
	v_mov_b32_e32 v5, v4
	s_delay_alu instid0(VALU_DEP_3) | instskip(NEXT) | instid1(VALU_DEP_3)
	v_cvt_u32_f32_e32 v6, v6
	v_xor_b32_e32 v7, v1, v4
	s_delay_alu instid0(VALU_DEP_2) | instskip(NEXT) | instid1(VALU_DEP_1)
	v_xor_b32_e32 v6, v6, v4
	v_sub_nc_u64_e32 v[4:5], v[6:7], v[4:5]
	flat_store_b64 v[2:3], v[4:5]
                                        ; implicit-def: $vgpr2_vgpr3
.LBB25_7315:
	s_wait_xcnt 0x0
	s_and_not1_saveexec_b32 vcc_lo, vcc_lo
	s_cbranch_execz .LBB25_7317
; %bb.7316:
	v_cvt_i32_f32_e32 v1, v98
	flat_store_b32 v[2:3], v1
.LBB25_7317:
	s_wait_xcnt 0x0
	s_or_b32 exec_lo, exec_lo, vcc_lo
                                        ; implicit-def: $vgpr98
                                        ; implicit-def: $vgpr2_vgpr3
.LBB25_7318:
	s_and_not1_saveexec_b32 vcc_lo, s31
	s_cbranch_execz .LBB25_7320
; %bb.7319:
	v_cvt_i32_f32_e32 v1, v98
	flat_store_b16 v[2:3], v1
.LBB25_7320:
	s_wait_xcnt 0x0
	s_or_b32 exec_lo, exec_lo, vcc_lo
                                        ; implicit-def: $vgpr98
                                        ; implicit-def: $vgpr2_vgpr3
                                        ; implicit-def: $vgpr1
.LBB25_7321:
	s_and_not1_saveexec_b32 s30, s30
	s_cbranch_execz .LBB25_7327
; %bb.7322:
	v_cmp_lt_i16_e32 vcc_lo, 0, v1
	s_and_saveexec_b32 s31, vcc_lo
	s_delay_alu instid0(SALU_CYCLE_1)
	s_xor_b32 vcc_lo, exec_lo, s31
	s_cbranch_execz .LBB25_7324
; %bb.7323:
	v_cvt_i32_f32_e32 v1, v98
                                        ; implicit-def: $vgpr98
	flat_store_b8 v[2:3], v1
                                        ; implicit-def: $vgpr2_vgpr3
.LBB25_7324:
	s_wait_xcnt 0x0
	s_and_not1_saveexec_b32 vcc_lo, vcc_lo
	s_cbranch_execz .LBB25_7326
; %bb.7325:
	v_trunc_f32_e32 v1, v98
	s_delay_alu instid0(VALU_DEP_1) | instskip(NEXT) | instid1(VALU_DEP_1)
	v_mul_f32_e64 v4, 0x2f800000, |v1|
	v_floor_f32_e32 v4, v4
	s_delay_alu instid0(VALU_DEP_1) | instskip(SKIP_1) | instid1(VALU_DEP_2)
	v_fma_f32 v4, 0xcf800000, v4, |v1|
	v_ashrrev_i32_e32 v1, 31, v1
	v_cvt_u32_f32_e32 v4, v4
	s_delay_alu instid0(VALU_DEP_1) | instskip(NEXT) | instid1(VALU_DEP_1)
	v_xor_b32_e32 v4, v4, v1
	v_sub_nc_u32_e32 v1, v4, v1
	flat_store_b8 v[2:3], v1
.LBB25_7326:
	s_wait_xcnt 0x0
	s_or_b32 exec_lo, exec_lo, vcc_lo
.LBB25_7327:
	s_delay_alu instid0(SALU_CYCLE_1)
	s_or_b32 exec_lo, exec_lo, s30
.LBB25_7328:
	s_delay_alu instid0(SALU_CYCLE_1) | instskip(NEXT) | instid1(SALU_CYCLE_1)
	s_or_b32 exec_lo, exec_lo, vcc_hi
	s_or_b32 s0, s0, exec_lo
.LBB25_7329:
	s_or_b32 exec_lo, exec_lo, s92
	s_mov_b32 vcc_hi, 0
	s_mov_b32 s92, 0
	s_and_saveexec_b32 s30, s0
; %bb.7330:
	v_add_nc_u32_e32 v209, 0x200, v209
	s_mov_b32 vcc_hi, exec_lo
	s_delay_alu instid0(VALU_DEP_1)
	v_cmp_lt_i32_e32 vcc_lo, v209, v211
	s_and_b32 s92, vcc_lo, exec_lo
; %bb.7331:
	s_or_b32 exec_lo, exec_lo, s30
	s_delay_alu instid0(SALU_CYCLE_1)
	s_and_not1_b32 vcc_lo, s90, exec_lo
	s_and_b32 s95, s95, exec_lo
	s_and_b32 s0, s92, exec_lo
	s_or_b32 s92, vcc_lo, s95
	s_or_not1_b32 vcc_hi, vcc_hi, exec_lo
.LBB25_7332:
	s_or_b32 exec_lo, exec_lo, s93
	s_mov_b32 s95, 0
	s_mov_b32 vcc_lo, 0
                                        ; implicit-def: $vgpr4
                                        ; implicit-def: $vgpr2_vgpr3
	s_and_saveexec_b32 s93, vcc_hi
	s_cbranch_execz .LBB25_7804
; %bb.7333:
	s_mov_b32 s31, -1
	s_mov_b32 vcc_hi, 0
	s_mov_b32 s94, s92
	s_and_saveexec_b32 s95, s0
	s_cbranch_execz .LBB25_7461
; %bb.7334:
	v_dual_add_nc_u32 v1, s60, v209 :: v_dual_mov_b32 v3, 0
	s_mov_b32 s0, 0
	s_mov_b32 s30, s92
	s_mov_b32 s94, exec_lo
	s_delay_alu instid0(VALU_DEP_1) | instskip(SKIP_1) | instid1(VALU_DEP_2)
	v_mul_lo_u32 v2, v1, v210
	v_and_b32_e32 v1, 0xff, v85
	v_add_nc_u64_e32 v[2:3], v[212:213], v[2:3]
	s_delay_alu instid0(VALU_DEP_2)
	v_cmpx_lt_i16_e32 10, v1
	s_xor_b32 s94, exec_lo, s94
	s_cbranch_execz .LBB25_7416
; %bb.7335:
	s_mov_b32 s30, s92
	s_mov_b32 s31, exec_lo
	v_cmpx_lt_i16_e32 25, v1
	s_xor_b32 s31, exec_lo, s31
	s_cbranch_execz .LBB25_7371
; %bb.7336:
	s_mov_b32 s34, s92
	s_mov_b32 s30, exec_lo
	;; [unrolled: 6-line block ×3, first 2 shown]
	v_cmpx_lt_i16_e32 43, v1
	s_xor_b32 s34, exec_lo, s34
	s_cbranch_execz .LBB25_7349
; %bb.7338:
	s_mov_b32 s35, 0
	s_mov_b32 s36, s92
	s_mov_b32 s0, exec_lo
	v_cmpx_lt_i16_e32 45, v1
	s_xor_b32 s0, exec_lo, s0
	s_cbranch_execz .LBB25_7342
; %bb.7339:
	s_mov_b32 s37, -1
	s_mov_b32 s36, exec_lo
	v_cmpx_eq_u16_e32 46, v1
	s_cbranch_execz .LBB25_7341
; %bb.7340:
	v_bfe_u32 v1, v96, 16, 1
	v_cmp_o_f32_e32 vcc_lo, v96, v96
	s_mov_b32 s35, exec_lo
	s_xor_b32 s37, exec_lo, -1
	s_delay_alu instid0(VALU_DEP_2) | instskip(NEXT) | instid1(VALU_DEP_1)
	v_add3_u32 v1, v96, v1, 0x7fff
	v_lshrrev_b32_e32 v1, 16, v1
	s_delay_alu instid0(VALU_DEP_1)
	v_cndmask_b32_e32 v1, 0x7fc0, v1, vcc_lo
	flat_store_b32 v[2:3], v1
.LBB25_7341:
	s_wait_xcnt 0x0
	s_or_b32 exec_lo, exec_lo, s36
	s_delay_alu instid0(SALU_CYCLE_1)
	s_and_not1_b32 vcc_lo, s92, exec_lo
	s_and_b32 s36, s37, exec_lo
	s_and_b32 s35, s35, exec_lo
	s_or_b32 s36, vcc_lo, s36
                                        ; implicit-def: $vgpr1
                                        ; implicit-def: $vgpr2_vgpr3
                                        ; implicit-def: $vgpr96
.LBB25_7342:
	s_and_not1_saveexec_b32 s37, s0
	s_cbranch_execz .LBB25_7348
; %bb.7343:
	s_mov_b32 s39, -1
	s_mov_b32 s0, s35
	s_mov_b32 s38, exec_lo
	v_cmpx_eq_u16_e32 44, v1
	s_cbranch_execz .LBB25_7347
; %bb.7344:
	v_bfe_u32 v4, v96, 23, 8
	v_mov_b32_e32 v1, 0xff
	s_mov_b32 s39, exec_lo
	s_delay_alu instid0(VALU_DEP_2)
	v_cmpx_ne_u32_e32 0xff, v4
	s_cbranch_execz .LBB25_7346
; %bb.7345:
	v_and_b32_e32 v1, 0x400000, v96
	v_and_or_b32 v4, 0x3fffff, v96, v4
	s_delay_alu instid0(VALU_DEP_2) | instskip(NEXT) | instid1(VALU_DEP_2)
	v_cmp_ne_u32_e32 vcc_lo, 0, v1
	v_cmp_ne_u32_e64 s0, 0, v4
	v_lshrrev_b32_e32 v1, 23, v96
	s_and_b32 s0, vcc_lo, s0
	s_delay_alu instid0(SALU_CYCLE_1) | instskip(NEXT) | instid1(VALU_DEP_1)
	v_cndmask_b32_e64 v4, 0, 1, s0
	v_add_nc_u32_e32 v1, v1, v4
.LBB25_7346:
	s_or_b32 exec_lo, exec_lo, s39
	s_delay_alu instid0(SALU_CYCLE_1)
	s_xor_b32 s39, exec_lo, -1
	s_or_b32 s0, s35, exec_lo
	flat_store_b8 v[2:3], v1
.LBB25_7347:
	s_wait_xcnt 0x0
	s_or_b32 exec_lo, exec_lo, s38
	s_delay_alu instid0(SALU_CYCLE_1)
	s_and_not1_b32 vcc_lo, s36, exec_lo
	s_and_b32 s36, s39, exec_lo
	s_and_not1_b32 s35, s35, exec_lo
	s_and_b32 s0, s0, exec_lo
	s_or_b32 s36, vcc_lo, s36
	s_or_b32 s35, s35, s0
.LBB25_7348:
	s_or_b32 exec_lo, exec_lo, s37
	s_delay_alu instid0(SALU_CYCLE_1) | instskip(SKIP_1) | instid1(SALU_CYCLE_1)
	s_and_not1_b32 s0, s92, exec_lo
	s_and_b32 vcc_lo, s36, exec_lo
                                        ; implicit-def: $vgpr1
                                        ; implicit-def: $vgpr96
                                        ; implicit-def: $vgpr2_vgpr3
	s_or_b32 s36, s0, vcc_lo
	s_and_b32 s0, s35, exec_lo
.LBB25_7349:
	s_and_not1_saveexec_b32 s34, s34
	s_cbranch_execz .LBB25_7353
; %bb.7350:
	s_mov_b32 s38, -1
	s_mov_b32 s37, s0
	s_mov_b32 s35, exec_lo
	v_cmpx_eq_u16_e32 29, v1
	s_cbranch_execz .LBB25_7352
; %bb.7351:
	v_trunc_f32_e32 v1, v96
	s_xor_b32 s38, exec_lo, -1
	s_or_b32 s37, s0, exec_lo
	s_delay_alu instid0(VALU_DEP_1) | instskip(NEXT) | instid1(VALU_DEP_1)
	v_mul_f32_e32 v4, 0x2f800000, v1
	v_floor_f32_e32 v4, v4
	s_delay_alu instid0(VALU_DEP_1) | instskip(SKIP_1) | instid1(VALU_DEP_2)
	v_fmamk_f32 v1, v4, 0xcf800000, v1
	v_cvt_u32_f32_e32 v5, v4
	v_cvt_u32_f32_e32 v4, v1
	flat_store_b64 v[2:3], v[4:5]
.LBB25_7352:
	s_wait_xcnt 0x0
	s_or_b32 exec_lo, exec_lo, s35
	s_delay_alu instid0(SALU_CYCLE_1)
	s_and_not1_b32 vcc_lo, s36, exec_lo
	s_and_b32 s35, s38, exec_lo
	s_and_not1_b32 s0, s0, exec_lo
	s_and_b32 s37, s37, exec_lo
	s_or_b32 s36, vcc_lo, s35
	s_or_b32 s0, s0, s37
.LBB25_7353:
	s_or_b32 exec_lo, exec_lo, s34
	s_delay_alu instid0(SALU_CYCLE_1)
	s_and_not1_b32 vcc_lo, s92, exec_lo
	s_and_b32 s34, s36, exec_lo
	s_and_b32 s0, s0, exec_lo
	s_or_b32 s34, vcc_lo, s34
                                        ; implicit-def: $vgpr2_vgpr3
                                        ; implicit-def: $vgpr1
                                        ; implicit-def: $vgpr96
.LBB25_7354:
	s_and_not1_saveexec_b32 s30, s30
	s_cbranch_execz .LBB25_7370
; %bb.7355:
	s_mov_b32 s35, exec_lo
	v_cmpx_lt_i16_e32 26, v1
	s_xor_b32 s35, exec_lo, s35
	s_cbranch_execz .LBB25_7361
; %bb.7356:
	v_cmp_lt_i16_e32 vcc_lo, 27, v1
	v_cvt_u32_f32_e32 v1, v96
	s_and_saveexec_b32 s36, vcc_lo
	s_delay_alu instid0(SALU_CYCLE_1)
	s_xor_b32 vcc_lo, exec_lo, s36
	s_cbranch_execz .LBB25_7358
; %bb.7357:
	flat_store_b32 v[2:3], v1
                                        ; implicit-def: $vgpr2_vgpr3
                                        ; implicit-def: $vgpr1
.LBB25_7358:
	s_wait_xcnt 0x0
	s_and_not1_saveexec_b32 vcc_lo, vcc_lo
	s_cbranch_execz .LBB25_7360
; %bb.7359:
	flat_store_b16 v[2:3], v1
.LBB25_7360:
	s_wait_xcnt 0x0
	s_or_b32 exec_lo, exec_lo, vcc_lo
                                        ; implicit-def: $vgpr2_vgpr3
                                        ; implicit-def: $vgpr96
.LBB25_7361:
	s_and_not1_saveexec_b32 s35, s35
	s_cbranch_execz .LBB25_7369
; %bb.7362:
	v_and_b32_e32 v1, 0x7fffffff, v96
	v_mov_b32_e32 v4, 0x80
	s_mov_b32 s36, exec_lo
	s_delay_alu instid0(VALU_DEP_2)
	v_cmpx_gt_u32_e32 0x43800000, v1
	s_cbranch_execz .LBB25_7368
; %bb.7363:
	v_cmp_lt_u32_e32 vcc_lo, 0x3bffffff, v1
	s_mov_b32 s37, 0
                                        ; implicit-def: $vgpr1
	s_and_saveexec_b32 s38, vcc_lo
	s_delay_alu instid0(SALU_CYCLE_1)
	s_xor_b32 vcc_lo, exec_lo, s38
	s_cbranch_execnz .LBB25_7991
; %bb.7364:
	s_and_not1_saveexec_b32 s38, vcc_lo
	s_cbranch_execnz .LBB25_7992
.LBB25_7365:
	s_or_b32 exec_lo, exec_lo, s38
	v_mov_b32_e32 v4, 0
	s_and_saveexec_b32 vcc_lo, s37
.LBB25_7366:
	v_lshrrev_b32_e32 v4, 24, v96
	s_delay_alu instid0(VALU_DEP_1)
	v_and_or_b32 v4, 0x80, v4, v1
.LBB25_7367:
	s_or_b32 exec_lo, exec_lo, vcc_lo
.LBB25_7368:
	s_delay_alu instid0(SALU_CYCLE_1)
	s_or_b32 exec_lo, exec_lo, s36
	flat_store_b8 v[2:3], v4
.LBB25_7369:
	s_wait_xcnt 0x0
	s_or_b32 exec_lo, exec_lo, s35
	s_delay_alu instid0(SALU_CYCLE_1)
	s_or_b32 s0, s0, exec_lo
.LBB25_7370:
	s_or_b32 exec_lo, exec_lo, s30
	s_delay_alu instid0(SALU_CYCLE_1)
	s_and_not1_b32 vcc_lo, s92, exec_lo
	s_and_b32 s30, s34, exec_lo
	s_and_b32 s0, s0, exec_lo
	s_or_b32 s30, vcc_lo, s30
                                        ; implicit-def: $vgpr1
                                        ; implicit-def: $vgpr96
                                        ; implicit-def: $vgpr2_vgpr3
.LBB25_7371:
	s_and_not1_saveexec_b32 s31, s31
	s_cbranch_execz .LBB25_7415
; %bb.7372:
	s_mov_b32 s35, s0
	s_mov_b32 s34, exec_lo
	v_cmpx_lt_i16_e32 22, v1
	s_xor_b32 s34, exec_lo, s34
	s_cbranch_execz .LBB25_7404
; %bb.7373:
	s_mov_b32 s35, exec_lo
	v_cmpx_lt_i16_e32 23, v1
	s_xor_b32 s35, exec_lo, s35
	s_cbranch_execz .LBB25_7393
; %bb.7374:
	;; [unrolled: 5-line block ×3, first 2 shown]
	v_and_b32_e32 v1, 0x7fffffff, v96
	v_mov_b32_e32 v4, 0x80
	s_mov_b32 s37, exec_lo
	s_delay_alu instid0(VALU_DEP_2)
	v_cmpx_gt_u32_e32 0x47800000, v1
	s_cbranch_execz .LBB25_7381
; %bb.7376:
	v_cmp_lt_u32_e32 vcc_lo, 0x37ffffff, v1
	s_mov_b32 s38, 0
                                        ; implicit-def: $vgpr1
	s_and_saveexec_b32 s39, vcc_lo
	s_delay_alu instid0(SALU_CYCLE_1)
	s_xor_b32 vcc_lo, exec_lo, s39
	s_cbranch_execnz .LBB25_7993
; %bb.7377:
	s_and_not1_saveexec_b32 s39, vcc_lo
	s_cbranch_execnz .LBB25_7994
.LBB25_7378:
	s_or_b32 exec_lo, exec_lo, s39
	v_mov_b32_e32 v4, 0
	s_and_saveexec_b32 vcc_lo, s38
.LBB25_7379:
	v_lshrrev_b32_e32 v4, 24, v96
	s_delay_alu instid0(VALU_DEP_1)
	v_and_or_b32 v4, 0x80, v4, v1
.LBB25_7380:
	s_or_b32 exec_lo, exec_lo, vcc_lo
.LBB25_7381:
	s_delay_alu instid0(SALU_CYCLE_1)
	s_or_b32 exec_lo, exec_lo, s37
	flat_store_b8 v[2:3], v4
                                        ; implicit-def: $vgpr96
                                        ; implicit-def: $vgpr2_vgpr3
.LBB25_7382:
	s_wait_xcnt 0x0
	s_and_not1_saveexec_b32 s36, s36
	s_cbranch_execz .LBB25_7392
; %bb.7383:
	v_and_b32_e32 v4, 0x7fffffff, v96
	s_mov_b32 s37, exec_lo
                                        ; implicit-def: $vgpr1
	s_delay_alu instid0(VALU_DEP_1)
	v_cmpx_gt_u32_e32 0x43f00000, v4
	s_xor_b32 s37, exec_lo, s37
	s_cbranch_execz .LBB25_7389
; %bb.7384:
	s_mov_b32 s38, exec_lo
                                        ; implicit-def: $vgpr1
	v_cmpx_lt_u32_e32 0x3c7fffff, v4
	s_xor_b32 s38, exec_lo, s38
; %bb.7385:
	v_bfe_u32 v1, v96, 20, 1
	s_delay_alu instid0(VALU_DEP_1) | instskip(NEXT) | instid1(VALU_DEP_1)
	v_add3_u32 v1, v96, v1, 0x407ffff
	v_and_b32_e32 v4, 0xff00000, v1
	v_lshrrev_b32_e32 v1, 20, v1
	s_delay_alu instid0(VALU_DEP_2) | instskip(NEXT) | instid1(VALU_DEP_2)
	v_cmp_ne_u32_e32 vcc_lo, 0x7f00000, v4
	v_cndmask_b32_e32 v1, 0x7e, v1, vcc_lo
; %bb.7386:
	s_and_not1_saveexec_b32 vcc_lo, s38
; %bb.7387:
	v_add_f32_e64 v1, 0x46800000, |v96|
; %bb.7388:
	s_or_b32 exec_lo, exec_lo, vcc_lo
                                        ; implicit-def: $vgpr4
.LBB25_7389:
	s_and_not1_saveexec_b32 s37, s37
; %bb.7390:
	v_mov_b32_e32 v1, 0x7f
	v_cmp_lt_u32_e32 vcc_lo, 0x7f800000, v4
	s_delay_alu instid0(VALU_DEP_2)
	v_cndmask_b32_e32 v1, 0x7e, v1, vcc_lo
; %bb.7391:
	s_or_b32 exec_lo, exec_lo, s37
	v_lshrrev_b32_e32 v4, 24, v96
	s_delay_alu instid0(VALU_DEP_1)
	v_and_or_b32 v1, 0x80, v4, v1
	flat_store_b8 v[2:3], v1
.LBB25_7392:
	s_wait_xcnt 0x0
	s_or_b32 exec_lo, exec_lo, s36
                                        ; implicit-def: $vgpr96
                                        ; implicit-def: $vgpr2_vgpr3
.LBB25_7393:
	s_and_not1_saveexec_b32 s35, s35
	s_cbranch_execz .LBB25_7403
; %bb.7394:
	v_and_b32_e32 v4, 0x7fffffff, v96
	s_mov_b32 s36, exec_lo
                                        ; implicit-def: $vgpr1
	s_delay_alu instid0(VALU_DEP_1)
	v_cmpx_gt_u32_e32 0x47800000, v4
	s_xor_b32 s36, exec_lo, s36
	s_cbranch_execz .LBB25_7400
; %bb.7395:
	v_cmp_lt_u32_e32 vcc_lo, 0x387fffff, v4
                                        ; implicit-def: $vgpr1
	s_and_saveexec_b32 s37, vcc_lo
	s_delay_alu instid0(SALU_CYCLE_1)
	s_xor_b32 vcc_lo, exec_lo, s37
; %bb.7396:
	v_bfe_u32 v1, v96, 21, 1
	s_delay_alu instid0(VALU_DEP_1) | instskip(NEXT) | instid1(VALU_DEP_1)
	v_add3_u32 v1, v96, v1, 0x80fffff
	v_lshrrev_b32_e32 v1, 21, v1
; %bb.7397:
	s_and_not1_saveexec_b32 vcc_lo, vcc_lo
; %bb.7398:
	v_add_f32_e64 v1, 0x43000000, |v96|
; %bb.7399:
	s_or_b32 exec_lo, exec_lo, vcc_lo
                                        ; implicit-def: $vgpr4
.LBB25_7400:
	s_and_not1_saveexec_b32 s36, s36
; %bb.7401:
	v_mov_b32_e32 v1, 0x7f
	v_cmp_lt_u32_e32 vcc_lo, 0x7f800000, v4
	s_delay_alu instid0(VALU_DEP_2)
	v_cndmask_b32_e32 v1, 0x7c, v1, vcc_lo
; %bb.7402:
	s_or_b32 exec_lo, exec_lo, s36
	v_lshrrev_b32_e32 v4, 24, v96
	s_delay_alu instid0(VALU_DEP_1)
	v_and_or_b32 v1, 0x80, v4, v1
	flat_store_b8 v[2:3], v1
.LBB25_7403:
	s_wait_xcnt 0x0
	s_or_b32 exec_lo, exec_lo, s35
	s_delay_alu instid0(SALU_CYCLE_1)
	s_or_b32 s35, s0, exec_lo
                                        ; implicit-def: $vgpr1
                                        ; implicit-def: $vgpr96
                                        ; implicit-def: $vgpr2_vgpr3
.LBB25_7404:
	s_or_saveexec_b32 s34, s34
	s_mov_b32 vcc_lo, s30
	s_xor_b32 exec_lo, exec_lo, s34
	s_cbranch_execz .LBB25_7414
; %bb.7405:
	s_mov_b32 s36, s35
	s_mov_b32 s37, s30
	s_mov_b32 s38, exec_lo
	v_cmpx_lt_i16_e32 14, v1
	s_xor_b32 s38, exec_lo, s38
	s_cbranch_execz .LBB25_7409
; %bb.7406:
	s_mov_b32 s39, -1
	s_mov_b32 s36, s35
	s_mov_b32 s37, exec_lo
	v_cmpx_eq_u16_e32 15, v1
	s_cbranch_execz .LBB25_7408
; %bb.7407:
	v_bfe_u32 v1, v96, 16, 1
	v_cmp_o_f32_e32 vcc_lo, v96, v96
	s_xor_b32 s39, exec_lo, -1
	s_or_b32 s36, s35, exec_lo
	s_delay_alu instid0(VALU_DEP_2) | instskip(NEXT) | instid1(VALU_DEP_1)
	v_add3_u32 v1, v96, v1, 0x7fff
	v_lshrrev_b32_e32 v1, 16, v1
	s_delay_alu instid0(VALU_DEP_1)
	v_cndmask_b32_e32 v1, 0x7fc0, v1, vcc_lo
	flat_store_b16 v[2:3], v1
.LBB25_7408:
	s_wait_xcnt 0x0
	s_or_b32 exec_lo, exec_lo, s37
	s_delay_alu instid0(SALU_CYCLE_1)
	s_and_not1_b32 vcc_lo, s30, exec_lo
	s_and_b32 s37, s39, exec_lo
	s_and_not1_b32 s39, s35, exec_lo
	s_and_b32 s36, s36, exec_lo
	s_or_b32 s37, vcc_lo, s37
	s_or_b32 s36, s39, s36
                                        ; implicit-def: $vgpr1
                                        ; implicit-def: $vgpr96
                                        ; implicit-def: $vgpr2_vgpr3
.LBB25_7409:
	s_and_not1_saveexec_b32 s38, s38
	s_cbranch_execz .LBB25_7413
; %bb.7410:
	s_mov_b32 s48, -1
	s_mov_b32 s39, s36
	s_mov_b32 s49, exec_lo
	v_cmpx_eq_u16_e32 11, v1
	s_cbranch_execz .LBB25_7412
; %bb.7411:
	v_cmp_neq_f32_e32 vcc_lo, 0, v96
	s_xor_b32 s48, exec_lo, -1
	s_or_b32 s39, s36, exec_lo
	v_cndmask_b32_e64 v1, 0, 1, vcc_lo
	flat_store_b8 v[2:3], v1
.LBB25_7412:
	s_wait_xcnt 0x0
	s_or_b32 exec_lo, exec_lo, s49
	s_delay_alu instid0(SALU_CYCLE_1)
	s_and_not1_b32 vcc_lo, s37, exec_lo
	s_and_b32 s37, s48, exec_lo
	s_and_not1_b32 s36, s36, exec_lo
	s_and_b32 s39, s39, exec_lo
	s_or_b32 s37, vcc_lo, s37
	s_or_b32 s36, s36, s39
.LBB25_7413:
	s_or_b32 exec_lo, exec_lo, s38
	s_delay_alu instid0(SALU_CYCLE_1)
	s_and_not1_b32 vcc_lo, s30, exec_lo
	s_and_b32 s37, s37, exec_lo
	s_and_not1_b32 s35, s35, exec_lo
	s_and_b32 s36, s36, exec_lo
	s_or_b32 vcc_lo, vcc_lo, s37
	s_or_b32 s35, s35, s36
.LBB25_7414:
	s_or_b32 exec_lo, exec_lo, s34
	s_delay_alu instid0(SALU_CYCLE_1)
	s_and_not1_b32 s30, s30, exec_lo
	s_and_b32 vcc_lo, vcc_lo, exec_lo
	s_and_not1_b32 s0, s0, exec_lo
	s_and_b32 s34, s35, exec_lo
	s_or_b32 s30, s30, vcc_lo
	s_or_b32 s0, s0, s34
.LBB25_7415:
	s_or_b32 exec_lo, exec_lo, s31
	s_delay_alu instid0(SALU_CYCLE_1)
	s_and_not1_b32 vcc_lo, s92, exec_lo
	s_and_b32 s30, s30, exec_lo
	s_and_b32 s0, s0, exec_lo
	s_or_b32 s30, vcc_lo, s30
                                        ; implicit-def: $vgpr1
                                        ; implicit-def: $vgpr96
                                        ; implicit-def: $vgpr2_vgpr3
.LBB25_7416:
	s_and_not1_saveexec_b32 s94, s94
	s_cbranch_execz .LBB25_7458
; %bb.7417:
	s_mov_b32 s31, exec_lo
	v_cmpx_lt_i16_e32 4, v1
	s_xor_b32 s31, exec_lo, s31
	s_cbranch_execz .LBB25_7439
; %bb.7418:
	s_mov_b32 s34, exec_lo
	v_cmpx_lt_i16_e32 7, v1
	s_xor_b32 s34, exec_lo, s34
	;; [unrolled: 5-line block ×3, first 2 shown]
	s_cbranch_execz .LBB25_7425
; %bb.7420:
	v_cmp_lt_i16_e32 vcc_lo, 9, v1
	s_and_saveexec_b32 s36, vcc_lo
	s_delay_alu instid0(SALU_CYCLE_1)
	s_xor_b32 vcc_lo, exec_lo, s36
	s_cbranch_execz .LBB25_7422
; %bb.7421:
	v_cvt_f64_f32_e32 v[4:5], v96
	v_mov_b32_e32 v6, 0
                                        ; implicit-def: $vgpr96
	s_delay_alu instid0(VALU_DEP_1)
	v_mov_b32_e32 v7, v6
	flat_store_b128 v[2:3], v[4:7]
                                        ; implicit-def: $vgpr2_vgpr3
.LBB25_7422:
	s_wait_xcnt 0x0
	s_and_not1_saveexec_b32 vcc_lo, vcc_lo
	s_cbranch_execz .LBB25_7424
; %bb.7423:
	v_mov_b32_e32 v97, 0
	flat_store_b64 v[2:3], v[96:97]
.LBB25_7424:
	s_wait_xcnt 0x0
	s_or_b32 exec_lo, exec_lo, vcc_lo
                                        ; implicit-def: $vgpr96
                                        ; implicit-def: $vgpr2_vgpr3
.LBB25_7425:
	s_and_not1_saveexec_b32 vcc_lo, s35
	s_cbranch_execz .LBB25_7427
; %bb.7426:
	v_cvt_f16_f32_e32 v1, v96
	s_delay_alu instid0(VALU_DEP_1)
	v_and_b32_e32 v1, 0xffff, v1
	flat_store_b32 v[2:3], v1
.LBB25_7427:
	s_wait_xcnt 0x0
	s_or_b32 exec_lo, exec_lo, vcc_lo
                                        ; implicit-def: $vgpr96
                                        ; implicit-def: $vgpr2_vgpr3
                                        ; implicit-def: $vgpr1
.LBB25_7428:
	s_and_not1_saveexec_b32 s34, s34
	s_cbranch_execz .LBB25_7438
; %bb.7429:
	s_mov_b32 s35, exec_lo
	v_cmpx_lt_i16_e32 5, v1
	s_xor_b32 s35, exec_lo, s35
	s_cbranch_execz .LBB25_7435
; %bb.7430:
	v_cmp_lt_i16_e32 vcc_lo, 6, v1
	s_and_saveexec_b32 s36, vcc_lo
	s_delay_alu instid0(SALU_CYCLE_1)
	s_xor_b32 vcc_lo, exec_lo, s36
	s_cbranch_execz .LBB25_7432
; %bb.7431:
	v_cvt_f64_f32_e32 v[4:5], v96
                                        ; implicit-def: $vgpr96
	flat_store_b64 v[2:3], v[4:5]
                                        ; implicit-def: $vgpr2_vgpr3
.LBB25_7432:
	s_wait_xcnt 0x0
	s_and_not1_saveexec_b32 vcc_lo, vcc_lo
	s_cbranch_execz .LBB25_7434
; %bb.7433:
	flat_store_b32 v[2:3], v96
.LBB25_7434:
	s_wait_xcnt 0x0
	s_or_b32 exec_lo, exec_lo, vcc_lo
                                        ; implicit-def: $vgpr96
                                        ; implicit-def: $vgpr2_vgpr3
.LBB25_7435:
	s_and_not1_saveexec_b32 vcc_lo, s35
	s_cbranch_execz .LBB25_7437
; %bb.7436:
	v_cvt_f16_f32_e32 v1, v96
	flat_store_b16 v[2:3], v1
.LBB25_7437:
	s_wait_xcnt 0x0
	s_or_b32 exec_lo, exec_lo, vcc_lo
.LBB25_7438:
	s_delay_alu instid0(SALU_CYCLE_1)
	s_or_b32 exec_lo, exec_lo, s34
                                        ; implicit-def: $vgpr1
                                        ; implicit-def: $vgpr96
                                        ; implicit-def: $vgpr2_vgpr3
.LBB25_7439:
	s_and_not1_saveexec_b32 s31, s31
	s_cbranch_execz .LBB25_7457
; %bb.7440:
	s_mov_b32 s34, exec_lo
	v_cmpx_lt_i16_e32 1, v1
	s_xor_b32 s34, exec_lo, s34
	s_cbranch_execz .LBB25_7450
; %bb.7441:
	s_mov_b32 s35, exec_lo
	v_cmpx_lt_i16_e32 2, v1
	s_xor_b32 s35, exec_lo, s35
	s_cbranch_execz .LBB25_7447
; %bb.7442:
	v_cmp_lt_i16_e32 vcc_lo, 3, v1
	s_and_saveexec_b32 s36, vcc_lo
	s_delay_alu instid0(SALU_CYCLE_1)
	s_xor_b32 vcc_lo, exec_lo, s36
	s_cbranch_execz .LBB25_7444
; %bb.7443:
	v_trunc_f32_e32 v1, v96
                                        ; implicit-def: $vgpr96
	s_delay_alu instid0(VALU_DEP_1) | instskip(NEXT) | instid1(VALU_DEP_1)
	v_mul_f32_e64 v4, 0x2f800000, |v1|
	v_floor_f32_e32 v5, v4
	v_ashrrev_i32_e32 v4, 31, v1
	s_delay_alu instid0(VALU_DEP_2) | instskip(SKIP_1) | instid1(VALU_DEP_3)
	v_fma_f32 v6, 0xcf800000, v5, |v1|
	v_cvt_u32_f32_e32 v1, v5
	v_mov_b32_e32 v5, v4
	s_delay_alu instid0(VALU_DEP_3) | instskip(NEXT) | instid1(VALU_DEP_3)
	v_cvt_u32_f32_e32 v6, v6
	v_xor_b32_e32 v7, v1, v4
	s_delay_alu instid0(VALU_DEP_2) | instskip(NEXT) | instid1(VALU_DEP_1)
	v_xor_b32_e32 v6, v6, v4
	v_sub_nc_u64_e32 v[4:5], v[6:7], v[4:5]
	flat_store_b64 v[2:3], v[4:5]
                                        ; implicit-def: $vgpr2_vgpr3
.LBB25_7444:
	s_wait_xcnt 0x0
	s_and_not1_saveexec_b32 vcc_lo, vcc_lo
	s_cbranch_execz .LBB25_7446
; %bb.7445:
	v_cvt_i32_f32_e32 v1, v96
	flat_store_b32 v[2:3], v1
.LBB25_7446:
	s_wait_xcnt 0x0
	s_or_b32 exec_lo, exec_lo, vcc_lo
                                        ; implicit-def: $vgpr96
                                        ; implicit-def: $vgpr2_vgpr3
.LBB25_7447:
	s_and_not1_saveexec_b32 vcc_lo, s35
	s_cbranch_execz .LBB25_7449
; %bb.7448:
	v_cvt_i32_f32_e32 v1, v96
	flat_store_b16 v[2:3], v1
.LBB25_7449:
	s_wait_xcnt 0x0
	s_or_b32 exec_lo, exec_lo, vcc_lo
                                        ; implicit-def: $vgpr96
                                        ; implicit-def: $vgpr2_vgpr3
                                        ; implicit-def: $vgpr1
.LBB25_7450:
	s_and_not1_saveexec_b32 s34, s34
	s_cbranch_execz .LBB25_7456
; %bb.7451:
	v_cmp_lt_i16_e32 vcc_lo, 0, v1
	s_and_saveexec_b32 s35, vcc_lo
	s_delay_alu instid0(SALU_CYCLE_1)
	s_xor_b32 vcc_lo, exec_lo, s35
	s_cbranch_execz .LBB25_7453
; %bb.7452:
	v_cvt_i32_f32_e32 v1, v96
                                        ; implicit-def: $vgpr96
	flat_store_b8 v[2:3], v1
                                        ; implicit-def: $vgpr2_vgpr3
.LBB25_7453:
	s_wait_xcnt 0x0
	s_and_not1_saveexec_b32 vcc_lo, vcc_lo
	s_cbranch_execz .LBB25_7455
; %bb.7454:
	v_trunc_f32_e32 v1, v96
	s_delay_alu instid0(VALU_DEP_1) | instskip(NEXT) | instid1(VALU_DEP_1)
	v_mul_f32_e64 v4, 0x2f800000, |v1|
	v_floor_f32_e32 v4, v4
	s_delay_alu instid0(VALU_DEP_1) | instskip(SKIP_1) | instid1(VALU_DEP_2)
	v_fma_f32 v4, 0xcf800000, v4, |v1|
	v_ashrrev_i32_e32 v1, 31, v1
	v_cvt_u32_f32_e32 v4, v4
	s_delay_alu instid0(VALU_DEP_1) | instskip(NEXT) | instid1(VALU_DEP_1)
	v_xor_b32_e32 v4, v4, v1
	v_sub_nc_u32_e32 v1, v4, v1
	flat_store_b8 v[2:3], v1
.LBB25_7455:
	s_wait_xcnt 0x0
	s_or_b32 exec_lo, exec_lo, vcc_lo
.LBB25_7456:
	s_delay_alu instid0(SALU_CYCLE_1)
	s_or_b32 exec_lo, exec_lo, s34
.LBB25_7457:
	s_delay_alu instid0(SALU_CYCLE_1) | instskip(NEXT) | instid1(SALU_CYCLE_1)
	s_or_b32 exec_lo, exec_lo, s31
	s_or_b32 s0, s0, exec_lo
.LBB25_7458:
	s_or_b32 exec_lo, exec_lo, s94
	s_mov_b32 s31, 0
	s_mov_b32 s94, 0
	s_and_saveexec_b32 s34, s0
; %bb.7459:
	v_add_nc_u32_e32 v209, 0x200, v209
	s_mov_b32 s31, exec_lo
	s_delay_alu instid0(VALU_DEP_1)
	v_cmp_lt_i32_e32 vcc_lo, v209, v211
	s_and_b32 s94, vcc_lo, exec_lo
; %bb.7460:
	s_or_b32 exec_lo, exec_lo, s34
	s_delay_alu instid0(SALU_CYCLE_1)
	s_and_not1_b32 s0, s92, exec_lo
	s_and_b32 s30, s30, exec_lo
	s_and_b32 vcc_lo, s94, exec_lo
	s_or_b32 s94, s0, s30
	s_or_not1_b32 s31, s31, exec_lo
.LBB25_7461:
	s_or_b32 exec_lo, exec_lo, s95
	s_mov_b32 s0, 0
	s_mov_b32 s30, 0
                                        ; implicit-def: $vgpr4
                                        ; implicit-def: $vgpr2_vgpr3
	s_and_saveexec_b32 s95, s31
	s_cbranch_execz .LBB25_7803
; %bb.7462:
	s_mov_b32 s36, -1
	s_mov_b32 s31, 0
	s_mov_b32 vcc_hi, s94
	s_and_saveexec_b32 s30, vcc_lo
	s_cbranch_execz .LBB25_7590
; %bb.7463:
	v_dual_add_nc_u32 v1, s60, v209 :: v_dual_mov_b32 v3, 0
	s_mov_b32 s34, s94
	s_mov_b32 vcc_hi, exec_lo
	s_delay_alu instid0(VALU_DEP_1) | instskip(SKIP_1) | instid1(VALU_DEP_2)
	v_mul_lo_u32 v2, v1, v210
	v_and_b32_e32 v1, 0xff, v85
	v_add_nc_u64_e32 v[2:3], v[212:213], v[2:3]
	s_delay_alu instid0(VALU_DEP_2)
	v_cmpx_lt_i16_e32 10, v1
	s_xor_b32 vcc_hi, exec_lo, vcc_hi
	s_cbranch_execz .LBB25_7545
; %bb.7464:
	s_mov_b32 s34, s94
	s_mov_b32 s35, exec_lo
	v_cmpx_lt_i16_e32 25, v1
	s_xor_b32 s35, exec_lo, s35
	s_cbranch_execz .LBB25_7500
; %bb.7465:
	s_mov_b32 s36, s94
	s_mov_b32 s34, exec_lo
	v_cmpx_lt_i16_e32 28, v1
	s_xor_b32 s34, exec_lo, s34
	;; [unrolled: 6-line block ×3, first 2 shown]
	s_cbranch_execz .LBB25_7478
; %bb.7467:
	s_mov_b32 s37, 0
	s_mov_b32 s38, s94
	s_mov_b32 s0, exec_lo
	v_cmpx_lt_i16_e32 45, v1
	s_xor_b32 s0, exec_lo, s0
	s_cbranch_execz .LBB25_7471
; %bb.7468:
	s_mov_b32 s39, -1
	s_mov_b32 s38, exec_lo
	v_cmpx_eq_u16_e32 46, v1
	s_cbranch_execz .LBB25_7470
; %bb.7469:
	v_bfe_u32 v1, v86, 16, 1
	v_cmp_o_f32_e32 vcc_lo, v86, v86
	s_mov_b32 s37, exec_lo
	s_xor_b32 s39, exec_lo, -1
	s_delay_alu instid0(VALU_DEP_2) | instskip(NEXT) | instid1(VALU_DEP_1)
	v_add3_u32 v1, v86, v1, 0x7fff
	v_lshrrev_b32_e32 v1, 16, v1
	s_delay_alu instid0(VALU_DEP_1)
	v_cndmask_b32_e32 v1, 0x7fc0, v1, vcc_lo
	flat_store_b32 v[2:3], v1
.LBB25_7470:
	s_wait_xcnt 0x0
	s_or_b32 exec_lo, exec_lo, s38
	s_delay_alu instid0(SALU_CYCLE_1)
	s_and_not1_b32 vcc_lo, s94, exec_lo
	s_and_b32 s38, s39, exec_lo
	s_and_b32 s37, s37, exec_lo
	s_or_b32 s38, vcc_lo, s38
                                        ; implicit-def: $vgpr1
                                        ; implicit-def: $vgpr2_vgpr3
                                        ; implicit-def: $vgpr86
.LBB25_7471:
	s_and_not1_saveexec_b32 s39, s0
	s_cbranch_execz .LBB25_7477
; %bb.7472:
	s_mov_b32 s49, -1
	s_mov_b32 s0, s37
	s_mov_b32 s48, exec_lo
	v_cmpx_eq_u16_e32 44, v1
	s_cbranch_execz .LBB25_7476
; %bb.7473:
	v_bfe_u32 v4, v86, 23, 8
	v_mov_b32_e32 v1, 0xff
	s_mov_b32 s49, exec_lo
	s_delay_alu instid0(VALU_DEP_2)
	v_cmpx_ne_u32_e32 0xff, v4
	s_cbranch_execz .LBB25_7475
; %bb.7474:
	v_and_b32_e32 v1, 0x400000, v86
	v_and_or_b32 v4, 0x3fffff, v86, v4
	s_delay_alu instid0(VALU_DEP_2) | instskip(NEXT) | instid1(VALU_DEP_2)
	v_cmp_ne_u32_e32 vcc_lo, 0, v1
	v_cmp_ne_u32_e64 s0, 0, v4
	v_lshrrev_b32_e32 v1, 23, v86
	s_and_b32 s0, vcc_lo, s0
	s_delay_alu instid0(SALU_CYCLE_1) | instskip(NEXT) | instid1(VALU_DEP_1)
	v_cndmask_b32_e64 v4, 0, 1, s0
	v_add_nc_u32_e32 v1, v1, v4
.LBB25_7475:
	s_or_b32 exec_lo, exec_lo, s49
	s_delay_alu instid0(SALU_CYCLE_1)
	s_xor_b32 s49, exec_lo, -1
	s_or_b32 s0, s37, exec_lo
	flat_store_b8 v[2:3], v1
.LBB25_7476:
	s_wait_xcnt 0x0
	s_or_b32 exec_lo, exec_lo, s48
	s_delay_alu instid0(SALU_CYCLE_1)
	s_and_not1_b32 vcc_lo, s38, exec_lo
	s_and_b32 s38, s49, exec_lo
	s_and_not1_b32 s37, s37, exec_lo
	s_and_b32 s0, s0, exec_lo
	s_or_b32 s38, vcc_lo, s38
	s_or_b32 s37, s37, s0
.LBB25_7477:
	s_or_b32 exec_lo, exec_lo, s39
	s_delay_alu instid0(SALU_CYCLE_1) | instskip(SKIP_1) | instid1(SALU_CYCLE_1)
	s_and_not1_b32 s0, s94, exec_lo
	s_and_b32 vcc_lo, s38, exec_lo
                                        ; implicit-def: $vgpr1
                                        ; implicit-def: $vgpr86
                                        ; implicit-def: $vgpr2_vgpr3
	s_or_b32 s38, s0, vcc_lo
	s_and_b32 s0, s37, exec_lo
.LBB25_7478:
	s_and_not1_saveexec_b32 s36, s36
	s_cbranch_execz .LBB25_7482
; %bb.7479:
	s_mov_b32 s48, -1
	s_mov_b32 s39, s0
	s_mov_b32 s37, exec_lo
	v_cmpx_eq_u16_e32 29, v1
	s_cbranch_execz .LBB25_7481
; %bb.7480:
	v_trunc_f32_e32 v1, v86
	s_xor_b32 s48, exec_lo, -1
	s_or_b32 s39, s0, exec_lo
	s_delay_alu instid0(VALU_DEP_1) | instskip(NEXT) | instid1(VALU_DEP_1)
	v_mul_f32_e32 v4, 0x2f800000, v1
	v_floor_f32_e32 v4, v4
	s_delay_alu instid0(VALU_DEP_1) | instskip(SKIP_1) | instid1(VALU_DEP_2)
	v_fmamk_f32 v1, v4, 0xcf800000, v1
	v_cvt_u32_f32_e32 v5, v4
	v_cvt_u32_f32_e32 v4, v1
	flat_store_b64 v[2:3], v[4:5]
.LBB25_7481:
	s_wait_xcnt 0x0
	s_or_b32 exec_lo, exec_lo, s37
	s_delay_alu instid0(SALU_CYCLE_1)
	s_and_not1_b32 vcc_lo, s38, exec_lo
	s_and_b32 s37, s48, exec_lo
	s_and_not1_b32 s0, s0, exec_lo
	s_and_b32 s39, s39, exec_lo
	s_or_b32 s38, vcc_lo, s37
	s_or_b32 s0, s0, s39
.LBB25_7482:
	s_or_b32 exec_lo, exec_lo, s36
	s_delay_alu instid0(SALU_CYCLE_1)
	s_and_not1_b32 vcc_lo, s94, exec_lo
	s_and_b32 s36, s38, exec_lo
	s_and_b32 s0, s0, exec_lo
	s_or_b32 s36, vcc_lo, s36
                                        ; implicit-def: $vgpr2_vgpr3
                                        ; implicit-def: $vgpr1
                                        ; implicit-def: $vgpr86
.LBB25_7483:
	s_and_not1_saveexec_b32 s34, s34
	s_cbranch_execz .LBB25_7499
; %bb.7484:
	s_mov_b32 s37, exec_lo
	v_cmpx_lt_i16_e32 26, v1
	s_xor_b32 s37, exec_lo, s37
	s_cbranch_execz .LBB25_7490
; %bb.7485:
	v_cmp_lt_i16_e32 vcc_lo, 27, v1
	v_cvt_u32_f32_e32 v1, v86
	s_and_saveexec_b32 s38, vcc_lo
	s_delay_alu instid0(SALU_CYCLE_1)
	s_xor_b32 vcc_lo, exec_lo, s38
	s_cbranch_execz .LBB25_7487
; %bb.7486:
	flat_store_b32 v[2:3], v1
                                        ; implicit-def: $vgpr2_vgpr3
                                        ; implicit-def: $vgpr1
.LBB25_7487:
	s_wait_xcnt 0x0
	s_and_not1_saveexec_b32 vcc_lo, vcc_lo
	s_cbranch_execz .LBB25_7489
; %bb.7488:
	flat_store_b16 v[2:3], v1
.LBB25_7489:
	s_wait_xcnt 0x0
	s_or_b32 exec_lo, exec_lo, vcc_lo
                                        ; implicit-def: $vgpr2_vgpr3
                                        ; implicit-def: $vgpr86
.LBB25_7490:
	s_and_not1_saveexec_b32 s37, s37
	s_cbranch_execz .LBB25_7498
; %bb.7491:
	v_and_b32_e32 v1, 0x7fffffff, v86
	v_mov_b32_e32 v4, 0x80
	s_mov_b32 s38, exec_lo
	s_delay_alu instid0(VALU_DEP_2)
	v_cmpx_gt_u32_e32 0x43800000, v1
	s_cbranch_execz .LBB25_7497
; %bb.7492:
	v_cmp_lt_u32_e32 vcc_lo, 0x3bffffff, v1
	s_mov_b32 s39, 0
                                        ; implicit-def: $vgpr1
	s_and_saveexec_b32 s48, vcc_lo
	s_delay_alu instid0(SALU_CYCLE_1)
	s_xor_b32 vcc_lo, exec_lo, s48
	s_cbranch_execnz .LBB25_7995
; %bb.7493:
	s_and_not1_saveexec_b32 s48, vcc_lo
	s_cbranch_execnz .LBB25_7996
.LBB25_7494:
	s_or_b32 exec_lo, exec_lo, s48
	v_mov_b32_e32 v4, 0
	s_and_saveexec_b32 vcc_lo, s39
.LBB25_7495:
	v_lshrrev_b32_e32 v4, 24, v86
	s_delay_alu instid0(VALU_DEP_1)
	v_and_or_b32 v4, 0x80, v4, v1
.LBB25_7496:
	s_or_b32 exec_lo, exec_lo, vcc_lo
.LBB25_7497:
	s_delay_alu instid0(SALU_CYCLE_1)
	s_or_b32 exec_lo, exec_lo, s38
	flat_store_b8 v[2:3], v4
.LBB25_7498:
	s_wait_xcnt 0x0
	s_or_b32 exec_lo, exec_lo, s37
	s_delay_alu instid0(SALU_CYCLE_1)
	s_or_b32 s0, s0, exec_lo
.LBB25_7499:
	s_or_b32 exec_lo, exec_lo, s34
	s_delay_alu instid0(SALU_CYCLE_1)
	s_and_not1_b32 vcc_lo, s94, exec_lo
	s_and_b32 s34, s36, exec_lo
	s_and_b32 s0, s0, exec_lo
	s_or_b32 s34, vcc_lo, s34
                                        ; implicit-def: $vgpr1
                                        ; implicit-def: $vgpr86
                                        ; implicit-def: $vgpr2_vgpr3
.LBB25_7500:
	s_and_not1_saveexec_b32 s35, s35
	s_cbranch_execz .LBB25_7544
; %bb.7501:
	s_mov_b32 s37, s0
	s_mov_b32 s36, exec_lo
	v_cmpx_lt_i16_e32 22, v1
	s_xor_b32 s36, exec_lo, s36
	s_cbranch_execz .LBB25_7533
; %bb.7502:
	s_mov_b32 s37, exec_lo
	v_cmpx_lt_i16_e32 23, v1
	s_xor_b32 s37, exec_lo, s37
	s_cbranch_execz .LBB25_7522
; %bb.7503:
	;; [unrolled: 5-line block ×3, first 2 shown]
	v_and_b32_e32 v1, 0x7fffffff, v86
	v_mov_b32_e32 v4, 0x80
	s_mov_b32 s39, exec_lo
	s_delay_alu instid0(VALU_DEP_2)
	v_cmpx_gt_u32_e32 0x47800000, v1
	s_cbranch_execz .LBB25_7510
; %bb.7505:
	v_cmp_lt_u32_e32 vcc_lo, 0x37ffffff, v1
	s_mov_b32 s48, 0
                                        ; implicit-def: $vgpr1
	s_and_saveexec_b32 s49, vcc_lo
	s_delay_alu instid0(SALU_CYCLE_1)
	s_xor_b32 vcc_lo, exec_lo, s49
	s_cbranch_execnz .LBB25_7997
; %bb.7506:
	s_and_not1_saveexec_b32 s49, vcc_lo
	s_cbranch_execnz .LBB25_7998
.LBB25_7507:
	s_or_b32 exec_lo, exec_lo, s49
	v_mov_b32_e32 v4, 0
	s_and_saveexec_b32 vcc_lo, s48
.LBB25_7508:
	v_lshrrev_b32_e32 v4, 24, v86
	s_delay_alu instid0(VALU_DEP_1)
	v_and_or_b32 v4, 0x80, v4, v1
.LBB25_7509:
	s_or_b32 exec_lo, exec_lo, vcc_lo
.LBB25_7510:
	s_delay_alu instid0(SALU_CYCLE_1)
	s_or_b32 exec_lo, exec_lo, s39
	flat_store_b8 v[2:3], v4
                                        ; implicit-def: $vgpr86
                                        ; implicit-def: $vgpr2_vgpr3
.LBB25_7511:
	s_wait_xcnt 0x0
	s_and_not1_saveexec_b32 s38, s38
	s_cbranch_execz .LBB25_7521
; %bb.7512:
	v_and_b32_e32 v4, 0x7fffffff, v86
	s_mov_b32 s39, exec_lo
                                        ; implicit-def: $vgpr1
	s_delay_alu instid0(VALU_DEP_1)
	v_cmpx_gt_u32_e32 0x43f00000, v4
	s_xor_b32 s39, exec_lo, s39
	s_cbranch_execz .LBB25_7518
; %bb.7513:
	s_mov_b32 s48, exec_lo
                                        ; implicit-def: $vgpr1
	v_cmpx_lt_u32_e32 0x3c7fffff, v4
	s_xor_b32 s48, exec_lo, s48
; %bb.7514:
	v_bfe_u32 v1, v86, 20, 1
	s_delay_alu instid0(VALU_DEP_1) | instskip(NEXT) | instid1(VALU_DEP_1)
	v_add3_u32 v1, v86, v1, 0x407ffff
	v_and_b32_e32 v4, 0xff00000, v1
	v_lshrrev_b32_e32 v1, 20, v1
	s_delay_alu instid0(VALU_DEP_2) | instskip(NEXT) | instid1(VALU_DEP_2)
	v_cmp_ne_u32_e32 vcc_lo, 0x7f00000, v4
	v_cndmask_b32_e32 v1, 0x7e, v1, vcc_lo
; %bb.7515:
	s_and_not1_saveexec_b32 vcc_lo, s48
; %bb.7516:
	v_add_f32_e64 v1, 0x46800000, |v86|
; %bb.7517:
	s_or_b32 exec_lo, exec_lo, vcc_lo
                                        ; implicit-def: $vgpr4
.LBB25_7518:
	s_and_not1_saveexec_b32 s39, s39
; %bb.7519:
	v_mov_b32_e32 v1, 0x7f
	v_cmp_lt_u32_e32 vcc_lo, 0x7f800000, v4
	s_delay_alu instid0(VALU_DEP_2)
	v_cndmask_b32_e32 v1, 0x7e, v1, vcc_lo
; %bb.7520:
	s_or_b32 exec_lo, exec_lo, s39
	v_lshrrev_b32_e32 v4, 24, v86
	s_delay_alu instid0(VALU_DEP_1)
	v_and_or_b32 v1, 0x80, v4, v1
	flat_store_b8 v[2:3], v1
.LBB25_7521:
	s_wait_xcnt 0x0
	s_or_b32 exec_lo, exec_lo, s38
                                        ; implicit-def: $vgpr86
                                        ; implicit-def: $vgpr2_vgpr3
.LBB25_7522:
	s_and_not1_saveexec_b32 s37, s37
	s_cbranch_execz .LBB25_7532
; %bb.7523:
	v_and_b32_e32 v4, 0x7fffffff, v86
	s_mov_b32 s38, exec_lo
                                        ; implicit-def: $vgpr1
	s_delay_alu instid0(VALU_DEP_1)
	v_cmpx_gt_u32_e32 0x47800000, v4
	s_xor_b32 s38, exec_lo, s38
	s_cbranch_execz .LBB25_7529
; %bb.7524:
	v_cmp_lt_u32_e32 vcc_lo, 0x387fffff, v4
                                        ; implicit-def: $vgpr1
	s_and_saveexec_b32 s39, vcc_lo
	s_delay_alu instid0(SALU_CYCLE_1)
	s_xor_b32 vcc_lo, exec_lo, s39
; %bb.7525:
	v_bfe_u32 v1, v86, 21, 1
	s_delay_alu instid0(VALU_DEP_1) | instskip(NEXT) | instid1(VALU_DEP_1)
	v_add3_u32 v1, v86, v1, 0x80fffff
	v_lshrrev_b32_e32 v1, 21, v1
; %bb.7526:
	s_and_not1_saveexec_b32 vcc_lo, vcc_lo
; %bb.7527:
	v_add_f32_e64 v1, 0x43000000, |v86|
; %bb.7528:
	s_or_b32 exec_lo, exec_lo, vcc_lo
                                        ; implicit-def: $vgpr4
.LBB25_7529:
	s_and_not1_saveexec_b32 s38, s38
; %bb.7530:
	v_mov_b32_e32 v1, 0x7f
	v_cmp_lt_u32_e32 vcc_lo, 0x7f800000, v4
	s_delay_alu instid0(VALU_DEP_2)
	v_cndmask_b32_e32 v1, 0x7c, v1, vcc_lo
; %bb.7531:
	s_or_b32 exec_lo, exec_lo, s38
	v_lshrrev_b32_e32 v4, 24, v86
	s_delay_alu instid0(VALU_DEP_1)
	v_and_or_b32 v1, 0x80, v4, v1
	flat_store_b8 v[2:3], v1
.LBB25_7532:
	s_wait_xcnt 0x0
	s_or_b32 exec_lo, exec_lo, s37
	s_delay_alu instid0(SALU_CYCLE_1)
	s_or_b32 s37, s0, exec_lo
                                        ; implicit-def: $vgpr1
                                        ; implicit-def: $vgpr86
                                        ; implicit-def: $vgpr2_vgpr3
.LBB25_7533:
	s_or_saveexec_b32 s36, s36
	s_mov_b32 vcc_lo, s34
	s_xor_b32 exec_lo, exec_lo, s36
	s_cbranch_execz .LBB25_7543
; %bb.7534:
	s_mov_b32 s38, s37
	s_mov_b32 s39, s34
	s_mov_b32 s48, exec_lo
	v_cmpx_lt_i16_e32 14, v1
	s_xor_b32 s48, exec_lo, s48
	s_cbranch_execz .LBB25_7538
; %bb.7535:
	s_mov_b32 s49, -1
	s_mov_b32 s38, s37
	s_mov_b32 s39, exec_lo
	v_cmpx_eq_u16_e32 15, v1
	s_cbranch_execz .LBB25_7537
; %bb.7536:
	v_bfe_u32 v1, v86, 16, 1
	v_cmp_o_f32_e32 vcc_lo, v86, v86
	s_xor_b32 s49, exec_lo, -1
	s_or_b32 s38, s37, exec_lo
	s_delay_alu instid0(VALU_DEP_2) | instskip(NEXT) | instid1(VALU_DEP_1)
	v_add3_u32 v1, v86, v1, 0x7fff
	v_lshrrev_b32_e32 v1, 16, v1
	s_delay_alu instid0(VALU_DEP_1)
	v_cndmask_b32_e32 v1, 0x7fc0, v1, vcc_lo
	flat_store_b16 v[2:3], v1
.LBB25_7537:
	s_wait_xcnt 0x0
	s_or_b32 exec_lo, exec_lo, s39
	s_delay_alu instid0(SALU_CYCLE_1)
	s_and_not1_b32 vcc_lo, s34, exec_lo
	s_and_b32 s39, s49, exec_lo
	s_and_not1_b32 s49, s37, exec_lo
	s_and_b32 s38, s38, exec_lo
	s_or_b32 s39, vcc_lo, s39
	s_or_b32 s38, s49, s38
                                        ; implicit-def: $vgpr1
                                        ; implicit-def: $vgpr86
                                        ; implicit-def: $vgpr2_vgpr3
.LBB25_7538:
	s_and_not1_saveexec_b32 s48, s48
	s_cbranch_execz .LBB25_7542
; %bb.7539:
	s_mov_b32 s50, -1
	s_mov_b32 s49, s38
	s_mov_b32 s51, exec_lo
	v_cmpx_eq_u16_e32 11, v1
	s_cbranch_execz .LBB25_7541
; %bb.7540:
	v_cmp_neq_f32_e32 vcc_lo, 0, v86
	s_xor_b32 s50, exec_lo, -1
	s_or_b32 s49, s38, exec_lo
	v_cndmask_b32_e64 v1, 0, 1, vcc_lo
	flat_store_b8 v[2:3], v1
.LBB25_7541:
	s_wait_xcnt 0x0
	s_or_b32 exec_lo, exec_lo, s51
	s_delay_alu instid0(SALU_CYCLE_1)
	s_and_not1_b32 vcc_lo, s39, exec_lo
	s_and_b32 s39, s50, exec_lo
	s_and_not1_b32 s38, s38, exec_lo
	s_and_b32 s49, s49, exec_lo
	s_or_b32 s39, vcc_lo, s39
	s_or_b32 s38, s38, s49
.LBB25_7542:
	s_or_b32 exec_lo, exec_lo, s48
	s_delay_alu instid0(SALU_CYCLE_1)
	s_and_not1_b32 vcc_lo, s34, exec_lo
	s_and_b32 s39, s39, exec_lo
	s_and_not1_b32 s37, s37, exec_lo
	s_and_b32 s38, s38, exec_lo
	s_or_b32 vcc_lo, vcc_lo, s39
	s_or_b32 s37, s37, s38
.LBB25_7543:
	s_or_b32 exec_lo, exec_lo, s36
	s_delay_alu instid0(SALU_CYCLE_1)
	s_and_not1_b32 s34, s34, exec_lo
	s_and_b32 vcc_lo, vcc_lo, exec_lo
	s_and_not1_b32 s0, s0, exec_lo
	s_and_b32 s36, s37, exec_lo
	s_or_b32 s34, s34, vcc_lo
	s_or_b32 s0, s0, s36
.LBB25_7544:
	s_or_b32 exec_lo, exec_lo, s35
	s_delay_alu instid0(SALU_CYCLE_1)
	s_and_not1_b32 vcc_lo, s94, exec_lo
	s_and_b32 s34, s34, exec_lo
	s_and_b32 s0, s0, exec_lo
	s_or_b32 s34, vcc_lo, s34
                                        ; implicit-def: $vgpr1
                                        ; implicit-def: $vgpr86
                                        ; implicit-def: $vgpr2_vgpr3
.LBB25_7545:
	s_and_not1_saveexec_b32 vcc_hi, vcc_hi
	s_cbranch_execz .LBB25_7587
; %bb.7546:
	s_mov_b32 s35, exec_lo
	v_cmpx_lt_i16_e32 4, v1
	s_xor_b32 s35, exec_lo, s35
	s_cbranch_execz .LBB25_7568
; %bb.7547:
	s_mov_b32 s36, exec_lo
	v_cmpx_lt_i16_e32 7, v1
	s_xor_b32 s36, exec_lo, s36
	;; [unrolled: 5-line block ×3, first 2 shown]
	s_cbranch_execz .LBB25_7554
; %bb.7549:
	v_cmp_lt_i16_e32 vcc_lo, 9, v1
	s_and_saveexec_b32 s38, vcc_lo
	s_delay_alu instid0(SALU_CYCLE_1)
	s_xor_b32 vcc_lo, exec_lo, s38
	s_cbranch_execz .LBB25_7551
; %bb.7550:
	v_cvt_f64_f32_e32 v[4:5], v86
	v_mov_b32_e32 v6, 0
                                        ; implicit-def: $vgpr86
	s_delay_alu instid0(VALU_DEP_1)
	v_mov_b32_e32 v7, v6
	flat_store_b128 v[2:3], v[4:7]
                                        ; implicit-def: $vgpr2_vgpr3
.LBB25_7551:
	s_wait_xcnt 0x0
	s_and_not1_saveexec_b32 vcc_lo, vcc_lo
	s_cbranch_execz .LBB25_7553
; %bb.7552:
	s_wait_loadcnt 0x0
	v_mov_b32_e32 v87, 0
	flat_store_b64 v[2:3], v[86:87]
.LBB25_7553:
	s_wait_xcnt 0x0
	s_or_b32 exec_lo, exec_lo, vcc_lo
                                        ; implicit-def: $vgpr86
                                        ; implicit-def: $vgpr2_vgpr3
.LBB25_7554:
	s_and_not1_saveexec_b32 vcc_lo, s37
	s_cbranch_execz .LBB25_7556
; %bb.7555:
	v_cvt_f16_f32_e32 v1, v86
	s_delay_alu instid0(VALU_DEP_1)
	v_and_b32_e32 v1, 0xffff, v1
	flat_store_b32 v[2:3], v1
.LBB25_7556:
	s_wait_xcnt 0x0
	s_or_b32 exec_lo, exec_lo, vcc_lo
                                        ; implicit-def: $vgpr86
                                        ; implicit-def: $vgpr2_vgpr3
                                        ; implicit-def: $vgpr1
.LBB25_7557:
	s_and_not1_saveexec_b32 s36, s36
	s_cbranch_execz .LBB25_7567
; %bb.7558:
	s_mov_b32 s37, exec_lo
	v_cmpx_lt_i16_e32 5, v1
	s_xor_b32 s37, exec_lo, s37
	s_cbranch_execz .LBB25_7564
; %bb.7559:
	v_cmp_lt_i16_e32 vcc_lo, 6, v1
	s_and_saveexec_b32 s38, vcc_lo
	s_delay_alu instid0(SALU_CYCLE_1)
	s_xor_b32 vcc_lo, exec_lo, s38
	s_cbranch_execz .LBB25_7561
; %bb.7560:
	v_cvt_f64_f32_e32 v[4:5], v86
                                        ; implicit-def: $vgpr86
	flat_store_b64 v[2:3], v[4:5]
                                        ; implicit-def: $vgpr2_vgpr3
.LBB25_7561:
	s_wait_xcnt 0x0
	s_and_not1_saveexec_b32 vcc_lo, vcc_lo
	s_cbranch_execz .LBB25_7563
; %bb.7562:
	flat_store_b32 v[2:3], v86
.LBB25_7563:
	s_wait_xcnt 0x0
	s_or_b32 exec_lo, exec_lo, vcc_lo
                                        ; implicit-def: $vgpr86
                                        ; implicit-def: $vgpr2_vgpr3
.LBB25_7564:
	s_and_not1_saveexec_b32 vcc_lo, s37
	s_cbranch_execz .LBB25_7566
; %bb.7565:
	v_cvt_f16_f32_e32 v1, v86
	flat_store_b16 v[2:3], v1
.LBB25_7566:
	s_wait_xcnt 0x0
	s_or_b32 exec_lo, exec_lo, vcc_lo
.LBB25_7567:
	s_delay_alu instid0(SALU_CYCLE_1)
	s_or_b32 exec_lo, exec_lo, s36
                                        ; implicit-def: $vgpr1
                                        ; implicit-def: $vgpr86
                                        ; implicit-def: $vgpr2_vgpr3
.LBB25_7568:
	s_and_not1_saveexec_b32 s35, s35
	s_cbranch_execz .LBB25_7586
; %bb.7569:
	s_mov_b32 s36, exec_lo
	v_cmpx_lt_i16_e32 1, v1
	s_xor_b32 s36, exec_lo, s36
	s_cbranch_execz .LBB25_7579
; %bb.7570:
	s_mov_b32 s37, exec_lo
	v_cmpx_lt_i16_e32 2, v1
	s_xor_b32 s37, exec_lo, s37
	s_cbranch_execz .LBB25_7576
; %bb.7571:
	v_cmp_lt_i16_e32 vcc_lo, 3, v1
	s_and_saveexec_b32 s38, vcc_lo
	s_delay_alu instid0(SALU_CYCLE_1)
	s_xor_b32 vcc_lo, exec_lo, s38
	s_cbranch_execz .LBB25_7573
; %bb.7572:
	v_trunc_f32_e32 v1, v86
                                        ; implicit-def: $vgpr86
	s_delay_alu instid0(VALU_DEP_1) | instskip(NEXT) | instid1(VALU_DEP_1)
	v_mul_f32_e64 v4, 0x2f800000, |v1|
	v_floor_f32_e32 v5, v4
	v_ashrrev_i32_e32 v4, 31, v1
	s_delay_alu instid0(VALU_DEP_2) | instskip(SKIP_1) | instid1(VALU_DEP_3)
	v_fma_f32 v6, 0xcf800000, v5, |v1|
	v_cvt_u32_f32_e32 v1, v5
	v_mov_b32_e32 v5, v4
	s_delay_alu instid0(VALU_DEP_3) | instskip(NEXT) | instid1(VALU_DEP_3)
	v_cvt_u32_f32_e32 v6, v6
	v_xor_b32_e32 v7, v1, v4
	s_delay_alu instid0(VALU_DEP_2) | instskip(NEXT) | instid1(VALU_DEP_1)
	v_xor_b32_e32 v6, v6, v4
	v_sub_nc_u64_e32 v[4:5], v[6:7], v[4:5]
	flat_store_b64 v[2:3], v[4:5]
                                        ; implicit-def: $vgpr2_vgpr3
.LBB25_7573:
	s_wait_xcnt 0x0
	s_and_not1_saveexec_b32 vcc_lo, vcc_lo
	s_cbranch_execz .LBB25_7575
; %bb.7574:
	v_cvt_i32_f32_e32 v1, v86
	flat_store_b32 v[2:3], v1
.LBB25_7575:
	s_wait_xcnt 0x0
	s_or_b32 exec_lo, exec_lo, vcc_lo
                                        ; implicit-def: $vgpr86
                                        ; implicit-def: $vgpr2_vgpr3
.LBB25_7576:
	s_and_not1_saveexec_b32 vcc_lo, s37
	s_cbranch_execz .LBB25_7578
; %bb.7577:
	v_cvt_i32_f32_e32 v1, v86
	flat_store_b16 v[2:3], v1
.LBB25_7578:
	s_wait_xcnt 0x0
	s_or_b32 exec_lo, exec_lo, vcc_lo
                                        ; implicit-def: $vgpr86
                                        ; implicit-def: $vgpr2_vgpr3
                                        ; implicit-def: $vgpr1
.LBB25_7579:
	s_and_not1_saveexec_b32 s36, s36
	s_cbranch_execz .LBB25_7585
; %bb.7580:
	v_cmp_lt_i16_e32 vcc_lo, 0, v1
	s_and_saveexec_b32 s37, vcc_lo
	s_delay_alu instid0(SALU_CYCLE_1)
	s_xor_b32 vcc_lo, exec_lo, s37
	s_cbranch_execz .LBB25_7582
; %bb.7581:
	v_cvt_i32_f32_e32 v1, v86
                                        ; implicit-def: $vgpr86
	flat_store_b8 v[2:3], v1
                                        ; implicit-def: $vgpr2_vgpr3
.LBB25_7582:
	s_wait_xcnt 0x0
	s_and_not1_saveexec_b32 vcc_lo, vcc_lo
	s_cbranch_execz .LBB25_7584
; %bb.7583:
	v_trunc_f32_e32 v1, v86
	s_delay_alu instid0(VALU_DEP_1) | instskip(NEXT) | instid1(VALU_DEP_1)
	v_mul_f32_e64 v4, 0x2f800000, |v1|
	v_floor_f32_e32 v4, v4
	s_delay_alu instid0(VALU_DEP_1) | instskip(SKIP_1) | instid1(VALU_DEP_2)
	v_fma_f32 v4, 0xcf800000, v4, |v1|
	v_ashrrev_i32_e32 v1, 31, v1
	v_cvt_u32_f32_e32 v4, v4
	s_delay_alu instid0(VALU_DEP_1) | instskip(NEXT) | instid1(VALU_DEP_1)
	v_xor_b32_e32 v4, v4, v1
	v_sub_nc_u32_e32 v1, v4, v1
	flat_store_b8 v[2:3], v1
.LBB25_7584:
	s_wait_xcnt 0x0
	s_or_b32 exec_lo, exec_lo, vcc_lo
.LBB25_7585:
	s_delay_alu instid0(SALU_CYCLE_1)
	s_or_b32 exec_lo, exec_lo, s36
.LBB25_7586:
	s_delay_alu instid0(SALU_CYCLE_1) | instskip(NEXT) | instid1(SALU_CYCLE_1)
	s_or_b32 exec_lo, exec_lo, s35
	s_or_b32 s0, s0, exec_lo
.LBB25_7587:
	s_or_b32 exec_lo, exec_lo, vcc_hi
	s_mov_b32 s35, 0
	s_mov_b32 vcc_lo, 0
	s_and_saveexec_b32 vcc_hi, s0
; %bb.7588:
	v_add_nc_u32_e32 v209, 0x200, v209
	s_mov_b32 s35, exec_lo
	s_delay_alu instid0(VALU_DEP_1)
	v_cmp_lt_i32_e32 vcc_lo, v209, v211
	s_and_b32 vcc_lo, vcc_lo, exec_lo
; %bb.7589:
	s_or_b32 exec_lo, exec_lo, vcc_hi
	s_delay_alu instid0(SALU_CYCLE_1)
	s_and_not1_b32 vcc_hi, s94, exec_lo
	s_and_b32 s34, s34, exec_lo
	s_and_b32 s0, vcc_lo, exec_lo
	s_or_b32 vcc_hi, vcc_hi, s34
	s_or_not1_b32 s36, s35, exec_lo
.LBB25_7590:
	s_or_b32 exec_lo, exec_lo, s30
	s_mov_b32 s34, 0
	s_mov_b32 s35, 0
                                        ; implicit-def: $vgpr4
                                        ; implicit-def: $vgpr2_vgpr3
	s_and_saveexec_b32 s30, s36
	s_cbranch_execz .LBB25_7802
; %bb.7591:
	s_mov_b32 vcc_lo, 0
	s_mov_b32 s35, -1
	s_mov_b32 s36, vcc_hi
	s_mov_b32 s37, 0
                                        ; implicit-def: $vgpr4
                                        ; implicit-def: $vgpr2_vgpr3
	s_and_saveexec_b32 s31, s0
	s_cbranch_execz .LBB25_7801
; %bb.7592:
	v_dual_add_nc_u32 v1, s60, v209 :: v_dual_mov_b32 v3, 0
	v_and_b32_e32 v4, 0xff, v85
	s_mov_b32 s0, 0
	s_mov_b32 s34, vcc_hi
	s_delay_alu instid0(VALU_DEP_2) | instskip(SKIP_1) | instid1(VALU_DEP_1)
	v_mul_lo_u32 v2, v1, v210
	s_mov_b32 s35, exec_lo
	v_add_nc_u64_e32 v[2:3], v[212:213], v[2:3]
	v_cmpx_lt_i16_e32 10, v4
	s_xor_b32 s35, exec_lo, s35
	s_cbranch_execz .LBB25_7674
; %bb.7593:
	s_mov_b32 s34, vcc_hi
	s_mov_b32 s36, exec_lo
	v_cmpx_lt_i16_e32 25, v4
	s_xor_b32 s36, exec_lo, s36
	s_cbranch_execz .LBB25_7629
; %bb.7594:
	s_mov_b32 s37, vcc_hi
	s_mov_b32 s34, exec_lo
	v_cmpx_lt_i16_e32 28, v4
	s_xor_b32 s34, exec_lo, s34
	s_cbranch_execz .LBB25_7612
; %bb.7595:
	s_mov_b32 s39, vcc_hi
	s_mov_b32 s37, exec_lo
	v_cmpx_lt_i16_e32 43, v4
	s_xor_b32 s37, exec_lo, s37
	s_cbranch_execz .LBB25_7607
; %bb.7596:
	s_mov_b32 s38, 0
	s_mov_b32 s39, vcc_hi
	s_mov_b32 s0, exec_lo
	v_cmpx_lt_i16_e32 45, v4
	s_xor_b32 s0, exec_lo, s0
	s_cbranch_execz .LBB25_7600
; %bb.7597:
	s_mov_b32 s48, -1
	s_mov_b32 s39, exec_lo
	v_cmpx_eq_u16_e32 46, v4
	s_cbranch_execz .LBB25_7599
; %bb.7598:
	v_bfe_u32 v1, v84, 16, 1
	v_cmp_o_f32_e32 vcc_lo, v84, v84
	s_mov_b32 s38, exec_lo
	s_xor_b32 s48, exec_lo, -1
	s_delay_alu instid0(VALU_DEP_2) | instskip(NEXT) | instid1(VALU_DEP_1)
	v_add3_u32 v1, v84, v1, 0x7fff
	v_lshrrev_b32_e32 v1, 16, v1
	s_delay_alu instid0(VALU_DEP_1)
	v_cndmask_b32_e32 v1, 0x7fc0, v1, vcc_lo
	flat_store_b32 v[2:3], v1
.LBB25_7599:
	s_wait_xcnt 0x0
	s_or_b32 exec_lo, exec_lo, s39
	s_delay_alu instid0(SALU_CYCLE_1)
	s_and_not1_b32 vcc_lo, vcc_hi, exec_lo
	s_and_b32 s39, s48, exec_lo
	s_and_b32 s38, s38, exec_lo
	s_or_b32 s39, vcc_lo, s39
                                        ; implicit-def: $vgpr2_vgpr3
                                        ; implicit-def: $vgpr84
.LBB25_7600:
	s_and_not1_saveexec_b32 s48, s0
	s_cbranch_execz .LBB25_7606
; %bb.7601:
	s_mov_b32 s50, -1
	s_mov_b32 s0, s38
	s_mov_b32 s49, exec_lo
	v_cmpx_eq_u16_e32 44, v4
	s_cbranch_execz .LBB25_7605
; %bb.7602:
	v_bfe_u32 v5, v84, 23, 8
	v_mov_b32_e32 v1, 0xff
	s_mov_b32 s50, exec_lo
	s_delay_alu instid0(VALU_DEP_2)
	v_cmpx_ne_u32_e32 0xff, v5
	s_cbranch_execz .LBB25_7604
; %bb.7603:
	v_and_b32_e32 v1, 0x400000, v84
	v_and_or_b32 v5, 0x3fffff, v84, v5
	s_delay_alu instid0(VALU_DEP_2) | instskip(NEXT) | instid1(VALU_DEP_2)
	v_cmp_ne_u32_e32 vcc_lo, 0, v1
	v_cmp_ne_u32_e64 s0, 0, v5
	v_lshrrev_b32_e32 v1, 23, v84
	s_and_b32 s0, vcc_lo, s0
	s_delay_alu instid0(SALU_CYCLE_1) | instskip(NEXT) | instid1(VALU_DEP_1)
	v_cndmask_b32_e64 v5, 0, 1, s0
	v_add_nc_u32_e32 v1, v1, v5
.LBB25_7604:
	s_or_b32 exec_lo, exec_lo, s50
	s_delay_alu instid0(SALU_CYCLE_1)
	s_xor_b32 s50, exec_lo, -1
	s_or_b32 s0, s38, exec_lo
	flat_store_b8 v[2:3], v1
.LBB25_7605:
	s_wait_xcnt 0x0
	s_or_b32 exec_lo, exec_lo, s49
	s_delay_alu instid0(SALU_CYCLE_1)
	s_and_not1_b32 vcc_lo, s39, exec_lo
	s_and_b32 s39, s50, exec_lo
	s_and_not1_b32 s38, s38, exec_lo
	s_and_b32 s0, s0, exec_lo
	s_or_b32 s39, vcc_lo, s39
	s_or_b32 s38, s38, s0
.LBB25_7606:
	s_or_b32 exec_lo, exec_lo, s48
	s_delay_alu instid0(SALU_CYCLE_1) | instskip(SKIP_1) | instid1(SALU_CYCLE_1)
	s_and_not1_b32 s0, vcc_hi, exec_lo
	s_and_b32 vcc_lo, s39, exec_lo
                                        ; implicit-def: $vgpr84
                                        ; implicit-def: $vgpr2_vgpr3
	s_or_b32 s39, s0, vcc_lo
	s_and_b32 s0, s38, exec_lo
.LBB25_7607:
	s_and_not1_saveexec_b32 s37, s37
	s_cbranch_execz .LBB25_7611
; %bb.7608:
	s_mov_b32 s49, -1
	s_mov_b32 s48, s0
	s_mov_b32 s38, exec_lo
	v_cmpx_eq_u16_e32 29, v4
	s_cbranch_execz .LBB25_7610
; %bb.7609:
	v_trunc_f32_e32 v1, v84
	s_xor_b32 s49, exec_lo, -1
	s_or_b32 s48, s0, exec_lo
	s_delay_alu instid0(VALU_DEP_1) | instskip(NEXT) | instid1(VALU_DEP_1)
	v_mul_f32_e32 v5, 0x2f800000, v1
	v_floor_f32_e32 v5, v5
	s_delay_alu instid0(VALU_DEP_1) | instskip(SKIP_1) | instid1(VALU_DEP_2)
	v_fmamk_f32 v1, v5, 0xcf800000, v1
	v_cvt_u32_f32_e32 v7, v5
	v_cvt_u32_f32_e32 v6, v1
	flat_store_b64 v[2:3], v[6:7]
.LBB25_7610:
	s_wait_xcnt 0x0
	s_or_b32 exec_lo, exec_lo, s38
	s_delay_alu instid0(SALU_CYCLE_1)
	s_and_not1_b32 vcc_lo, s39, exec_lo
	s_and_b32 s38, s49, exec_lo
	s_and_not1_b32 s0, s0, exec_lo
	s_and_b32 s48, s48, exec_lo
	s_or_b32 s39, vcc_lo, s38
	s_or_b32 s0, s0, s48
.LBB25_7611:
	s_or_b32 exec_lo, exec_lo, s37
	s_delay_alu instid0(SALU_CYCLE_1)
	s_and_not1_b32 vcc_lo, vcc_hi, exec_lo
	s_and_b32 s37, s39, exec_lo
	s_and_b32 s0, s0, exec_lo
	s_or_b32 s37, vcc_lo, s37
                                        ; implicit-def: $vgpr2_vgpr3
                                        ; implicit-def: $vgpr84
.LBB25_7612:
	s_and_not1_saveexec_b32 s34, s34
	s_cbranch_execz .LBB25_7628
; %bb.7613:
	s_mov_b32 s38, exec_lo
	v_cmpx_lt_i16_e32 26, v4
	s_xor_b32 s38, exec_lo, s38
	s_cbranch_execz .LBB25_7619
; %bb.7614:
	v_cmp_lt_i16_e32 vcc_lo, 27, v4
	v_cvt_u32_f32_e32 v1, v84
	s_and_saveexec_b32 s39, vcc_lo
	s_delay_alu instid0(SALU_CYCLE_1)
	s_xor_b32 vcc_lo, exec_lo, s39
	s_cbranch_execz .LBB25_7616
; %bb.7615:
	flat_store_b32 v[2:3], v1
                                        ; implicit-def: $vgpr2_vgpr3
                                        ; implicit-def: $vgpr1
.LBB25_7616:
	s_wait_xcnt 0x0
	s_and_not1_saveexec_b32 vcc_lo, vcc_lo
	s_cbranch_execz .LBB25_7618
; %bb.7617:
	flat_store_b16 v[2:3], v1
.LBB25_7618:
	s_wait_xcnt 0x0
	s_or_b32 exec_lo, exec_lo, vcc_lo
                                        ; implicit-def: $vgpr2_vgpr3
                                        ; implicit-def: $vgpr84
.LBB25_7619:
	s_and_not1_saveexec_b32 s38, s38
	s_cbranch_execz .LBB25_7627
; %bb.7620:
	v_and_b32_e32 v1, 0x7fffffff, v84
	v_mov_b32_e32 v5, 0x80
	s_mov_b32 s39, exec_lo
	s_delay_alu instid0(VALU_DEP_2)
	v_cmpx_gt_u32_e32 0x43800000, v1
	s_cbranch_execz .LBB25_7626
; %bb.7621:
	v_cmp_lt_u32_e32 vcc_lo, 0x3bffffff, v1
	s_mov_b32 s48, 0
                                        ; implicit-def: $vgpr1
	s_and_saveexec_b32 s49, vcc_lo
	s_delay_alu instid0(SALU_CYCLE_1)
	s_xor_b32 vcc_lo, exec_lo, s49
	s_cbranch_execnz .LBB25_7999
; %bb.7622:
	s_and_not1_saveexec_b32 s49, vcc_lo
	s_cbranch_execnz .LBB25_8000
.LBB25_7623:
	s_or_b32 exec_lo, exec_lo, s49
	v_mov_b32_e32 v5, 0
	s_and_saveexec_b32 vcc_lo, s48
.LBB25_7624:
	v_lshrrev_b32_e32 v5, 24, v84
	s_delay_alu instid0(VALU_DEP_1)
	v_and_or_b32 v5, 0x80, v5, v1
.LBB25_7625:
	s_or_b32 exec_lo, exec_lo, vcc_lo
.LBB25_7626:
	s_delay_alu instid0(SALU_CYCLE_1)
	s_or_b32 exec_lo, exec_lo, s39
	flat_store_b8 v[2:3], v5
.LBB25_7627:
	s_wait_xcnt 0x0
	s_or_b32 exec_lo, exec_lo, s38
	s_delay_alu instid0(SALU_CYCLE_1)
	s_or_b32 s0, s0, exec_lo
.LBB25_7628:
	s_or_b32 exec_lo, exec_lo, s34
	s_delay_alu instid0(SALU_CYCLE_1)
	s_and_not1_b32 vcc_lo, vcc_hi, exec_lo
	s_and_b32 s34, s37, exec_lo
	s_and_b32 s0, s0, exec_lo
	s_or_b32 s34, vcc_lo, s34
                                        ; implicit-def: $vgpr84
                                        ; implicit-def: $vgpr2_vgpr3
.LBB25_7629:
	s_and_not1_saveexec_b32 s36, s36
	s_cbranch_execz .LBB25_7673
; %bb.7630:
	s_mov_b32 s38, s0
	s_mov_b32 s37, exec_lo
	v_cmpx_lt_i16_e32 22, v4
	s_xor_b32 s37, exec_lo, s37
	s_cbranch_execz .LBB25_7662
; %bb.7631:
	s_mov_b32 s38, exec_lo
	v_cmpx_lt_i16_e32 23, v4
	s_xor_b32 s38, exec_lo, s38
	s_cbranch_execz .LBB25_7651
; %bb.7632:
	;; [unrolled: 5-line block ×3, first 2 shown]
	v_and_b32_e32 v1, 0x7fffffff, v84
	v_mov_b32_e32 v5, 0x80
	s_mov_b32 s48, exec_lo
	s_delay_alu instid0(VALU_DEP_2)
	v_cmpx_gt_u32_e32 0x47800000, v1
	s_cbranch_execz .LBB25_7639
; %bb.7634:
	v_cmp_lt_u32_e32 vcc_lo, 0x37ffffff, v1
	s_mov_b32 s49, 0
                                        ; implicit-def: $vgpr1
	s_and_saveexec_b32 s50, vcc_lo
	s_delay_alu instid0(SALU_CYCLE_1)
	s_xor_b32 vcc_lo, exec_lo, s50
	s_cbranch_execnz .LBB25_8001
; %bb.7635:
	s_and_not1_saveexec_b32 s50, vcc_lo
	s_cbranch_execnz .LBB25_8002
.LBB25_7636:
	s_or_b32 exec_lo, exec_lo, s50
	v_mov_b32_e32 v5, 0
	s_and_saveexec_b32 vcc_lo, s49
.LBB25_7637:
	v_lshrrev_b32_e32 v5, 24, v84
	s_delay_alu instid0(VALU_DEP_1)
	v_and_or_b32 v5, 0x80, v5, v1
.LBB25_7638:
	s_or_b32 exec_lo, exec_lo, vcc_lo
.LBB25_7639:
	s_delay_alu instid0(SALU_CYCLE_1)
	s_or_b32 exec_lo, exec_lo, s48
	flat_store_b8 v[2:3], v5
                                        ; implicit-def: $vgpr84
                                        ; implicit-def: $vgpr2_vgpr3
.LBB25_7640:
	s_wait_xcnt 0x0
	s_and_not1_saveexec_b32 s39, s39
	s_cbranch_execz .LBB25_7650
; %bb.7641:
	v_and_b32_e32 v5, 0x7fffffff, v84
	s_mov_b32 s48, exec_lo
                                        ; implicit-def: $vgpr1
	s_delay_alu instid0(VALU_DEP_1)
	v_cmpx_gt_u32_e32 0x43f00000, v5
	s_xor_b32 s48, exec_lo, s48
	s_cbranch_execz .LBB25_7647
; %bb.7642:
	s_mov_b32 s49, exec_lo
                                        ; implicit-def: $vgpr1
	v_cmpx_lt_u32_e32 0x3c7fffff, v5
	s_xor_b32 s49, exec_lo, s49
; %bb.7643:
	v_bfe_u32 v1, v84, 20, 1
	s_delay_alu instid0(VALU_DEP_1) | instskip(NEXT) | instid1(VALU_DEP_1)
	v_add3_u32 v1, v84, v1, 0x407ffff
	v_and_b32_e32 v5, 0xff00000, v1
	v_lshrrev_b32_e32 v1, 20, v1
	s_delay_alu instid0(VALU_DEP_2) | instskip(NEXT) | instid1(VALU_DEP_2)
	v_cmp_ne_u32_e32 vcc_lo, 0x7f00000, v5
	v_cndmask_b32_e32 v1, 0x7e, v1, vcc_lo
; %bb.7644:
	s_and_not1_saveexec_b32 vcc_lo, s49
; %bb.7645:
	v_add_f32_e64 v1, 0x46800000, |v84|
; %bb.7646:
	s_or_b32 exec_lo, exec_lo, vcc_lo
                                        ; implicit-def: $vgpr5
.LBB25_7647:
	s_and_not1_saveexec_b32 s48, s48
; %bb.7648:
	v_mov_b32_e32 v1, 0x7f
	v_cmp_lt_u32_e32 vcc_lo, 0x7f800000, v5
	s_delay_alu instid0(VALU_DEP_2)
	v_cndmask_b32_e32 v1, 0x7e, v1, vcc_lo
; %bb.7649:
	s_or_b32 exec_lo, exec_lo, s48
	v_lshrrev_b32_e32 v5, 24, v84
	s_delay_alu instid0(VALU_DEP_1)
	v_and_or_b32 v1, 0x80, v5, v1
	flat_store_b8 v[2:3], v1
.LBB25_7650:
	s_wait_xcnt 0x0
	s_or_b32 exec_lo, exec_lo, s39
                                        ; implicit-def: $vgpr84
                                        ; implicit-def: $vgpr2_vgpr3
.LBB25_7651:
	s_and_not1_saveexec_b32 s38, s38
	s_cbranch_execz .LBB25_7661
; %bb.7652:
	v_and_b32_e32 v5, 0x7fffffff, v84
	s_mov_b32 s39, exec_lo
                                        ; implicit-def: $vgpr1
	s_delay_alu instid0(VALU_DEP_1)
	v_cmpx_gt_u32_e32 0x47800000, v5
	s_xor_b32 s39, exec_lo, s39
	s_cbranch_execz .LBB25_7658
; %bb.7653:
	v_cmp_lt_u32_e32 vcc_lo, 0x387fffff, v5
                                        ; implicit-def: $vgpr1
	s_and_saveexec_b32 s48, vcc_lo
	s_delay_alu instid0(SALU_CYCLE_1)
	s_xor_b32 vcc_lo, exec_lo, s48
; %bb.7654:
	v_bfe_u32 v1, v84, 21, 1
	s_delay_alu instid0(VALU_DEP_1) | instskip(NEXT) | instid1(VALU_DEP_1)
	v_add3_u32 v1, v84, v1, 0x80fffff
	v_lshrrev_b32_e32 v1, 21, v1
; %bb.7655:
	s_and_not1_saveexec_b32 vcc_lo, vcc_lo
; %bb.7656:
	v_add_f32_e64 v1, 0x43000000, |v84|
; %bb.7657:
	s_or_b32 exec_lo, exec_lo, vcc_lo
                                        ; implicit-def: $vgpr5
.LBB25_7658:
	s_and_not1_saveexec_b32 s39, s39
; %bb.7659:
	v_mov_b32_e32 v1, 0x7f
	v_cmp_lt_u32_e32 vcc_lo, 0x7f800000, v5
	s_delay_alu instid0(VALU_DEP_2)
	v_cndmask_b32_e32 v1, 0x7c, v1, vcc_lo
; %bb.7660:
	s_or_b32 exec_lo, exec_lo, s39
	v_lshrrev_b32_e32 v5, 24, v84
	s_delay_alu instid0(VALU_DEP_1)
	v_and_or_b32 v1, 0x80, v5, v1
	flat_store_b8 v[2:3], v1
.LBB25_7661:
	s_wait_xcnt 0x0
	s_or_b32 exec_lo, exec_lo, s38
	s_delay_alu instid0(SALU_CYCLE_1)
	s_or_b32 s38, s0, exec_lo
                                        ; implicit-def: $vgpr84
                                        ; implicit-def: $vgpr2_vgpr3
.LBB25_7662:
	s_or_saveexec_b32 s37, s37
	s_mov_b32 vcc_lo, s34
	s_xor_b32 exec_lo, exec_lo, s37
	s_cbranch_execz .LBB25_7672
; %bb.7663:
	s_mov_b32 s39, s38
	s_mov_b32 s48, s34
	s_mov_b32 s49, exec_lo
	v_cmpx_lt_i16_e32 14, v4
	s_xor_b32 s49, exec_lo, s49
	s_cbranch_execz .LBB25_7667
; %bb.7664:
	s_mov_b32 s50, -1
	s_mov_b32 s39, s38
	s_mov_b32 s48, exec_lo
	v_cmpx_eq_u16_e32 15, v4
	s_cbranch_execz .LBB25_7666
; %bb.7665:
	v_bfe_u32 v1, v84, 16, 1
	v_cmp_o_f32_e32 vcc_lo, v84, v84
	s_xor_b32 s50, exec_lo, -1
	s_or_b32 s39, s38, exec_lo
	s_delay_alu instid0(VALU_DEP_2) | instskip(NEXT) | instid1(VALU_DEP_1)
	v_add3_u32 v1, v84, v1, 0x7fff
	v_lshrrev_b32_e32 v1, 16, v1
	s_delay_alu instid0(VALU_DEP_1)
	v_cndmask_b32_e32 v1, 0x7fc0, v1, vcc_lo
	flat_store_b16 v[2:3], v1
.LBB25_7666:
	s_wait_xcnt 0x0
	s_or_b32 exec_lo, exec_lo, s48
	s_delay_alu instid0(SALU_CYCLE_1)
	s_and_not1_b32 vcc_lo, s34, exec_lo
	s_and_b32 s48, s50, exec_lo
	s_and_not1_b32 s50, s38, exec_lo
	s_and_b32 s39, s39, exec_lo
	s_or_b32 s48, vcc_lo, s48
	s_or_b32 s39, s50, s39
                                        ; implicit-def: $vgpr84
                                        ; implicit-def: $vgpr2_vgpr3
.LBB25_7667:
	s_and_not1_saveexec_b32 s49, s49
	s_cbranch_execz .LBB25_7671
; %bb.7668:
	s_mov_b32 s51, -1
	s_mov_b32 s50, s39
	s_mov_b32 s52, exec_lo
	v_cmpx_eq_u16_e32 11, v4
	s_cbranch_execz .LBB25_7670
; %bb.7669:
	v_cmp_neq_f32_e32 vcc_lo, 0, v84
	s_xor_b32 s51, exec_lo, -1
	s_or_b32 s50, s39, exec_lo
	v_cndmask_b32_e64 v1, 0, 1, vcc_lo
	flat_store_b8 v[2:3], v1
.LBB25_7670:
	s_wait_xcnt 0x0
	s_or_b32 exec_lo, exec_lo, s52
	s_delay_alu instid0(SALU_CYCLE_1)
	s_and_not1_b32 vcc_lo, s48, exec_lo
	s_and_b32 s48, s51, exec_lo
	s_and_not1_b32 s39, s39, exec_lo
	s_and_b32 s50, s50, exec_lo
	s_or_b32 s48, vcc_lo, s48
	s_or_b32 s39, s39, s50
.LBB25_7671:
	s_or_b32 exec_lo, exec_lo, s49
	s_delay_alu instid0(SALU_CYCLE_1)
	s_and_not1_b32 vcc_lo, s34, exec_lo
	s_and_b32 s48, s48, exec_lo
	s_and_not1_b32 s38, s38, exec_lo
	s_and_b32 s39, s39, exec_lo
	s_or_b32 vcc_lo, vcc_lo, s48
	s_or_b32 s38, s38, s39
.LBB25_7672:
	s_or_b32 exec_lo, exec_lo, s37
	s_delay_alu instid0(SALU_CYCLE_1)
	s_and_not1_b32 s34, s34, exec_lo
	s_and_b32 vcc_lo, vcc_lo, exec_lo
	s_and_not1_b32 s0, s0, exec_lo
	s_and_b32 s37, s38, exec_lo
	s_or_b32 s34, s34, vcc_lo
	s_or_b32 s0, s0, s37
.LBB25_7673:
	s_or_b32 exec_lo, exec_lo, s36
	s_delay_alu instid0(SALU_CYCLE_1)
	s_and_not1_b32 vcc_lo, vcc_hi, exec_lo
	s_and_b32 s34, s34, exec_lo
	s_and_b32 s0, s0, exec_lo
	s_or_b32 s34, vcc_lo, s34
                                        ; implicit-def: $vgpr84
                                        ; implicit-def: $vgpr2_vgpr3
.LBB25_7674:
	s_and_not1_saveexec_b32 s35, s35
	s_cbranch_execz .LBB25_7716
; %bb.7675:
	s_mov_b32 s36, exec_lo
	v_cmpx_lt_i16_e32 4, v4
	s_xor_b32 s36, exec_lo, s36
	s_cbranch_execz .LBB25_7697
; %bb.7676:
	s_mov_b32 s37, exec_lo
	v_cmpx_lt_i16_e32 7, v4
	s_xor_b32 s37, exec_lo, s37
	;; [unrolled: 5-line block ×3, first 2 shown]
	s_cbranch_execz .LBB25_7683
; %bb.7678:
	v_cmp_lt_i16_e32 vcc_lo, 9, v4
	s_and_saveexec_b32 s39, vcc_lo
	s_delay_alu instid0(SALU_CYCLE_1)
	s_xor_b32 vcc_lo, exec_lo, s39
	s_cbranch_execz .LBB25_7680
; %bb.7679:
	v_cvt_f64_f32_e32 v[6:7], v84
	v_mov_b32_e32 v8, 0
                                        ; implicit-def: $vgpr84
	s_delay_alu instid0(VALU_DEP_1)
	v_mov_b32_e32 v9, v8
	flat_store_b128 v[2:3], v[6:9]
                                        ; implicit-def: $vgpr2_vgpr3
.LBB25_7680:
	s_wait_xcnt 0x0
	s_and_not1_saveexec_b32 vcc_lo, vcc_lo
	s_cbranch_execz .LBB25_7682
; %bb.7681:
	v_mov_b32_e32 v85, 0
	flat_store_b64 v[2:3], v[84:85]
.LBB25_7682:
	s_wait_xcnt 0x0
	s_or_b32 exec_lo, exec_lo, vcc_lo
                                        ; implicit-def: $vgpr84
                                        ; implicit-def: $vgpr2_vgpr3
.LBB25_7683:
	s_and_not1_saveexec_b32 vcc_lo, s38
	s_cbranch_execz .LBB25_7685
; %bb.7684:
	v_cvt_f16_f32_e32 v1, v84
	s_delay_alu instid0(VALU_DEP_1)
	v_and_b32_e32 v1, 0xffff, v1
	flat_store_b32 v[2:3], v1
.LBB25_7685:
	s_wait_xcnt 0x0
	s_or_b32 exec_lo, exec_lo, vcc_lo
                                        ; implicit-def: $vgpr84
                                        ; implicit-def: $vgpr2_vgpr3
.LBB25_7686:
	s_and_not1_saveexec_b32 s37, s37
	s_cbranch_execz .LBB25_7696
; %bb.7687:
	s_mov_b32 s38, exec_lo
	v_cmpx_lt_i16_e32 5, v4
	s_xor_b32 s38, exec_lo, s38
	s_cbranch_execz .LBB25_7693
; %bb.7688:
	v_cmp_lt_i16_e32 vcc_lo, 6, v4
	s_and_saveexec_b32 s39, vcc_lo
	s_delay_alu instid0(SALU_CYCLE_1)
	s_xor_b32 vcc_lo, exec_lo, s39
	s_cbranch_execz .LBB25_7690
; %bb.7689:
	v_cvt_f64_f32_e32 v[6:7], v84
                                        ; implicit-def: $vgpr84
	flat_store_b64 v[2:3], v[6:7]
                                        ; implicit-def: $vgpr2_vgpr3
.LBB25_7690:
	s_wait_xcnt 0x0
	s_and_not1_saveexec_b32 vcc_lo, vcc_lo
	s_cbranch_execz .LBB25_7692
; %bb.7691:
	flat_store_b32 v[2:3], v84
.LBB25_7692:
	s_wait_xcnt 0x0
	s_or_b32 exec_lo, exec_lo, vcc_lo
                                        ; implicit-def: $vgpr84
                                        ; implicit-def: $vgpr2_vgpr3
.LBB25_7693:
	s_and_not1_saveexec_b32 vcc_lo, s38
	s_cbranch_execz .LBB25_7695
; %bb.7694:
	v_cvt_f16_f32_e32 v1, v84
	flat_store_b16 v[2:3], v1
.LBB25_7695:
	s_wait_xcnt 0x0
	s_or_b32 exec_lo, exec_lo, vcc_lo
.LBB25_7696:
	s_delay_alu instid0(SALU_CYCLE_1)
	s_or_b32 exec_lo, exec_lo, s37
                                        ; implicit-def: $vgpr84
                                        ; implicit-def: $vgpr2_vgpr3
.LBB25_7697:
	s_and_not1_saveexec_b32 s36, s36
	s_cbranch_execz .LBB25_7715
; %bb.7698:
	s_mov_b32 s37, exec_lo
	v_cmpx_lt_i16_e32 1, v4
	s_xor_b32 s37, exec_lo, s37
	s_cbranch_execz .LBB25_7708
; %bb.7699:
	s_mov_b32 s38, exec_lo
	v_cmpx_lt_i16_e32 2, v4
	s_xor_b32 s38, exec_lo, s38
	s_cbranch_execz .LBB25_7705
; %bb.7700:
	v_cmp_lt_i16_e32 vcc_lo, 3, v4
	s_and_saveexec_b32 s39, vcc_lo
	s_delay_alu instid0(SALU_CYCLE_1)
	s_xor_b32 vcc_lo, exec_lo, s39
	s_cbranch_execz .LBB25_7702
; %bb.7701:
	v_trunc_f32_e32 v1, v84
                                        ; implicit-def: $vgpr84
	s_delay_alu instid0(VALU_DEP_1) | instskip(SKIP_1) | instid1(VALU_DEP_2)
	v_mul_f32_e64 v5, 0x2f800000, |v1|
	v_ashrrev_i32_e32 v6, 31, v1
	v_floor_f32_e32 v5, v5
	s_delay_alu instid0(VALU_DEP_1) | instskip(SKIP_1) | instid1(VALU_DEP_2)
	v_fma_f32 v7, 0xcf800000, v5, |v1|
	v_cvt_u32_f32_e32 v1, v5
	v_cvt_u32_f32_e32 v5, v7
	s_delay_alu instid0(VALU_DEP_2) | instskip(NEXT) | instid1(VALU_DEP_2)
	v_dual_mov_b32 v7, v6 :: v_dual_bitop2_b32 v9, v1, v6 bitop3:0x14
	v_xor_b32_e32 v8, v5, v6
	s_delay_alu instid0(VALU_DEP_1)
	v_sub_nc_u64_e32 v[6:7], v[8:9], v[6:7]
	flat_store_b64 v[2:3], v[6:7]
                                        ; implicit-def: $vgpr2_vgpr3
.LBB25_7702:
	s_wait_xcnt 0x0
	s_and_not1_saveexec_b32 vcc_lo, vcc_lo
	s_cbranch_execz .LBB25_7704
; %bb.7703:
	v_cvt_i32_f32_e32 v1, v84
	flat_store_b32 v[2:3], v1
.LBB25_7704:
	s_wait_xcnt 0x0
	s_or_b32 exec_lo, exec_lo, vcc_lo
                                        ; implicit-def: $vgpr84
                                        ; implicit-def: $vgpr2_vgpr3
.LBB25_7705:
	s_and_not1_saveexec_b32 vcc_lo, s38
	s_cbranch_execz .LBB25_7707
; %bb.7706:
	v_cvt_i32_f32_e32 v1, v84
	flat_store_b16 v[2:3], v1
.LBB25_7707:
	s_wait_xcnt 0x0
	s_or_b32 exec_lo, exec_lo, vcc_lo
                                        ; implicit-def: $vgpr84
                                        ; implicit-def: $vgpr2_vgpr3
.LBB25_7708:
	s_and_not1_saveexec_b32 s37, s37
	s_cbranch_execz .LBB25_7714
; %bb.7709:
	v_cmp_lt_i16_e32 vcc_lo, 0, v4
	s_and_saveexec_b32 s38, vcc_lo
	s_delay_alu instid0(SALU_CYCLE_1)
	s_xor_b32 vcc_lo, exec_lo, s38
	s_cbranch_execz .LBB25_7711
; %bb.7710:
	v_cvt_i32_f32_e32 v1, v84
                                        ; implicit-def: $vgpr84
	flat_store_b8 v[2:3], v1
                                        ; implicit-def: $vgpr2_vgpr3
.LBB25_7711:
	s_wait_xcnt 0x0
	s_and_not1_saveexec_b32 vcc_lo, vcc_lo
	s_cbranch_execz .LBB25_7713
; %bb.7712:
	v_trunc_f32_e32 v1, v84
	s_delay_alu instid0(VALU_DEP_1) | instskip(NEXT) | instid1(VALU_DEP_1)
	v_mul_f32_e64 v5, 0x2f800000, |v1|
	v_floor_f32_e32 v5, v5
	s_delay_alu instid0(VALU_DEP_1) | instskip(SKIP_1) | instid1(VALU_DEP_2)
	v_fma_f32 v5, 0xcf800000, v5, |v1|
	v_ashrrev_i32_e32 v1, 31, v1
	v_cvt_u32_f32_e32 v5, v5
	s_delay_alu instid0(VALU_DEP_1) | instskip(NEXT) | instid1(VALU_DEP_1)
	v_xor_b32_e32 v5, v5, v1
	v_sub_nc_u32_e32 v1, v5, v1
	flat_store_b8 v[2:3], v1
.LBB25_7713:
	s_wait_xcnt 0x0
	s_or_b32 exec_lo, exec_lo, vcc_lo
.LBB25_7714:
	s_delay_alu instid0(SALU_CYCLE_1)
	s_or_b32 exec_lo, exec_lo, s37
.LBB25_7715:
	s_delay_alu instid0(SALU_CYCLE_1) | instskip(NEXT) | instid1(SALU_CYCLE_1)
	s_or_b32 exec_lo, exec_lo, s36
	s_or_b32 s0, s0, exec_lo
.LBB25_7716:
	s_or_b32 exec_lo, exec_lo, s35
	s_mov_b32 vcc_lo, 0
	s_mov_b32 s36, 0
	s_mov_b32 s37, 0
                                        ; implicit-def: $vgpr2_vgpr3
	s_and_saveexec_b32 s35, s0
	s_cbranch_execz .LBB25_7800
; %bb.7717:
	v_add_nc_u32_e32 v1, 0x200, v209
	s_mov_b32 s0, 0
	s_mov_b32 s37, -1
	s_mov_b32 s38, s34
	s_mov_b32 s39, 0
	s_mov_b32 s36, exec_lo
                                        ; implicit-def: $vgpr2_vgpr3
	v_cmpx_lt_i32_e64 v1, v211
	s_cbranch_execz .LBB25_7799
; %bb.7718:
	v_dual_add_nc_u32 v1, s60, v1 :: v_dual_mov_b32 v3, 0
	s_mov_b32 s39, -1
	s_mov_b32 s38, s34
	s_mov_b32 s37, 0
	s_delay_alu instid0(VALU_DEP_1) | instskip(SKIP_1) | instid1(VALU_DEP_1)
	v_mul_lo_u32 v2, v1, v210
	s_mov_b32 s60, exec_lo
	v_add_nc_u64_e32 v[2:3], v[212:213], v[2:3]
	v_cmpx_lt_i16_e32 10, v4
	s_cbranch_execz .LBB25_7798
; %bb.7719:
	s_mov_b32 s38, 0
	s_mov_b32 s0, s34
	s_mov_b32 s39, exec_lo
	v_cmpx_lt_i16_e32 25, v4
	s_xor_b32 s39, exec_lo, s39
	s_cbranch_execz .LBB25_7755
; %bb.7720:
	s_mov_b32 s0, 0
	s_mov_b32 s48, s34
	s_mov_b32 s37, exec_lo
	v_cmpx_lt_i16_e32 28, v4
	s_xor_b32 s37, exec_lo, s37
	s_cbranch_execz .LBB25_7738
; %bb.7721:
	s_mov_b32 s49, s34
	s_mov_b32 s48, exec_lo
	v_cmpx_lt_i16_e32 43, v4
	s_xor_b32 s48, exec_lo, s48
	s_cbranch_execz .LBB25_7733
; %bb.7722:
	s_mov_b32 s49, 0
	s_mov_b32 s50, s34
	s_mov_b32 s0, exec_lo
	v_cmpx_lt_i16_e32 45, v4
	s_xor_b32 s0, exec_lo, s0
	s_cbranch_execz .LBB25_7726
; %bb.7723:
	s_mov_b32 s50, -1
	s_mov_b32 s51, exec_lo
	v_cmpx_eq_u16_e32 46, v4
	s_cbranch_execz .LBB25_7725
; %bb.7724:
	v_bfe_u32 v1, v0, 16, 1
	v_cmp_o_f32_e32 vcc_lo, v0, v0
	s_mov_b32 s49, exec_lo
	s_xor_b32 s50, exec_lo, -1
	s_delay_alu instid0(VALU_DEP_2) | instskip(NEXT) | instid1(VALU_DEP_1)
	v_add3_u32 v1, v0, v1, 0x7fff
	v_lshrrev_b32_e32 v1, 16, v1
	s_delay_alu instid0(VALU_DEP_1)
	v_cndmask_b32_e32 v1, 0x7fc0, v1, vcc_lo
	flat_store_b32 v[2:3], v1
.LBB25_7725:
	s_wait_xcnt 0x0
	s_or_b32 exec_lo, exec_lo, s51
	s_delay_alu instid0(SALU_CYCLE_1)
	s_and_not1_b32 vcc_lo, s34, exec_lo
	s_and_b32 s50, s50, exec_lo
	s_and_b32 s49, s49, exec_lo
	s_or_b32 s50, vcc_lo, s50
.LBB25_7726:
	s_and_not1_saveexec_b32 s51, s0
	s_cbranch_execz .LBB25_7732
; %bb.7727:
	s_mov_b32 s0, -1
	s_mov_b32 s53, s49
	s_mov_b32 s52, exec_lo
	v_cmpx_eq_u16_e32 44, v4
	s_cbranch_execz .LBB25_7731
; %bb.7728:
	v_bfe_u32 v5, v0, 23, 8
	v_mov_b32_e32 v1, 0xff
	s_mov_b32 s53, exec_lo
	s_delay_alu instid0(VALU_DEP_2)
	v_cmpx_ne_u32_e32 0xff, v5
	s_cbranch_execz .LBB25_7730
; %bb.7729:
	v_and_b32_e32 v1, 0x400000, v0
	v_and_or_b32 v5, 0x3fffff, v0, v5
	s_delay_alu instid0(VALU_DEP_2) | instskip(NEXT) | instid1(VALU_DEP_2)
	v_cmp_ne_u32_e32 vcc_lo, 0, v1
	v_cmp_ne_u32_e64 s0, 0, v5
	v_lshrrev_b32_e32 v1, 23, v0
	s_and_b32 s0, vcc_lo, s0
	s_delay_alu instid0(SALU_CYCLE_1) | instskip(NEXT) | instid1(VALU_DEP_1)
	v_cndmask_b32_e64 v5, 0, 1, s0
	v_add_nc_u32_e32 v1, v1, v5
.LBB25_7730:
	s_or_b32 exec_lo, exec_lo, s53
	s_delay_alu instid0(SALU_CYCLE_1)
	s_or_b32 s53, s49, exec_lo
	s_xor_b32 s0, exec_lo, -1
	flat_store_b8 v[2:3], v1
.LBB25_7731:
	s_wait_xcnt 0x0
	s_or_b32 exec_lo, exec_lo, s52
	s_delay_alu instid0(SALU_CYCLE_1)
	s_and_not1_b32 vcc_lo, s49, exec_lo
	s_and_b32 s49, s53, exec_lo
	s_and_not1_b32 s50, s50, exec_lo
	s_and_b32 s0, s0, exec_lo
	s_or_b32 s49, vcc_lo, s49
	s_or_b32 s50, s50, s0
.LBB25_7732:
	s_or_b32 exec_lo, exec_lo, s51
	s_delay_alu instid0(SALU_CYCLE_1)
	s_and_not1_b32 vcc_lo, s34, exec_lo
	s_and_b32 s50, s50, exec_lo
	s_and_b32 s0, s49, exec_lo
	s_or_b32 s49, vcc_lo, s50
.LBB25_7733:
	s_and_not1_saveexec_b32 s48, s48
	s_cbranch_execz .LBB25_7737
; %bb.7734:
	s_mov_b32 s51, -1
	s_mov_b32 s52, s0
	s_mov_b32 s50, exec_lo
	v_cmpx_eq_u16_e32 29, v4
	s_cbranch_execz .LBB25_7736
; %bb.7735:
	v_trunc_f32_e32 v1, v0
	s_or_b32 s52, s0, exec_lo
	s_xor_b32 s51, exec_lo, -1
	s_delay_alu instid0(VALU_DEP_1) | instskip(NEXT) | instid1(VALU_DEP_1)
	v_mul_f32_e32 v5, 0x2f800000, v1
	v_floor_f32_e32 v5, v5
	s_delay_alu instid0(VALU_DEP_1) | instskip(SKIP_1) | instid1(VALU_DEP_2)
	v_fmamk_f32 v1, v5, 0xcf800000, v1
	v_cvt_u32_f32_e32 v7, v5
	v_cvt_u32_f32_e32 v6, v1
	flat_store_b64 v[2:3], v[6:7]
.LBB25_7736:
	s_wait_xcnt 0x0
	s_or_b32 exec_lo, exec_lo, s50
	s_delay_alu instid0(SALU_CYCLE_1)
	s_and_not1_b32 s0, s0, exec_lo
	s_and_b32 vcc_lo, s52, exec_lo
	s_and_not1_b32 s49, s49, exec_lo
	s_and_b32 s50, s51, exec_lo
	s_or_b32 s0, s0, vcc_lo
	s_or_b32 s49, s49, s50
.LBB25_7737:
	s_or_b32 exec_lo, exec_lo, s48
	s_delay_alu instid0(SALU_CYCLE_1)
	s_and_not1_b32 vcc_lo, s34, exec_lo
	s_and_b32 s48, s49, exec_lo
	s_and_b32 s0, s0, exec_lo
	s_or_b32 s48, vcc_lo, s48
.LBB25_7738:
	s_and_not1_saveexec_b32 s37, s37
	s_cbranch_execz .LBB25_7754
; %bb.7739:
	s_mov_b32 s49, exec_lo
	v_cmpx_lt_i16_e32 26, v4
	s_xor_b32 s49, exec_lo, s49
	s_cbranch_execz .LBB25_7745
; %bb.7740:
	v_cmp_lt_i16_e32 vcc_lo, 27, v4
	v_cvt_u32_f32_e32 v1, v0
	s_and_saveexec_b32 s50, vcc_lo
	s_delay_alu instid0(SALU_CYCLE_1)
	s_xor_b32 vcc_lo, exec_lo, s50
	s_cbranch_execz .LBB25_7742
; %bb.7741:
	flat_store_b32 v[2:3], v1
                                        ; implicit-def: $vgpr1
.LBB25_7742:
	s_wait_xcnt 0x0
	s_and_not1_saveexec_b32 vcc_lo, vcc_lo
	s_cbranch_execz .LBB25_7744
; %bb.7743:
	flat_store_b16 v[2:3], v1
.LBB25_7744:
	s_wait_xcnt 0x0
	s_or_b32 exec_lo, exec_lo, vcc_lo
.LBB25_7745:
	s_and_not1_saveexec_b32 s49, s49
	s_cbranch_execz .LBB25_7753
; %bb.7746:
	v_and_b32_e32 v1, 0x7fffffff, v0
	v_mov_b32_e32 v5, 0x80
	s_mov_b32 s50, exec_lo
	s_delay_alu instid0(VALU_DEP_2)
	v_cmpx_gt_u32_e32 0x43800000, v1
	s_cbranch_execz .LBB25_7752
; %bb.7747:
	v_cmp_lt_u32_e32 vcc_lo, 0x3bffffff, v1
	s_mov_b32 s51, 0
                                        ; implicit-def: $vgpr1
	s_and_saveexec_b32 s52, vcc_lo
	s_delay_alu instid0(SALU_CYCLE_1)
	s_xor_b32 vcc_lo, exec_lo, s52
	s_cbranch_execnz .LBB25_8003
; %bb.7748:
	s_and_not1_saveexec_b32 s52, vcc_lo
	s_cbranch_execnz .LBB25_8004
.LBB25_7749:
	s_or_b32 exec_lo, exec_lo, s52
	v_mov_b32_e32 v5, 0
	s_and_saveexec_b32 vcc_lo, s51
.LBB25_7750:
	v_lshrrev_b32_e32 v5, 24, v0
	s_delay_alu instid0(VALU_DEP_1)
	v_and_or_b32 v5, 0x80, v5, v1
.LBB25_7751:
	s_or_b32 exec_lo, exec_lo, vcc_lo
.LBB25_7752:
	s_delay_alu instid0(SALU_CYCLE_1)
	s_or_b32 exec_lo, exec_lo, s50
	flat_store_b8 v[2:3], v5
.LBB25_7753:
	s_wait_xcnt 0x0
	s_or_b32 exec_lo, exec_lo, s49
	s_delay_alu instid0(SALU_CYCLE_1)
	s_or_b32 s0, s0, exec_lo
.LBB25_7754:
	s_or_b32 exec_lo, exec_lo, s37
	s_delay_alu instid0(SALU_CYCLE_1)
	s_and_not1_b32 vcc_lo, s34, exec_lo
	s_and_b32 s48, s48, exec_lo
	s_and_b32 s37, s0, exec_lo
	s_or_b32 s0, vcc_lo, s48
.LBB25_7755:
	s_and_not1_saveexec_b32 s39, s39
	s_cbranch_execz .LBB25_7797
; %bb.7756:
	s_mov_b32 s48, s37
	s_mov_b32 s38, exec_lo
	v_cmpx_lt_i16_e32 22, v4
	s_xor_b32 s38, exec_lo, s38
	s_cbranch_execz .LBB25_7788
; %bb.7757:
	s_mov_b32 s48, exec_lo
	v_cmpx_lt_i16_e32 23, v4
	s_xor_b32 s48, exec_lo, s48
	s_cbranch_execz .LBB25_7777
; %bb.7758:
	s_mov_b32 s49, exec_lo
	v_cmpx_lt_i16_e32 24, v4
	s_xor_b32 s49, exec_lo, s49
	s_cbranch_execz .LBB25_7766
; %bb.7759:
	v_and_b32_e32 v1, 0x7fffffff, v0
	v_mov_b32_e32 v5, 0x80
	s_mov_b32 s50, exec_lo
	s_delay_alu instid0(VALU_DEP_2)
	v_cmpx_gt_u32_e32 0x47800000, v1
	s_cbranch_execz .LBB25_7765
; %bb.7760:
	v_cmp_lt_u32_e32 vcc_lo, 0x37ffffff, v1
	s_mov_b32 s51, 0
                                        ; implicit-def: $vgpr1
	s_and_saveexec_b32 s52, vcc_lo
	s_delay_alu instid0(SALU_CYCLE_1)
	s_xor_b32 vcc_lo, exec_lo, s52
	s_cbranch_execnz .LBB25_8005
; %bb.7761:
	s_and_not1_saveexec_b32 s52, vcc_lo
	s_cbranch_execnz .LBB25_8006
.LBB25_7762:
	s_or_b32 exec_lo, exec_lo, s52
	v_mov_b32_e32 v5, 0
	s_and_saveexec_b32 vcc_lo, s51
.LBB25_7763:
	v_lshrrev_b32_e32 v5, 24, v0
	s_delay_alu instid0(VALU_DEP_1)
	v_and_or_b32 v5, 0x80, v5, v1
.LBB25_7764:
	s_or_b32 exec_lo, exec_lo, vcc_lo
.LBB25_7765:
	s_delay_alu instid0(SALU_CYCLE_1)
	s_or_b32 exec_lo, exec_lo, s50
	flat_store_b8 v[2:3], v5
.LBB25_7766:
	s_wait_xcnt 0x0
	s_and_not1_saveexec_b32 s49, s49
	s_cbranch_execz .LBB25_7776
; %bb.7767:
	v_and_b32_e32 v5, 0x7fffffff, v0
	s_mov_b32 s50, exec_lo
                                        ; implicit-def: $vgpr1
	s_delay_alu instid0(VALU_DEP_1)
	v_cmpx_gt_u32_e32 0x43f00000, v5
	s_xor_b32 s50, exec_lo, s50
	s_cbranch_execz .LBB25_7773
; %bb.7768:
	s_mov_b32 s51, exec_lo
                                        ; implicit-def: $vgpr1
	v_cmpx_lt_u32_e32 0x3c7fffff, v5
	s_xor_b32 s51, exec_lo, s51
; %bb.7769:
	v_bfe_u32 v1, v0, 20, 1
	s_delay_alu instid0(VALU_DEP_1) | instskip(NEXT) | instid1(VALU_DEP_1)
	v_add3_u32 v1, v0, v1, 0x407ffff
	v_and_b32_e32 v5, 0xff00000, v1
	v_lshrrev_b32_e32 v1, 20, v1
	s_delay_alu instid0(VALU_DEP_2) | instskip(NEXT) | instid1(VALU_DEP_2)
	v_cmp_ne_u32_e32 vcc_lo, 0x7f00000, v5
	v_cndmask_b32_e32 v1, 0x7e, v1, vcc_lo
; %bb.7770:
	s_and_not1_saveexec_b32 vcc_lo, s51
; %bb.7771:
	v_add_f32_e64 v1, 0x46800000, |v0|
; %bb.7772:
	s_or_b32 exec_lo, exec_lo, vcc_lo
                                        ; implicit-def: $vgpr5
.LBB25_7773:
	s_and_not1_saveexec_b32 s50, s50
; %bb.7774:
	v_mov_b32_e32 v1, 0x7f
	v_cmp_lt_u32_e32 vcc_lo, 0x7f800000, v5
	s_delay_alu instid0(VALU_DEP_2)
	v_cndmask_b32_e32 v1, 0x7e, v1, vcc_lo
; %bb.7775:
	s_or_b32 exec_lo, exec_lo, s50
	v_lshrrev_b32_e32 v5, 24, v0
	s_delay_alu instid0(VALU_DEP_1)
	v_and_or_b32 v1, 0x80, v5, v1
	flat_store_b8 v[2:3], v1
.LBB25_7776:
	s_wait_xcnt 0x0
	s_or_b32 exec_lo, exec_lo, s49
.LBB25_7777:
	s_and_not1_saveexec_b32 s48, s48
	s_cbranch_execz .LBB25_7787
; %bb.7778:
	v_and_b32_e32 v5, 0x7fffffff, v0
	s_mov_b32 s49, exec_lo
                                        ; implicit-def: $vgpr1
	s_delay_alu instid0(VALU_DEP_1)
	v_cmpx_gt_u32_e32 0x47800000, v5
	s_xor_b32 s49, exec_lo, s49
	s_cbranch_execz .LBB25_7784
; %bb.7779:
	v_cmp_lt_u32_e32 vcc_lo, 0x387fffff, v5
                                        ; implicit-def: $vgpr1
	s_and_saveexec_b32 s50, vcc_lo
	s_delay_alu instid0(SALU_CYCLE_1)
	s_xor_b32 vcc_lo, exec_lo, s50
; %bb.7780:
	v_bfe_u32 v1, v0, 21, 1
	s_delay_alu instid0(VALU_DEP_1) | instskip(NEXT) | instid1(VALU_DEP_1)
	v_add3_u32 v1, v0, v1, 0x80fffff
	v_lshrrev_b32_e32 v1, 21, v1
; %bb.7781:
	s_and_not1_saveexec_b32 vcc_lo, vcc_lo
; %bb.7782:
	v_add_f32_e64 v1, 0x43000000, |v0|
; %bb.7783:
	s_or_b32 exec_lo, exec_lo, vcc_lo
                                        ; implicit-def: $vgpr5
.LBB25_7784:
	s_and_not1_saveexec_b32 s49, s49
; %bb.7785:
	v_mov_b32_e32 v1, 0x7f
	v_cmp_lt_u32_e32 vcc_lo, 0x7f800000, v5
	s_delay_alu instid0(VALU_DEP_2)
	v_cndmask_b32_e32 v1, 0x7c, v1, vcc_lo
; %bb.7786:
	s_or_b32 exec_lo, exec_lo, s49
	v_lshrrev_b32_e32 v5, 24, v0
	s_delay_alu instid0(VALU_DEP_1)
	v_and_or_b32 v1, 0x80, v5, v1
	flat_store_b8 v[2:3], v1
.LBB25_7787:
	s_wait_xcnt 0x0
	s_or_b32 exec_lo, exec_lo, s48
	s_delay_alu instid0(SALU_CYCLE_1)
	s_or_b32 s48, s37, exec_lo
.LBB25_7788:
	s_or_saveexec_b32 s38, s38
	s_mov_b32 vcc_lo, 0
	s_mov_b32 s49, s0
	s_xor_b32 exec_lo, exec_lo, s38
	s_cbranch_execz .LBB25_7796
; %bb.7789:
	s_mov_b32 s50, s0
	s_mov_b32 s51, s48
	s_mov_b32 s49, exec_lo
	v_cmpx_lt_i16_e32 14, v4
	s_xor_b32 s49, exec_lo, s49
	s_cbranch_execz .LBB25_7793
; %bb.7790:
	s_mov_b32 s50, -1
	s_mov_b32 s52, s48
	s_mov_b32 s51, exec_lo
	v_cmpx_eq_u16_e32 15, v4
	s_cbranch_execz .LBB25_7792
; %bb.7791:
	v_bfe_u32 v1, v0, 16, 1
	v_cmp_o_f32_e32 vcc_lo, v0, v0
	s_or_b32 s52, s48, exec_lo
	s_xor_b32 s50, exec_lo, -1
	s_delay_alu instid0(VALU_DEP_2) | instskip(NEXT) | instid1(VALU_DEP_1)
	v_add3_u32 v1, v0, v1, 0x7fff
	v_lshrrev_b32_e32 v1, 16, v1
	s_delay_alu instid0(VALU_DEP_1)
	v_cndmask_b32_e32 v1, 0x7fc0, v1, vcc_lo
	flat_store_b16 v[2:3], v1
.LBB25_7792:
	s_wait_xcnt 0x0
	s_or_b32 exec_lo, exec_lo, s51
	s_delay_alu instid0(SALU_CYCLE_1)
	s_and_not1_b32 vcc_lo, s48, exec_lo
	s_and_b32 s51, s52, exec_lo
	s_and_not1_b32 s52, s0, exec_lo
	s_and_b32 s50, s50, exec_lo
	s_or_b32 s51, vcc_lo, s51
	s_or_b32 s50, s52, s50
.LBB25_7793:
	s_or_saveexec_b32 s52, s49
	s_mov_b32 s49, 0
	s_xor_b32 exec_lo, exec_lo, s52
; %bb.7794:
	v_cmp_ne_u16_e32 vcc_lo, 11, v4
	s_and_not1_b32 s50, s50, exec_lo
	s_mov_b32 s49, exec_lo
	s_and_b32 vcc_lo, vcc_lo, exec_lo
	s_delay_alu instid0(SALU_CYCLE_1)
	s_or_b32 s50, s50, vcc_lo
; %bb.7795:
	s_or_b32 exec_lo, exec_lo, s52
	s_delay_alu instid0(SALU_CYCLE_1)
	s_and_not1_b32 vcc_lo, s48, exec_lo
	s_and_b32 s48, s51, exec_lo
	s_and_not1_b32 s51, s0, exec_lo
	s_and_b32 s50, s50, exec_lo
	s_or_b32 s48, vcc_lo, s48
	s_and_b32 vcc_lo, s49, exec_lo
	s_or_b32 s49, s51, s50
.LBB25_7796:
	s_or_b32 exec_lo, exec_lo, s38
	s_delay_alu instid0(SALU_CYCLE_1)
	s_and_not1_b32 s37, s37, exec_lo
	s_and_b32 s38, s48, exec_lo
	s_and_not1_b32 s0, s0, exec_lo
	s_and_b32 s48, s49, exec_lo
	s_or_b32 s37, s37, s38
	s_and_b32 s38, vcc_lo, exec_lo
	s_or_b32 s0, s0, s48
.LBB25_7797:
	s_or_b32 exec_lo, exec_lo, s39
	s_delay_alu instid0(SALU_CYCLE_1)
	s_and_not1_b32 vcc_lo, s34, exec_lo
	s_and_b32 s48, s0, exec_lo
	s_and_b32 s37, s37, exec_lo
	s_xor_b32 s39, exec_lo, -1
	s_and_b32 s0, s38, exec_lo
	s_or_b32 s38, vcc_lo, s48
.LBB25_7798:
	s_or_b32 exec_lo, exec_lo, s60
	s_delay_alu instid0(SALU_CYCLE_1)
	s_and_not1_b32 s60, s34, exec_lo
	s_and_b32 vcc_lo, s38, exec_lo
	s_or_not1_b32 s37, s37, exec_lo
	s_and_b32 s39, s39, exec_lo
	s_and_b32 s0, s0, exec_lo
	s_or_b32 s38, s60, vcc_lo
.LBB25_7799:
	s_or_b32 exec_lo, exec_lo, s36
	s_delay_alu instid0(SALU_CYCLE_1)
	s_and_not1_b32 s60, s34, exec_lo
	s_and_b32 s34, s38, exec_lo
	s_and_b32 s37, s37, exec_lo
	;; [unrolled: 1-line block ×3, first 2 shown]
	s_and_b32 vcc_lo, s0, exec_lo
	s_or_b32 s34, s60, s34
.LBB25_7800:
	s_or_b32 exec_lo, exec_lo, s35
	s_delay_alu instid0(SALU_CYCLE_1)
	s_and_not1_b32 s0, vcc_hi, exec_lo
	s_and_b32 s60, s34, exec_lo
	s_or_not1_b32 s35, s37, exec_lo
	s_and_b32 s37, s36, exec_lo
	s_and_b32 vcc_lo, vcc_lo, exec_lo
	s_or_b32 s36, s0, s60
.LBB25_7801:
	s_or_b32 exec_lo, exec_lo, s31
	s_delay_alu instid0(SALU_CYCLE_1)
	s_and_not1_b32 s0, vcc_hi, exec_lo
	s_and_b32 s60, s36, exec_lo
	s_and_b32 s35, s35, exec_lo
	;; [unrolled: 1-line block ×3, first 2 shown]
	s_and_b32 s31, vcc_lo, exec_lo
	s_or_b32 vcc_hi, s0, s60
.LBB25_7802:
	s_or_b32 exec_lo, exec_lo, s30
	s_delay_alu instid0(SALU_CYCLE_1)
	s_and_not1_b32 s60, s94, exec_lo
	s_and_b32 s94, vcc_hi, exec_lo
	s_and_b32 s30, s35, exec_lo
	s_and_b32 s0, s34, exec_lo
	s_and_b32 vcc_hi, s31, exec_lo
	s_or_b32 s94, s60, s94
.LBB25_7803:
	s_or_b32 exec_lo, exec_lo, s95
	s_delay_alu instid0(SALU_CYCLE_1)
	s_and_b32 s95, s0, exec_lo
	s_and_not1_b32 s0, s92, exec_lo
	s_and_b32 s60, s94, exec_lo
	s_and_b32 vcc_lo, s30, exec_lo
	s_and_b32 s94, vcc_hi, exec_lo
	s_or_b32 s92, s0, s60
.LBB25_7804:
	s_or_b32 exec_lo, exec_lo, s93
	s_delay_alu instid0(SALU_CYCLE_1)
	s_and_not1_b32 s60, s90, exec_lo
	s_and_b32 s90, s92, exec_lo
	s_and_b32 s93, vcc_lo, exec_lo
	s_and_b32 s0, s95, exec_lo
	s_and_b32 s92, s94, exec_lo
	s_or_b32 s90, s60, s90
.LBB25_7805:
	s_or_b32 exec_lo, exec_lo, s91
	s_delay_alu instid0(SALU_CYCLE_1)
	s_and_b32 s91, s0, exec_lo
	s_and_not1_b32 s0, s88, exec_lo
	s_and_b32 s60, s90, exec_lo
	s_and_b32 s93, s93, exec_lo
	;; [unrolled: 1-line block ×3, first 2 shown]
	s_or_b32 s88, s0, s60
.LBB25_7806:
	s_or_b32 exec_lo, exec_lo, s89
	s_delay_alu instid0(SALU_CYCLE_1)
	s_and_not1_b32 s60, s78, exec_lo
	s_and_b32 s78, s88, exec_lo
	s_and_b32 s89, s93, exec_lo
	;; [unrolled: 1-line block ×4, first 2 shown]
	s_or_b32 s78, s60, s78
.LBB25_7807:
	s_or_b32 exec_lo, exec_lo, s79
	s_delay_alu instid0(SALU_CYCLE_1)
	s_and_b32 s79, s0, exec_lo
	s_and_not1_b32 s0, s76, exec_lo
	s_and_b32 s60, s78, exec_lo
	s_and_b32 s89, s89, exec_lo
	;; [unrolled: 1-line block ×3, first 2 shown]
	s_or_b32 s76, s0, s60
.LBB25_7808:
	s_or_b32 exec_lo, exec_lo, s77
	s_delay_alu instid0(SALU_CYCLE_1)
	s_and_not1_b32 s60, s74, exec_lo
	s_and_b32 s74, s76, exec_lo
	s_and_b32 s77, s89, exec_lo
	;; [unrolled: 1-line block ×4, first 2 shown]
	s_or_b32 s74, s60, s74
.LBB25_7809:
	s_or_b32 exec_lo, exec_lo, s75
	s_delay_alu instid0(SALU_CYCLE_1)
	s_and_b32 s75, s0, exec_lo
	s_and_not1_b32 s0, s72, exec_lo
	s_and_b32 s60, s74, exec_lo
	s_and_b32 s77, s77, exec_lo
	;; [unrolled: 1-line block ×3, first 2 shown]
	s_or_b32 s72, s0, s60
.LBB25_7810:
	s_or_b32 exec_lo, exec_lo, s73
	s_delay_alu instid0(SALU_CYCLE_1)
	s_and_not1_b32 s59, s59, exec_lo
	s_and_b32 s60, s72, exec_lo
	s_and_b32 s73, s77, exec_lo
	;; [unrolled: 1-line block ×4, first 2 shown]
	s_or_b32 s59, s59, s60
.LBB25_7811:
	s_or_b32 exec_lo, exec_lo, s63
	s_delay_alu instid0(SALU_CYCLE_1)
	s_and_b32 s63, s0, exec_lo
	s_and_not1_b32 s0, s57, exec_lo
	s_and_b32 s57, s59, exec_lo
	s_and_b32 s73, s73, exec_lo
	;; [unrolled: 1-line block ×3, first 2 shown]
	s_or_b32 s57, s0, s57
.LBB25_7812:
	s_or_b32 exec_lo, exec_lo, s58
	s_delay_alu instid0(SALU_CYCLE_1)
	s_and_not1_b32 s47, s47, exec_lo
	s_and_b32 s60, s57, exec_lo
	s_and_b32 s58, s73, exec_lo
	;; [unrolled: 1-line block ×4, first 2 shown]
	s_or_b32 s47, s47, s60
.LBB25_7813:
	s_or_b32 exec_lo, exec_lo, s56
	s_delay_alu instid0(SALU_CYCLE_1)
	s_and_b32 s56, s0, exec_lo
	s_and_not1_b32 s0, s45, exec_lo
	s_and_b32 s45, s47, exec_lo
	s_and_b32 s58, s58, exec_lo
	;; [unrolled: 1-line block ×3, first 2 shown]
	s_or_b32 s45, s0, s45
.LBB25_7814:
	s_or_b32 exec_lo, exec_lo, s46
	s_delay_alu instid0(SALU_CYCLE_1)
	s_and_b32 s0, s56, exec_lo
	s_and_not1_b32 s43, s43, exec_lo
	s_and_b32 s56, s45, exec_lo
	s_and_b32 s46, s58, exec_lo
	s_and_b32 s45, s47, exec_lo
	s_or_b32 s43, s43, s56
.LBB25_7815:
	s_or_b32 exec_lo, exec_lo, s44
	s_delay_alu instid0(SALU_CYCLE_1)
	s_and_b32 s44, s0, exec_lo
	s_and_not1_b32 s0, s41, exec_lo
	s_and_b32 s41, s43, exec_lo
	s_and_b32 s46, s46, exec_lo
	;; [unrolled: 1-line block ×3, first 2 shown]
	s_or_b32 s41, s0, s41
.LBB25_7816:
	s_or_b32 exec_lo, exec_lo, s42
	s_delay_alu instid0(SALU_CYCLE_1)
	s_and_b32 s0, s44, exec_lo
	s_and_not1_b32 s29, s29, exec_lo
	s_and_b32 s44, s41, exec_lo
	s_and_b32 s42, s46, exec_lo
	;; [unrolled: 1-line block ×3, first 2 shown]
	s_or_b32 s29, s29, s44
.LBB25_7817:
	s_or_b32 exec_lo, exec_lo, s40
	s_delay_alu instid0(SALU_CYCLE_1)
	s_and_b32 s40, s0, exec_lo
	s_and_not1_b32 s0, s27, exec_lo
	s_and_b32 s27, s29, exec_lo
	s_and_b32 s42, s42, exec_lo
	;; [unrolled: 1-line block ×3, first 2 shown]
	s_or_b32 s27, s0, s27
.LBB25_7818:
	s_or_b32 exec_lo, exec_lo, s28
	s_delay_alu instid0(SALU_CYCLE_1)
	s_and_b32 s0, s40, exec_lo
	s_and_not1_b32 s25, s25, exec_lo
	s_and_b32 s40, s27, exec_lo
	s_and_b32 s28, s42, exec_lo
	;; [unrolled: 1-line block ×3, first 2 shown]
	s_or_b32 s25, s25, s40
.LBB25_7819:
	s_or_b32 exec_lo, exec_lo, s26
	s_delay_alu instid0(SALU_CYCLE_1)
	s_and_b32 s26, s0, exec_lo
	s_and_not1_b32 s0, s23, exec_lo
	s_and_b32 s23, s25, exec_lo
	s_and_b32 s28, s28, exec_lo
	;; [unrolled: 1-line block ×3, first 2 shown]
	s_or_b32 s23, s0, s23
.LBB25_7820:
	s_or_b32 exec_lo, exec_lo, s24
	s_delay_alu instid0(SALU_CYCLE_1)
	s_and_b32 s0, s26, exec_lo
	s_and_not1_b32 s21, s21, exec_lo
	s_and_b32 s26, s23, exec_lo
	s_and_b32 s24, s28, exec_lo
	;; [unrolled: 1-line block ×3, first 2 shown]
	s_or_b32 s21, s21, s26
.LBB25_7821:
	s_or_b32 exec_lo, exec_lo, s22
	s_delay_alu instid0(SALU_CYCLE_1)
	s_and_b32 s22, s0, exec_lo
	s_and_not1_b32 s0, s19, exec_lo
	s_and_b32 s19, s21, exec_lo
	s_and_b32 s24, s24, exec_lo
	;; [unrolled: 1-line block ×3, first 2 shown]
	s_or_b32 s19, s0, s19
.LBB25_7822:
	s_or_b32 exec_lo, exec_lo, s20
	s_delay_alu instid0(SALU_CYCLE_1)
	s_and_b32 s0, s22, exec_lo
	s_and_not1_b32 s17, s17, exec_lo
	s_and_b32 s22, s19, exec_lo
	s_and_b32 s20, s24, exec_lo
	;; [unrolled: 1-line block ×3, first 2 shown]
	s_or_b32 s17, s17, s22
.LBB25_7823:
	s_or_b32 exec_lo, exec_lo, s18
	s_delay_alu instid0(SALU_CYCLE_1)
	s_and_b32 s18, s0, exec_lo
	s_and_not1_b32 s0, s15, exec_lo
	s_and_b32 s15, s17, exec_lo
	s_and_b32 s20, s20, exec_lo
	;; [unrolled: 1-line block ×3, first 2 shown]
	s_or_b32 s15, s0, s15
.LBB25_7824:
	s_or_b32 exec_lo, exec_lo, s16
	s_delay_alu instid0(SALU_CYCLE_1)
	s_and_b32 s0, s18, exec_lo
	s_and_not1_b32 s13, s13, exec_lo
	s_and_b32 s18, s15, exec_lo
	s_and_b32 s16, s20, exec_lo
	;; [unrolled: 1-line block ×3, first 2 shown]
	s_or_b32 s13, s13, s18
.LBB25_7825:
	s_or_b32 exec_lo, exec_lo, s14
	s_delay_alu instid0(SALU_CYCLE_1)
	s_and_b32 s14, s0, exec_lo
	s_and_not1_b32 s0, s11, exec_lo
	s_and_b32 s11, s13, exec_lo
	s_and_b32 s16, s16, exec_lo
	;; [unrolled: 1-line block ×3, first 2 shown]
	s_or_b32 s11, s0, s11
.LBB25_7826:
	s_or_b32 exec_lo, exec_lo, s12
	s_delay_alu instid0(SALU_CYCLE_1)
	s_and_b32 s0, s14, exec_lo
	s_and_not1_b32 s9, s9, exec_lo
	s_and_b32 s14, s11, exec_lo
	s_and_b32 s12, s16, exec_lo
	;; [unrolled: 1-line block ×3, first 2 shown]
	s_or_b32 s9, s9, s14
.LBB25_7827:
	s_or_b32 exec_lo, exec_lo, s10
	s_delay_alu instid0(SALU_CYCLE_1)
	s_and_b32 s10, s0, exec_lo
	s_and_not1_b32 s0, s7, exec_lo
	s_and_b32 s7, s9, exec_lo
	s_and_b32 s12, s12, exec_lo
	;; [unrolled: 1-line block ×3, first 2 shown]
	s_or_b32 s7, s0, s7
.LBB25_7828:
	s_or_b32 exec_lo, exec_lo, s8
	s_delay_alu instid0(SALU_CYCLE_1)
	s_and_b32 s0, s10, exec_lo
	s_and_not1_b32 s5, s5, exec_lo
	s_and_b32 s10, s7, exec_lo
	s_and_b32 s8, s12, exec_lo
	;; [unrolled: 1-line block ×3, first 2 shown]
	s_or_b32 s5, s5, s10
.LBB25_7829:
	s_or_b32 exec_lo, exec_lo, s6
	s_delay_alu instid0(SALU_CYCLE_1)
	s_and_b32 s6, s0, exec_lo
	s_and_not1_b32 s0, s3, exec_lo
	s_and_b32 s3, s5, exec_lo
	s_and_b32 s8, s8, exec_lo
	;; [unrolled: 1-line block ×3, first 2 shown]
	s_or_b32 s3, s0, s3
.LBB25_7830:
	s_or_b32 exec_lo, exec_lo, s4
	s_delay_alu instid0(SALU_CYCLE_1)
	s_and_b32 s4, s6, exec_lo
	s_and_not1_b32 s1, s1, exec_lo
	s_and_b32 s6, s3, exec_lo
	s_and_b32 s0, s8, exec_lo
	s_and_b32 s3, s5, exec_lo
	s_or_b32 s1, s1, s6
	s_or_b32 exec_lo, exec_lo, s2
	s_mov_b32 s2, 0
	s_and_saveexec_b32 s5, s1
	s_cbranch_execz .LBB25_3848
.LBB25_7831:
	s_mov_b32 s2, exec_lo
	s_and_not1_b32 s3, s3, exec_lo
	s_trap 2
	s_or_b32 exec_lo, exec_lo, s5
	s_and_saveexec_b32 s1, s3
	s_delay_alu instid0(SALU_CYCLE_1)
	s_xor_b32 s1, exec_lo, s1
	s_cbranch_execz .LBB25_3849
.LBB25_7832:
	v_cmp_neq_f32_e32 vcc_lo, 0, v0
	s_or_b32 s0, s0, exec_lo
	v_cndmask_b32_e64 v1, 0, 1, vcc_lo
	flat_store_b8 v[2:3], v1
	s_wait_xcnt 0x0
	s_or_b32 exec_lo, exec_lo, s1
	s_and_saveexec_b32 s1, s4
	s_cbranch_execz .LBB25_7874
.LBB25_7833:
	s_mov_b32 s3, exec_lo
	v_cmpx_lt_i16_e32 4, v4
	s_xor_b32 s3, exec_lo, s3
	s_cbranch_execz .LBB25_7855
; %bb.7834:
	s_mov_b32 s4, exec_lo
	v_cmpx_lt_i16_e32 7, v4
	s_xor_b32 s4, exec_lo, s4
	s_cbranch_execz .LBB25_7844
; %bb.7835:
	;; [unrolled: 5-line block ×4, first 2 shown]
	v_cvt_f64_f32_e32 v[6:7], v0
	v_mov_b32_e32 v8, 0
                                        ; implicit-def: $vgpr0
	s_delay_alu instid0(VALU_DEP_1)
	v_mov_b32_e32 v9, v8
	flat_store_b128 v[2:3], v[6:9]
.LBB25_7838:
	s_wait_xcnt 0x0
	s_and_not1_saveexec_b32 s6, s6
	s_cbranch_execz .LBB25_7840
; %bb.7839:
	v_mov_b32_e32 v1, 0
	flat_store_b64 v[2:3], v[0:1]
.LBB25_7840:
	s_wait_xcnt 0x0
	s_or_b32 exec_lo, exec_lo, s6
                                        ; implicit-def: $vgpr0
.LBB25_7841:
	s_and_not1_saveexec_b32 s5, s5
	s_cbranch_execz .LBB25_7843
; %bb.7842:
	v_cvt_f16_f32_e32 v0, v0
	s_delay_alu instid0(VALU_DEP_1)
	v_and_b32_e32 v0, 0xffff, v0
	flat_store_b32 v[2:3], v0
.LBB25_7843:
	s_wait_xcnt 0x0
	s_or_b32 exec_lo, exec_lo, s5
                                        ; implicit-def: $vgpr0
.LBB25_7844:
	s_and_not1_saveexec_b32 s4, s4
	s_cbranch_execz .LBB25_7854
; %bb.7845:
	s_mov_b32 s5, exec_lo
	v_cmpx_lt_i16_e32 5, v4
	s_xor_b32 s5, exec_lo, s5
	s_cbranch_execz .LBB25_7851
; %bb.7846:
	s_mov_b32 s6, exec_lo
	v_cmpx_lt_i16_e32 6, v4
	s_xor_b32 s6, exec_lo, s6
	s_cbranch_execz .LBB25_7848
; %bb.7847:
	v_cvt_f64_f32_e32 v[0:1], v0
	flat_store_b64 v[2:3], v[0:1]
                                        ; implicit-def: $vgpr0
.LBB25_7848:
	s_wait_xcnt 0x0
	s_and_not1_saveexec_b32 s6, s6
	s_cbranch_execz .LBB25_7850
; %bb.7849:
	flat_store_b32 v[2:3], v0
.LBB25_7850:
	s_wait_xcnt 0x0
	s_or_b32 exec_lo, exec_lo, s6
                                        ; implicit-def: $vgpr0
.LBB25_7851:
	s_and_not1_saveexec_b32 s5, s5
	s_cbranch_execz .LBB25_7853
; %bb.7852:
	v_cvt_f16_f32_e32 v0, v0
	flat_store_b16 v[2:3], v0
.LBB25_7853:
	s_wait_xcnt 0x0
	s_or_b32 exec_lo, exec_lo, s5
.LBB25_7854:
	s_delay_alu instid0(SALU_CYCLE_1)
	s_or_b32 exec_lo, exec_lo, s4
                                        ; implicit-def: $vgpr0
.LBB25_7855:
	s_and_not1_saveexec_b32 s3, s3
	s_cbranch_execz .LBB25_7873
; %bb.7856:
	s_mov_b32 s4, exec_lo
	v_cmpx_lt_i16_e32 1, v4
	s_xor_b32 s4, exec_lo, s4
	s_cbranch_execz .LBB25_7866
; %bb.7857:
	s_mov_b32 s5, exec_lo
	v_cmpx_lt_i16_e32 2, v4
	s_xor_b32 s5, exec_lo, s5
	;; [unrolled: 5-line block ×3, first 2 shown]
	s_cbranch_execz .LBB25_7860
; %bb.7859:
	v_trunc_f32_e32 v0, v0
	s_delay_alu instid0(VALU_DEP_1) | instskip(NEXT) | instid1(VALU_DEP_1)
	v_mul_f32_e64 v1, 0x2f800000, |v0|
	v_floor_f32_e32 v1, v1
	s_delay_alu instid0(VALU_DEP_1) | instskip(SKIP_2) | instid1(VALU_DEP_3)
	v_fma_f32 v5, 0xcf800000, v1, |v0|
	v_ashrrev_i32_e32 v0, 31, v0
	v_cvt_u32_f32_e32 v6, v1
	v_cvt_u32_f32_e32 v5, v5
	s_delay_alu instid0(VALU_DEP_2) | instskip(NEXT) | instid1(VALU_DEP_2)
	v_dual_mov_b32 v1, v0 :: v_dual_bitop2_b32 v7, v6, v0 bitop3:0x14
	v_xor_b32_e32 v6, v5, v0
	s_delay_alu instid0(VALU_DEP_1)
	v_sub_nc_u64_e32 v[0:1], v[6:7], v[0:1]
	flat_store_b64 v[2:3], v[0:1]
                                        ; implicit-def: $vgpr0
                                        ; implicit-def: $vgpr2_vgpr3
.LBB25_7860:
	s_wait_xcnt 0x0
	s_and_not1_saveexec_b32 s6, s6
	s_cbranch_execz .LBB25_7862
; %bb.7861:
	v_cvt_i32_f32_e32 v0, v0
	flat_store_b32 v[2:3], v0
.LBB25_7862:
	s_wait_xcnt 0x0
	s_or_b32 exec_lo, exec_lo, s6
                                        ; implicit-def: $vgpr0
                                        ; implicit-def: $vgpr2_vgpr3
.LBB25_7863:
	s_and_not1_saveexec_b32 s5, s5
	s_cbranch_execz .LBB25_7865
; %bb.7864:
	v_cvt_i32_f32_e32 v0, v0
	flat_store_b16 v[2:3], v0
.LBB25_7865:
	s_wait_xcnt 0x0
	s_or_b32 exec_lo, exec_lo, s5
                                        ; implicit-def: $vgpr0
                                        ; implicit-def: $vgpr2_vgpr3
.LBB25_7866:
	s_and_not1_saveexec_b32 s4, s4
	s_cbranch_execz .LBB25_7872
; %bb.7867:
	s_mov_b32 s5, exec_lo
	v_cmpx_lt_i16_e32 0, v4
	s_xor_b32 s5, exec_lo, s5
	s_cbranch_execz .LBB25_7869
; %bb.7868:
	v_cvt_i32_f32_e32 v0, v0
	flat_store_b8 v[2:3], v0
                                        ; implicit-def: $vgpr0
                                        ; implicit-def: $vgpr2_vgpr3
.LBB25_7869:
	s_wait_xcnt 0x0
	s_and_not1_saveexec_b32 s5, s5
	s_cbranch_execz .LBB25_7871
; %bb.7870:
	v_trunc_f32_e32 v0, v0
	s_delay_alu instid0(VALU_DEP_1) | instskip(NEXT) | instid1(VALU_DEP_1)
	v_mul_f32_e64 v1, 0x2f800000, |v0|
	v_floor_f32_e32 v1, v1
	s_delay_alu instid0(VALU_DEP_1) | instskip(SKIP_1) | instid1(VALU_DEP_2)
	v_fma_f32 v1, 0xcf800000, v1, |v0|
	v_ashrrev_i32_e32 v0, 31, v0
	v_cvt_u32_f32_e32 v1, v1
	s_delay_alu instid0(VALU_DEP_1) | instskip(NEXT) | instid1(VALU_DEP_1)
	v_xor_b32_e32 v1, v1, v0
	v_sub_nc_u32_e32 v0, v1, v0
	flat_store_b8 v[2:3], v0
.LBB25_7871:
	s_wait_xcnt 0x0
	s_or_b32 exec_lo, exec_lo, s5
.LBB25_7872:
	s_delay_alu instid0(SALU_CYCLE_1)
	s_or_b32 exec_lo, exec_lo, s4
.LBB25_7873:
	s_delay_alu instid0(SALU_CYCLE_1) | instskip(NEXT) | instid1(SALU_CYCLE_1)
	s_or_b32 exec_lo, exec_lo, s3
	s_or_b32 s0, s0, exec_lo
.LBB25_7874:
	s_or_b32 exec_lo, exec_lo, s1
	s_and_saveexec_b32 s1, s0
	s_delay_alu instid0(SALU_CYCLE_1) | instskip(NEXT) | instid1(SALU_CYCLE_1)
	s_xor_b32 s0, exec_lo, s1
	s_or_b32 exec_lo, exec_lo, s0
	s_delay_alu instid0(SALU_CYCLE_1)
	s_and_b32 s0, s2, exec_lo
.LBB25_7875:
	s_and_not1_saveexec_b32 s1, s62
	s_cbranch_execnz .LBB25_7878
.LBB25_7876:
	s_or_b32 exec_lo, exec_lo, s1
	s_delay_alu instid0(SALU_CYCLE_1)
	s_and_b32 s0, s0, exec_lo
	s_and_not1_saveexec_b32 s1, s61
	s_cbranch_execz .LBB25_3652
.LBB25_7877:
	s_or_b32 s0, s0, exec_lo
	s_trap 2
	s_or_b32 exec_lo, exec_lo, s1
	s_and_saveexec_b32 s1, s0
	s_cbranch_execnz .LBB25_3653
	s_branch .LBB25_3654
.LBB25_7878:
	s_or_b32 s0, s0, exec_lo
	s_trap 2
	s_branch .LBB25_7876
.LBB25_7879:
	v_bfe_u32 v1, v208, 20, 1
	s_mov_b32 s10, exec_lo
	s_delay_alu instid0(VALU_DEP_1) | instskip(NEXT) | instid1(VALU_DEP_1)
	v_add3_u32 v1, v208, v1, 0x487ffff
	v_lshrrev_b32_e32 v1, 20, v1
	s_and_not1_saveexec_b32 s11, s11
	s_cbranch_execz .LBB25_3752
.LBB25_7880:
	v_add_f32_e64 v1, 0x46000000, |v208|
	s_and_not1_b32 s10, s10, exec_lo
	s_delay_alu instid0(VALU_DEP_1) | instskip(NEXT) | instid1(VALU_DEP_1)
	v_and_b32_e32 v1, 0xff, v1
	v_cmp_ne_u32_e32 vcc_lo, 0, v1
	s_and_b32 s12, vcc_lo, exec_lo
	s_delay_alu instid0(SALU_CYCLE_1)
	s_or_b32 s10, s10, s12
	s_or_b32 exec_lo, exec_lo, s11
	v_mov_b32_e32 v4, 0
	s_and_saveexec_b32 s11, s10
	s_cbranch_execnz .LBB25_3753
	s_branch .LBB25_3754
.LBB25_7881:
	v_bfe_u32 v1, v208, 21, 1
	s_mov_b32 s11, exec_lo
	s_delay_alu instid0(VALU_DEP_1) | instskip(NEXT) | instid1(VALU_DEP_1)
	v_add3_u32 v1, v208, v1, 0x88fffff
	v_lshrrev_b32_e32 v1, 21, v1
	s_and_not1_saveexec_b32 s12, s12
	s_cbranch_execz .LBB25_3765
.LBB25_7882:
	v_add_f32_e64 v1, 0x42800000, |v208|
	s_and_not1_b32 s11, s11, exec_lo
	s_delay_alu instid0(VALU_DEP_1) | instskip(NEXT) | instid1(VALU_DEP_1)
	v_and_b32_e32 v1, 0xff, v1
	v_cmp_ne_u32_e32 vcc_lo, 0, v1
	s_and_b32 s13, vcc_lo, exec_lo
	s_delay_alu instid0(SALU_CYCLE_1)
	s_or_b32 s11, s11, s13
	s_or_b32 exec_lo, exec_lo, s12
	v_mov_b32_e32 v4, 0
	s_and_saveexec_b32 s12, s11
	s_cbranch_execnz .LBB25_3766
	s_branch .LBB25_3767
.LBB25_7883:
	v_bfe_u32 v1, v198, 20, 1
	s_mov_b32 s11, exec_lo
	s_delay_alu instid0(VALU_DEP_1) | instskip(NEXT) | instid1(VALU_DEP_1)
	v_add3_u32 v1, v198, v1, 0x487ffff
	v_lshrrev_b32_e32 v1, 20, v1
	s_and_not1_saveexec_b32 s12, s12
	s_cbranch_execz .LBB25_3882
.LBB25_7884:
	v_add_f32_e64 v1, 0x46000000, |v198|
	s_and_not1_b32 s11, s11, exec_lo
	s_delay_alu instid0(VALU_DEP_1) | instskip(NEXT) | instid1(VALU_DEP_1)
	v_and_b32_e32 v1, 0xff, v1
	v_cmp_ne_u32_e32 vcc_lo, 0, v1
	s_and_b32 s13, vcc_lo, exec_lo
	s_delay_alu instid0(SALU_CYCLE_1)
	s_or_b32 s11, s11, s13
	s_or_b32 exec_lo, exec_lo, s12
	v_mov_b32_e32 v4, 0
	s_and_saveexec_b32 s12, s11
	s_cbranch_execnz .LBB25_3883
	s_branch .LBB25_3884
.LBB25_7885:
	v_bfe_u32 v1, v198, 21, 1
	s_mov_b32 s12, exec_lo
	s_delay_alu instid0(VALU_DEP_1) | instskip(NEXT) | instid1(VALU_DEP_1)
	v_add3_u32 v1, v198, v1, 0x88fffff
	v_lshrrev_b32_e32 v1, 21, v1
	s_and_not1_saveexec_b32 s13, s13
	s_cbranch_execz .LBB25_3895
.LBB25_7886:
	v_add_f32_e64 v1, 0x42800000, |v198|
	s_and_not1_b32 s12, s12, exec_lo
	s_delay_alu instid0(VALU_DEP_1) | instskip(NEXT) | instid1(VALU_DEP_1)
	v_and_b32_e32 v1, 0xff, v1
	v_cmp_ne_u32_e32 vcc_lo, 0, v1
	s_and_b32 s14, vcc_lo, exec_lo
	s_delay_alu instid0(SALU_CYCLE_1)
	s_or_b32 s12, s12, s14
	s_or_b32 exec_lo, exec_lo, s13
	v_mov_b32_e32 v4, 0
	s_and_saveexec_b32 s13, s12
	s_cbranch_execnz .LBB25_3896
	s_branch .LBB25_3897
.LBB25_7887:
	v_bfe_u32 v1, v196, 20, 1
	s_mov_b32 s13, exec_lo
	s_delay_alu instid0(VALU_DEP_1) | instskip(NEXT) | instid1(VALU_DEP_1)
	v_add3_u32 v1, v196, v1, 0x487ffff
	v_lshrrev_b32_e32 v1, 20, v1
	s_and_not1_saveexec_b32 s14, s14
	s_cbranch_execz .LBB25_4011
.LBB25_7888:
	v_add_f32_e64 v1, 0x46000000, |v196|
	s_and_not1_b32 s13, s13, exec_lo
	s_delay_alu instid0(VALU_DEP_1) | instskip(NEXT) | instid1(VALU_DEP_1)
	v_and_b32_e32 v1, 0xff, v1
	v_cmp_ne_u32_e32 vcc_lo, 0, v1
	s_and_b32 s15, vcc_lo, exec_lo
	s_delay_alu instid0(SALU_CYCLE_1)
	s_or_b32 s13, s13, s15
	s_or_b32 exec_lo, exec_lo, s14
	v_mov_b32_e32 v4, 0
	s_and_saveexec_b32 s14, s13
	s_cbranch_execnz .LBB25_4012
	s_branch .LBB25_4013
.LBB25_7889:
	v_bfe_u32 v1, v196, 21, 1
	s_mov_b32 s14, exec_lo
	s_delay_alu instid0(VALU_DEP_1) | instskip(NEXT) | instid1(VALU_DEP_1)
	v_add3_u32 v1, v196, v1, 0x88fffff
	v_lshrrev_b32_e32 v1, 21, v1
	s_and_not1_saveexec_b32 s15, s15
	s_cbranch_execz .LBB25_4024
.LBB25_7890:
	v_add_f32_e64 v1, 0x42800000, |v196|
	s_and_not1_b32 s14, s14, exec_lo
	s_delay_alu instid0(VALU_DEP_1) | instskip(NEXT) | instid1(VALU_DEP_1)
	v_and_b32_e32 v1, 0xff, v1
	v_cmp_ne_u32_e32 vcc_lo, 0, v1
	s_and_b32 s16, vcc_lo, exec_lo
	s_delay_alu instid0(SALU_CYCLE_1)
	s_or_b32 s14, s14, s16
	s_or_b32 exec_lo, exec_lo, s15
	v_mov_b32_e32 v4, 0
	s_and_saveexec_b32 s15, s14
	s_cbranch_execnz .LBB25_4025
	s_branch .LBB25_4026
.LBB25_7891:
	v_bfe_u32 v1, v194, 20, 1
	s_mov_b32 s15, exec_lo
	s_delay_alu instid0(VALU_DEP_1) | instskip(NEXT) | instid1(VALU_DEP_1)
	v_add3_u32 v1, v194, v1, 0x487ffff
	v_lshrrev_b32_e32 v1, 20, v1
	s_and_not1_saveexec_b32 s16, s16
	s_cbranch_execz .LBB25_4140
.LBB25_7892:
	v_add_f32_e64 v1, 0x46000000, |v194|
	s_and_not1_b32 s15, s15, exec_lo
	s_delay_alu instid0(VALU_DEP_1) | instskip(NEXT) | instid1(VALU_DEP_1)
	v_and_b32_e32 v1, 0xff, v1
	v_cmp_ne_u32_e32 vcc_lo, 0, v1
	s_and_b32 s17, vcc_lo, exec_lo
	s_delay_alu instid0(SALU_CYCLE_1)
	s_or_b32 s15, s15, s17
	s_or_b32 exec_lo, exec_lo, s16
	v_mov_b32_e32 v4, 0
	s_and_saveexec_b32 s16, s15
	s_cbranch_execnz .LBB25_4141
	s_branch .LBB25_4142
.LBB25_7893:
	v_bfe_u32 v1, v194, 21, 1
	s_mov_b32 s16, exec_lo
	s_delay_alu instid0(VALU_DEP_1) | instskip(NEXT) | instid1(VALU_DEP_1)
	v_add3_u32 v1, v194, v1, 0x88fffff
	v_lshrrev_b32_e32 v1, 21, v1
	s_and_not1_saveexec_b32 s17, s17
	s_cbranch_execz .LBB25_4153
.LBB25_7894:
	v_add_f32_e64 v1, 0x42800000, |v194|
	s_and_not1_b32 s16, s16, exec_lo
	s_delay_alu instid0(VALU_DEP_1) | instskip(NEXT) | instid1(VALU_DEP_1)
	v_and_b32_e32 v1, 0xff, v1
	v_cmp_ne_u32_e32 vcc_lo, 0, v1
	s_and_b32 s18, vcc_lo, exec_lo
	s_delay_alu instid0(SALU_CYCLE_1)
	s_or_b32 s16, s16, s18
	s_or_b32 exec_lo, exec_lo, s17
	v_mov_b32_e32 v4, 0
	s_and_saveexec_b32 s17, s16
	s_cbranch_execnz .LBB25_4154
	s_branch .LBB25_4155
.LBB25_7895:
	v_bfe_u32 v1, v192, 20, 1
	s_mov_b32 s17, exec_lo
	s_delay_alu instid0(VALU_DEP_1) | instskip(NEXT) | instid1(VALU_DEP_1)
	v_add3_u32 v1, v192, v1, 0x487ffff
	v_lshrrev_b32_e32 v1, 20, v1
	s_and_not1_saveexec_b32 s18, s18
	s_cbranch_execz .LBB25_4269
.LBB25_7896:
	v_add_f32_e64 v1, 0x46000000, |v192|
	s_and_not1_b32 s17, s17, exec_lo
	s_delay_alu instid0(VALU_DEP_1) | instskip(NEXT) | instid1(VALU_DEP_1)
	v_and_b32_e32 v1, 0xff, v1
	v_cmp_ne_u32_e32 vcc_lo, 0, v1
	s_and_b32 s19, vcc_lo, exec_lo
	s_delay_alu instid0(SALU_CYCLE_1)
	s_or_b32 s17, s17, s19
	s_or_b32 exec_lo, exec_lo, s18
	v_mov_b32_e32 v4, 0
	s_and_saveexec_b32 s18, s17
	s_cbranch_execnz .LBB25_4270
	s_branch .LBB25_4271
.LBB25_7897:
	v_bfe_u32 v1, v192, 21, 1
	s_mov_b32 s18, exec_lo
	s_delay_alu instid0(VALU_DEP_1) | instskip(NEXT) | instid1(VALU_DEP_1)
	v_add3_u32 v1, v192, v1, 0x88fffff
	v_lshrrev_b32_e32 v1, 21, v1
	s_and_not1_saveexec_b32 s19, s19
	s_cbranch_execz .LBB25_4282
.LBB25_7898:
	v_add_f32_e64 v1, 0x42800000, |v192|
	s_and_not1_b32 s18, s18, exec_lo
	s_delay_alu instid0(VALU_DEP_1) | instskip(NEXT) | instid1(VALU_DEP_1)
	v_and_b32_e32 v1, 0xff, v1
	v_cmp_ne_u32_e32 vcc_lo, 0, v1
	s_and_b32 s20, vcc_lo, exec_lo
	s_delay_alu instid0(SALU_CYCLE_1)
	s_or_b32 s18, s18, s20
	s_or_b32 exec_lo, exec_lo, s19
	v_mov_b32_e32 v4, 0
	s_and_saveexec_b32 s19, s18
	s_cbranch_execnz .LBB25_4283
	s_branch .LBB25_4284
.LBB25_7899:
	v_bfe_u32 v1, v182, 20, 1
	s_mov_b32 s19, exec_lo
	s_delay_alu instid0(VALU_DEP_1) | instskip(NEXT) | instid1(VALU_DEP_1)
	v_add3_u32 v1, v182, v1, 0x487ffff
	v_lshrrev_b32_e32 v1, 20, v1
	s_and_not1_saveexec_b32 s20, s20
	s_cbranch_execz .LBB25_4398
.LBB25_7900:
	v_add_f32_e64 v1, 0x46000000, |v182|
	s_and_not1_b32 s19, s19, exec_lo
	s_delay_alu instid0(VALU_DEP_1) | instskip(NEXT) | instid1(VALU_DEP_1)
	v_and_b32_e32 v1, 0xff, v1
	v_cmp_ne_u32_e32 vcc_lo, 0, v1
	s_and_b32 s21, vcc_lo, exec_lo
	s_delay_alu instid0(SALU_CYCLE_1)
	s_or_b32 s19, s19, s21
	s_or_b32 exec_lo, exec_lo, s20
	v_mov_b32_e32 v4, 0
	s_and_saveexec_b32 s20, s19
	s_cbranch_execnz .LBB25_4399
	s_branch .LBB25_4400
.LBB25_7901:
	v_bfe_u32 v1, v182, 21, 1
	s_mov_b32 s20, exec_lo
	s_delay_alu instid0(VALU_DEP_1) | instskip(NEXT) | instid1(VALU_DEP_1)
	v_add3_u32 v1, v182, v1, 0x88fffff
	v_lshrrev_b32_e32 v1, 21, v1
	s_and_not1_saveexec_b32 s21, s21
	s_cbranch_execz .LBB25_4411
.LBB25_7902:
	v_add_f32_e64 v1, 0x42800000, |v182|
	s_and_not1_b32 s20, s20, exec_lo
	s_delay_alu instid0(VALU_DEP_1) | instskip(NEXT) | instid1(VALU_DEP_1)
	v_and_b32_e32 v1, 0xff, v1
	v_cmp_ne_u32_e32 vcc_lo, 0, v1
	s_and_b32 s22, vcc_lo, exec_lo
	s_delay_alu instid0(SALU_CYCLE_1)
	s_or_b32 s20, s20, s22
	s_or_b32 exec_lo, exec_lo, s21
	v_mov_b32_e32 v4, 0
	s_and_saveexec_b32 s21, s20
	s_cbranch_execnz .LBB25_4412
	s_branch .LBB25_4413
.LBB25_7903:
	v_bfe_u32 v1, v180, 20, 1
	s_mov_b32 s21, exec_lo
	s_delay_alu instid0(VALU_DEP_1) | instskip(NEXT) | instid1(VALU_DEP_1)
	v_add3_u32 v1, v180, v1, 0x487ffff
	v_lshrrev_b32_e32 v1, 20, v1
	s_and_not1_saveexec_b32 s22, s22
	s_cbranch_execz .LBB25_4527
.LBB25_7904:
	v_add_f32_e64 v1, 0x46000000, |v180|
	s_and_not1_b32 s21, s21, exec_lo
	s_delay_alu instid0(VALU_DEP_1) | instskip(NEXT) | instid1(VALU_DEP_1)
	v_and_b32_e32 v1, 0xff, v1
	v_cmp_ne_u32_e32 vcc_lo, 0, v1
	s_and_b32 s23, vcc_lo, exec_lo
	s_delay_alu instid0(SALU_CYCLE_1)
	s_or_b32 s21, s21, s23
	s_or_b32 exec_lo, exec_lo, s22
	v_mov_b32_e32 v4, 0
	s_and_saveexec_b32 s22, s21
	s_cbranch_execnz .LBB25_4528
	s_branch .LBB25_4529
.LBB25_7905:
	v_bfe_u32 v1, v180, 21, 1
	s_mov_b32 s22, exec_lo
	s_delay_alu instid0(VALU_DEP_1) | instskip(NEXT) | instid1(VALU_DEP_1)
	v_add3_u32 v1, v180, v1, 0x88fffff
	v_lshrrev_b32_e32 v1, 21, v1
	s_and_not1_saveexec_b32 s23, s23
	s_cbranch_execz .LBB25_4540
.LBB25_7906:
	v_add_f32_e64 v1, 0x42800000, |v180|
	s_and_not1_b32 s22, s22, exec_lo
	s_delay_alu instid0(VALU_DEP_1) | instskip(NEXT) | instid1(VALU_DEP_1)
	v_and_b32_e32 v1, 0xff, v1
	v_cmp_ne_u32_e32 vcc_lo, 0, v1
	s_and_b32 s24, vcc_lo, exec_lo
	s_delay_alu instid0(SALU_CYCLE_1)
	s_or_b32 s22, s22, s24
	s_or_b32 exec_lo, exec_lo, s23
	v_mov_b32_e32 v4, 0
	s_and_saveexec_b32 s23, s22
	s_cbranch_execnz .LBB25_4541
	s_branch .LBB25_4542
.LBB25_7907:
	v_bfe_u32 v1, v178, 20, 1
	s_mov_b32 s23, exec_lo
	s_delay_alu instid0(VALU_DEP_1) | instskip(NEXT) | instid1(VALU_DEP_1)
	v_add3_u32 v1, v178, v1, 0x487ffff
	v_lshrrev_b32_e32 v1, 20, v1
	s_and_not1_saveexec_b32 s24, s24
	s_cbranch_execz .LBB25_4656
.LBB25_7908:
	v_add_f32_e64 v1, 0x46000000, |v178|
	s_and_not1_b32 s23, s23, exec_lo
	s_delay_alu instid0(VALU_DEP_1) | instskip(NEXT) | instid1(VALU_DEP_1)
	v_and_b32_e32 v1, 0xff, v1
	v_cmp_ne_u32_e32 vcc_lo, 0, v1
	s_and_b32 s25, vcc_lo, exec_lo
	s_delay_alu instid0(SALU_CYCLE_1)
	s_or_b32 s23, s23, s25
	s_or_b32 exec_lo, exec_lo, s24
	v_mov_b32_e32 v4, 0
	s_and_saveexec_b32 s24, s23
	s_cbranch_execnz .LBB25_4657
	s_branch .LBB25_4658
.LBB25_7909:
	v_bfe_u32 v1, v178, 21, 1
	s_mov_b32 s24, exec_lo
	s_delay_alu instid0(VALU_DEP_1) | instskip(NEXT) | instid1(VALU_DEP_1)
	v_add3_u32 v1, v178, v1, 0x88fffff
	v_lshrrev_b32_e32 v1, 21, v1
	s_and_not1_saveexec_b32 s25, s25
	s_cbranch_execz .LBB25_4669
.LBB25_7910:
	v_add_f32_e64 v1, 0x42800000, |v178|
	s_and_not1_b32 s24, s24, exec_lo
	s_delay_alu instid0(VALU_DEP_1) | instskip(NEXT) | instid1(VALU_DEP_1)
	v_and_b32_e32 v1, 0xff, v1
	v_cmp_ne_u32_e32 vcc_lo, 0, v1
	s_and_b32 s26, vcc_lo, exec_lo
	s_delay_alu instid0(SALU_CYCLE_1)
	s_or_b32 s24, s24, s26
	s_or_b32 exec_lo, exec_lo, s25
	v_mov_b32_e32 v4, 0
	s_and_saveexec_b32 s25, s24
	s_cbranch_execnz .LBB25_4670
	s_branch .LBB25_4671
.LBB25_7911:
	v_bfe_u32 v1, v176, 20, 1
	s_mov_b32 s25, exec_lo
	s_delay_alu instid0(VALU_DEP_1) | instskip(NEXT) | instid1(VALU_DEP_1)
	v_add3_u32 v1, v176, v1, 0x487ffff
	v_lshrrev_b32_e32 v1, 20, v1
	s_and_not1_saveexec_b32 s26, s26
	s_cbranch_execz .LBB25_4785
.LBB25_7912:
	v_add_f32_e64 v1, 0x46000000, |v176|
	s_and_not1_b32 s25, s25, exec_lo
	s_delay_alu instid0(VALU_DEP_1) | instskip(NEXT) | instid1(VALU_DEP_1)
	v_and_b32_e32 v1, 0xff, v1
	v_cmp_ne_u32_e32 vcc_lo, 0, v1
	s_and_b32 s27, vcc_lo, exec_lo
	s_delay_alu instid0(SALU_CYCLE_1)
	s_or_b32 s25, s25, s27
	s_or_b32 exec_lo, exec_lo, s26
	v_mov_b32_e32 v4, 0
	s_and_saveexec_b32 s26, s25
	s_cbranch_execnz .LBB25_4786
	s_branch .LBB25_4787
.LBB25_7913:
	v_bfe_u32 v1, v176, 21, 1
	s_mov_b32 s26, exec_lo
	s_delay_alu instid0(VALU_DEP_1) | instskip(NEXT) | instid1(VALU_DEP_1)
	v_add3_u32 v1, v176, v1, 0x88fffff
	v_lshrrev_b32_e32 v1, 21, v1
	s_and_not1_saveexec_b32 s27, s27
	s_cbranch_execz .LBB25_4798
.LBB25_7914:
	v_add_f32_e64 v1, 0x42800000, |v176|
	s_and_not1_b32 s26, s26, exec_lo
	s_delay_alu instid0(VALU_DEP_1) | instskip(NEXT) | instid1(VALU_DEP_1)
	v_and_b32_e32 v1, 0xff, v1
	v_cmp_ne_u32_e32 vcc_lo, 0, v1
	s_and_b32 s28, vcc_lo, exec_lo
	s_delay_alu instid0(SALU_CYCLE_1)
	s_or_b32 s26, s26, s28
	s_or_b32 exec_lo, exec_lo, s27
	v_mov_b32_e32 v4, 0
	s_and_saveexec_b32 s27, s26
	s_cbranch_execnz .LBB25_4799
	s_branch .LBB25_4800
.LBB25_7915:
	v_bfe_u32 v1, v166, 20, 1
	s_mov_b32 s27, exec_lo
	s_delay_alu instid0(VALU_DEP_1) | instskip(NEXT) | instid1(VALU_DEP_1)
	v_add3_u32 v1, v166, v1, 0x487ffff
	v_lshrrev_b32_e32 v1, 20, v1
	s_and_not1_saveexec_b32 s28, s28
	s_cbranch_execz .LBB25_4914
.LBB25_7916:
	v_add_f32_e64 v1, 0x46000000, |v166|
	s_and_not1_b32 s27, s27, exec_lo
	s_delay_alu instid0(VALU_DEP_1) | instskip(NEXT) | instid1(VALU_DEP_1)
	v_and_b32_e32 v1, 0xff, v1
	v_cmp_ne_u32_e32 vcc_lo, 0, v1
	s_and_b32 s29, vcc_lo, exec_lo
	s_delay_alu instid0(SALU_CYCLE_1)
	s_or_b32 s27, s27, s29
	s_or_b32 exec_lo, exec_lo, s28
	v_mov_b32_e32 v4, 0
	s_and_saveexec_b32 s28, s27
	s_cbranch_execnz .LBB25_4915
	s_branch .LBB25_4916
.LBB25_7917:
	v_bfe_u32 v1, v166, 21, 1
	s_mov_b32 s28, exec_lo
	s_delay_alu instid0(VALU_DEP_1) | instskip(NEXT) | instid1(VALU_DEP_1)
	v_add3_u32 v1, v166, v1, 0x88fffff
	v_lshrrev_b32_e32 v1, 21, v1
	s_and_not1_saveexec_b32 s29, s29
	s_cbranch_execz .LBB25_4927
.LBB25_7918:
	v_add_f32_e64 v1, 0x42800000, |v166|
	s_and_not1_b32 s28, s28, exec_lo
	s_delay_alu instid0(VALU_DEP_1) | instskip(NEXT) | instid1(VALU_DEP_1)
	v_and_b32_e32 v1, 0xff, v1
	v_cmp_ne_u32_e32 vcc_lo, 0, v1
	s_and_b32 s40, vcc_lo, exec_lo
	s_delay_alu instid0(SALU_CYCLE_1)
	s_or_b32 s28, s28, s40
	s_or_b32 exec_lo, exec_lo, s29
	v_mov_b32_e32 v4, 0
	s_and_saveexec_b32 s29, s28
	s_cbranch_execnz .LBB25_4928
	s_branch .LBB25_4929
.LBB25_7919:
	v_bfe_u32 v1, v164, 20, 1
	s_mov_b32 s29, exec_lo
	s_delay_alu instid0(VALU_DEP_1) | instskip(NEXT) | instid1(VALU_DEP_1)
	v_add3_u32 v1, v164, v1, 0x487ffff
	v_lshrrev_b32_e32 v1, 20, v1
	s_and_not1_saveexec_b32 s40, s40
	s_cbranch_execz .LBB25_5043
.LBB25_7920:
	v_add_f32_e64 v1, 0x46000000, |v164|
	s_and_not1_b32 s29, s29, exec_lo
	s_delay_alu instid0(VALU_DEP_1) | instskip(NEXT) | instid1(VALU_DEP_1)
	v_and_b32_e32 v1, 0xff, v1
	v_cmp_ne_u32_e32 vcc_lo, 0, v1
	s_and_b32 s41, vcc_lo, exec_lo
	s_delay_alu instid0(SALU_CYCLE_1)
	s_or_b32 s29, s29, s41
	s_or_b32 exec_lo, exec_lo, s40
	v_mov_b32_e32 v4, 0
	s_and_saveexec_b32 s40, s29
	s_cbranch_execnz .LBB25_5044
	s_branch .LBB25_5045
.LBB25_7921:
	v_bfe_u32 v1, v164, 21, 1
	s_mov_b32 s40, exec_lo
	s_delay_alu instid0(VALU_DEP_1) | instskip(NEXT) | instid1(VALU_DEP_1)
	v_add3_u32 v1, v164, v1, 0x88fffff
	v_lshrrev_b32_e32 v1, 21, v1
	s_and_not1_saveexec_b32 s41, s41
	s_cbranch_execz .LBB25_5056
.LBB25_7922:
	v_add_f32_e64 v1, 0x42800000, |v164|
	s_and_not1_b32 s40, s40, exec_lo
	s_delay_alu instid0(VALU_DEP_1) | instskip(NEXT) | instid1(VALU_DEP_1)
	v_and_b32_e32 v1, 0xff, v1
	v_cmp_ne_u32_e32 vcc_lo, 0, v1
	s_and_b32 s42, vcc_lo, exec_lo
	s_delay_alu instid0(SALU_CYCLE_1)
	s_or_b32 s40, s40, s42
	s_or_b32 exec_lo, exec_lo, s41
	v_mov_b32_e32 v4, 0
	s_and_saveexec_b32 s41, s40
	s_cbranch_execnz .LBB25_5057
	s_branch .LBB25_5058
.LBB25_7923:
	v_bfe_u32 v1, v162, 20, 1
	s_mov_b32 s41, exec_lo
	s_delay_alu instid0(VALU_DEP_1) | instskip(NEXT) | instid1(VALU_DEP_1)
	v_add3_u32 v1, v162, v1, 0x487ffff
	v_lshrrev_b32_e32 v1, 20, v1
	s_and_not1_saveexec_b32 s42, s42
	s_cbranch_execz .LBB25_5172
.LBB25_7924:
	v_add_f32_e64 v1, 0x46000000, |v162|
	s_and_not1_b32 s41, s41, exec_lo
	s_delay_alu instid0(VALU_DEP_1) | instskip(NEXT) | instid1(VALU_DEP_1)
	v_and_b32_e32 v1, 0xff, v1
	v_cmp_ne_u32_e32 vcc_lo, 0, v1
	s_and_b32 s43, vcc_lo, exec_lo
	s_delay_alu instid0(SALU_CYCLE_1)
	s_or_b32 s41, s41, s43
	s_or_b32 exec_lo, exec_lo, s42
	v_mov_b32_e32 v4, 0
	s_and_saveexec_b32 s42, s41
	s_cbranch_execnz .LBB25_5173
	s_branch .LBB25_5174
.LBB25_7925:
	v_bfe_u32 v1, v162, 21, 1
	s_mov_b32 s42, exec_lo
	s_delay_alu instid0(VALU_DEP_1) | instskip(NEXT) | instid1(VALU_DEP_1)
	v_add3_u32 v1, v162, v1, 0x88fffff
	v_lshrrev_b32_e32 v1, 21, v1
	s_and_not1_saveexec_b32 s43, s43
	s_cbranch_execz .LBB25_5185
.LBB25_7926:
	v_add_f32_e64 v1, 0x42800000, |v162|
	s_and_not1_b32 s42, s42, exec_lo
	s_delay_alu instid0(VALU_DEP_1) | instskip(NEXT) | instid1(VALU_DEP_1)
	v_and_b32_e32 v1, 0xff, v1
	v_cmp_ne_u32_e32 vcc_lo, 0, v1
	s_and_b32 s44, vcc_lo, exec_lo
	s_delay_alu instid0(SALU_CYCLE_1)
	s_or_b32 s42, s42, s44
	s_or_b32 exec_lo, exec_lo, s43
	v_mov_b32_e32 v4, 0
	s_and_saveexec_b32 s43, s42
	s_cbranch_execnz .LBB25_5186
	s_branch .LBB25_5187
.LBB25_7927:
	v_bfe_u32 v1, v160, 20, 1
	s_mov_b32 s43, exec_lo
	s_delay_alu instid0(VALU_DEP_1) | instskip(NEXT) | instid1(VALU_DEP_1)
	v_add3_u32 v1, v160, v1, 0x487ffff
	v_lshrrev_b32_e32 v1, 20, v1
	s_and_not1_saveexec_b32 s44, s44
	s_cbranch_execz .LBB25_5301
.LBB25_7928:
	v_add_f32_e64 v1, 0x46000000, |v160|
	s_and_not1_b32 s43, s43, exec_lo
	s_delay_alu instid0(VALU_DEP_1) | instskip(NEXT) | instid1(VALU_DEP_1)
	v_and_b32_e32 v1, 0xff, v1
	v_cmp_ne_u32_e32 vcc_lo, 0, v1
	s_and_b32 s45, vcc_lo, exec_lo
	s_delay_alu instid0(SALU_CYCLE_1)
	s_or_b32 s43, s43, s45
	s_or_b32 exec_lo, exec_lo, s44
	v_mov_b32_e32 v4, 0
	s_and_saveexec_b32 s44, s43
	s_cbranch_execnz .LBB25_5302
	s_branch .LBB25_5303
.LBB25_7929:
	v_bfe_u32 v1, v160, 21, 1
	s_mov_b32 s44, exec_lo
	s_delay_alu instid0(VALU_DEP_1) | instskip(NEXT) | instid1(VALU_DEP_1)
	v_add3_u32 v1, v160, v1, 0x88fffff
	v_lshrrev_b32_e32 v1, 21, v1
	s_and_not1_saveexec_b32 s45, s45
	s_cbranch_execz .LBB25_5314
.LBB25_7930:
	v_add_f32_e64 v1, 0x42800000, |v160|
	s_and_not1_b32 s44, s44, exec_lo
	s_delay_alu instid0(VALU_DEP_1) | instskip(NEXT) | instid1(VALU_DEP_1)
	v_and_b32_e32 v1, 0xff, v1
	v_cmp_ne_u32_e32 vcc_lo, 0, v1
	s_and_b32 s46, vcc_lo, exec_lo
	s_delay_alu instid0(SALU_CYCLE_1)
	s_or_b32 s44, s44, s46
	s_or_b32 exec_lo, exec_lo, s45
	v_mov_b32_e32 v4, 0
	s_and_saveexec_b32 s45, s44
	s_cbranch_execnz .LBB25_5315
	s_branch .LBB25_5316
.LBB25_7931:
	v_bfe_u32 v1, v150, 20, 1
	s_mov_b32 s45, exec_lo
	s_delay_alu instid0(VALU_DEP_1) | instskip(NEXT) | instid1(VALU_DEP_1)
	v_add3_u32 v1, v150, v1, 0x487ffff
	v_lshrrev_b32_e32 v1, 20, v1
	s_and_not1_saveexec_b32 s46, s46
	s_cbranch_execz .LBB25_5430
.LBB25_7932:
	v_add_f32_e64 v1, 0x46000000, |v150|
	s_and_not1_b32 s45, s45, exec_lo
	s_delay_alu instid0(VALU_DEP_1) | instskip(NEXT) | instid1(VALU_DEP_1)
	v_and_b32_e32 v1, 0xff, v1
	v_cmp_ne_u32_e32 vcc_lo, 0, v1
	s_and_b32 s47, vcc_lo, exec_lo
	s_delay_alu instid0(SALU_CYCLE_1)
	s_or_b32 s45, s45, s47
	s_or_b32 exec_lo, exec_lo, s46
	v_mov_b32_e32 v4, 0
	s_and_saveexec_b32 s46, s45
	s_cbranch_execnz .LBB25_5431
	s_branch .LBB25_5432
.LBB25_7933:
	v_bfe_u32 v1, v150, 21, 1
	s_mov_b32 s46, exec_lo
	s_delay_alu instid0(VALU_DEP_1) | instskip(NEXT) | instid1(VALU_DEP_1)
	v_add3_u32 v1, v150, v1, 0x88fffff
	v_lshrrev_b32_e32 v1, 21, v1
	s_and_not1_saveexec_b32 s47, s47
	s_cbranch_execz .LBB25_5443
.LBB25_7934:
	v_add_f32_e64 v1, 0x42800000, |v150|
	s_and_not1_b32 s46, s46, exec_lo
	s_delay_alu instid0(VALU_DEP_1) | instskip(NEXT) | instid1(VALU_DEP_1)
	v_and_b32_e32 v1, 0xff, v1
	v_cmp_ne_u32_e32 vcc_lo, 0, v1
	s_and_b32 s56, vcc_lo, exec_lo
	s_delay_alu instid0(SALU_CYCLE_1)
	s_or_b32 s46, s46, s56
	s_or_b32 exec_lo, exec_lo, s47
	v_mov_b32_e32 v4, 0
	s_and_saveexec_b32 s47, s46
	s_cbranch_execnz .LBB25_5444
	s_branch .LBB25_5445
.LBB25_7935:
	v_bfe_u32 v1, v148, 20, 1
	s_mov_b32 s47, exec_lo
	s_delay_alu instid0(VALU_DEP_1) | instskip(NEXT) | instid1(VALU_DEP_1)
	v_add3_u32 v1, v148, v1, 0x487ffff
	v_lshrrev_b32_e32 v1, 20, v1
	s_and_not1_saveexec_b32 s56, s56
	s_cbranch_execz .LBB25_5559
.LBB25_7936:
	v_add_f32_e64 v1, 0x46000000, |v148|
	s_and_not1_b32 s47, s47, exec_lo
	s_delay_alu instid0(VALU_DEP_1) | instskip(NEXT) | instid1(VALU_DEP_1)
	v_and_b32_e32 v1, 0xff, v1
	v_cmp_ne_u32_e32 vcc_lo, 0, v1
	s_and_b32 s57, vcc_lo, exec_lo
	s_delay_alu instid0(SALU_CYCLE_1)
	s_or_b32 s47, s47, s57
	s_or_b32 exec_lo, exec_lo, s56
	v_mov_b32_e32 v4, 0
	s_and_saveexec_b32 s56, s47
	s_cbranch_execnz .LBB25_5560
	s_branch .LBB25_5561
.LBB25_7937:
	v_bfe_u32 v1, v148, 21, 1
	s_mov_b32 s56, exec_lo
	s_delay_alu instid0(VALU_DEP_1) | instskip(NEXT) | instid1(VALU_DEP_1)
	v_add3_u32 v1, v148, v1, 0x88fffff
	v_lshrrev_b32_e32 v1, 21, v1
	s_and_not1_saveexec_b32 s57, s57
	s_cbranch_execz .LBB25_5572
.LBB25_7938:
	v_add_f32_e64 v1, 0x42800000, |v148|
	s_and_not1_b32 s56, s56, exec_lo
	s_delay_alu instid0(VALU_DEP_1) | instskip(NEXT) | instid1(VALU_DEP_1)
	v_and_b32_e32 v1, 0xff, v1
	v_cmp_ne_u32_e32 vcc_lo, 0, v1
	s_and_b32 s58, vcc_lo, exec_lo
	s_delay_alu instid0(SALU_CYCLE_1)
	s_or_b32 s56, s56, s58
	s_or_b32 exec_lo, exec_lo, s57
	v_mov_b32_e32 v4, 0
	s_and_saveexec_b32 s57, s56
	s_cbranch_execnz .LBB25_5573
	s_branch .LBB25_5574
.LBB25_7939:
	v_bfe_u32 v1, v146, 20, 1
	s_mov_b32 s57, exec_lo
	s_delay_alu instid0(VALU_DEP_1) | instskip(NEXT) | instid1(VALU_DEP_1)
	v_add3_u32 v1, v146, v1, 0x487ffff
	v_lshrrev_b32_e32 v1, 20, v1
	s_and_not1_saveexec_b32 s58, s58
	s_cbranch_execz .LBB25_5688
.LBB25_7940:
	v_add_f32_e64 v1, 0x46000000, |v146|
	s_and_not1_b32 s57, s57, exec_lo
	s_delay_alu instid0(VALU_DEP_1) | instskip(NEXT) | instid1(VALU_DEP_1)
	v_and_b32_e32 v1, 0xff, v1
	v_cmp_ne_u32_e32 vcc_lo, 0, v1
	s_and_b32 s59, vcc_lo, exec_lo
	s_delay_alu instid0(SALU_CYCLE_1)
	s_or_b32 s57, s57, s59
	s_or_b32 exec_lo, exec_lo, s58
	v_mov_b32_e32 v4, 0
	s_and_saveexec_b32 s58, s57
	s_cbranch_execnz .LBB25_5689
	s_branch .LBB25_5690
.LBB25_7941:
	v_bfe_u32 v1, v146, 21, 1
	s_mov_b32 s58, exec_lo
	s_delay_alu instid0(VALU_DEP_1) | instskip(NEXT) | instid1(VALU_DEP_1)
	v_add3_u32 v1, v146, v1, 0x88fffff
	v_lshrrev_b32_e32 v1, 21, v1
	s_and_not1_saveexec_b32 s59, s59
	s_cbranch_execz .LBB25_5701
.LBB25_7942:
	v_add_f32_e64 v1, 0x42800000, |v146|
	s_and_not1_b32 s58, s58, exec_lo
	s_delay_alu instid0(VALU_DEP_1) | instskip(NEXT) | instid1(VALU_DEP_1)
	v_and_b32_e32 v1, 0xff, v1
	v_cmp_ne_u32_e32 vcc_lo, 0, v1
	s_and_b32 s63, vcc_lo, exec_lo
	s_delay_alu instid0(SALU_CYCLE_1)
	s_or_b32 s58, s58, s63
	s_or_b32 exec_lo, exec_lo, s59
	v_mov_b32_e32 v4, 0
	s_and_saveexec_b32 s59, s58
	s_cbranch_execnz .LBB25_5702
	s_branch .LBB25_5703
.LBB25_7943:
	v_bfe_u32 v1, v144, 20, 1
	s_mov_b32 s59, exec_lo
	s_delay_alu instid0(VALU_DEP_1) | instskip(NEXT) | instid1(VALU_DEP_1)
	v_add3_u32 v1, v144, v1, 0x487ffff
	v_lshrrev_b32_e32 v1, 20, v1
	s_and_not1_saveexec_b32 s63, s63
	s_cbranch_execz .LBB25_5817
.LBB25_7944:
	v_add_f32_e64 v1, 0x46000000, |v144|
	s_and_not1_b32 s59, s59, exec_lo
	s_delay_alu instid0(VALU_DEP_1) | instskip(NEXT) | instid1(VALU_DEP_1)
	v_and_b32_e32 v1, 0xff, v1
	v_cmp_ne_u32_e32 vcc_lo, 0, v1
	s_and_b32 s72, vcc_lo, exec_lo
	s_delay_alu instid0(SALU_CYCLE_1)
	s_or_b32 s59, s59, s72
	s_or_b32 exec_lo, exec_lo, s63
	v_mov_b32_e32 v4, 0
	s_and_saveexec_b32 s63, s59
	s_cbranch_execnz .LBB25_5818
	s_branch .LBB25_5819
.LBB25_7945:
	v_bfe_u32 v1, v144, 21, 1
	s_mov_b32 s63, exec_lo
	s_delay_alu instid0(VALU_DEP_1) | instskip(NEXT) | instid1(VALU_DEP_1)
	v_add3_u32 v1, v144, v1, 0x88fffff
	v_lshrrev_b32_e32 v1, 21, v1
	s_and_not1_saveexec_b32 s72, s72
	s_cbranch_execz .LBB25_5830
.LBB25_7946:
	v_add_f32_e64 v1, 0x42800000, |v144|
	s_and_not1_b32 s63, s63, exec_lo
	s_delay_alu instid0(VALU_DEP_1) | instskip(NEXT) | instid1(VALU_DEP_1)
	v_and_b32_e32 v1, 0xff, v1
	v_cmp_ne_u32_e32 vcc_lo, 0, v1
	s_and_b32 s73, vcc_lo, exec_lo
	s_delay_alu instid0(SALU_CYCLE_1)
	s_or_b32 s63, s63, s73
	s_or_b32 exec_lo, exec_lo, s72
	v_mov_b32_e32 v4, 0
	s_and_saveexec_b32 s72, s63
	s_cbranch_execnz .LBB25_5831
	s_branch .LBB25_5832
.LBB25_7947:
	v_bfe_u32 v1, v134, 20, 1
	s_mov_b32 s72, exec_lo
	s_delay_alu instid0(VALU_DEP_1) | instskip(NEXT) | instid1(VALU_DEP_1)
	v_add3_u32 v1, v134, v1, 0x487ffff
	v_lshrrev_b32_e32 v1, 20, v1
	s_and_not1_saveexec_b32 s73, s73
	s_cbranch_execz .LBB25_5946
.LBB25_7948:
	v_add_f32_e64 v1, 0x46000000, |v134|
	s_and_not1_b32 s72, s72, exec_lo
	s_delay_alu instid0(VALU_DEP_1) | instskip(NEXT) | instid1(VALU_DEP_1)
	v_and_b32_e32 v1, 0xff, v1
	v_cmp_ne_u32_e32 vcc_lo, 0, v1
	s_and_b32 s74, vcc_lo, exec_lo
	s_delay_alu instid0(SALU_CYCLE_1)
	s_or_b32 s72, s72, s74
	s_or_b32 exec_lo, exec_lo, s73
	v_mov_b32_e32 v4, 0
	s_and_saveexec_b32 s73, s72
	s_cbranch_execnz .LBB25_5947
	s_branch .LBB25_5948
.LBB25_7949:
	v_bfe_u32 v1, v134, 21, 1
	s_mov_b32 s73, exec_lo
	s_delay_alu instid0(VALU_DEP_1) | instskip(NEXT) | instid1(VALU_DEP_1)
	v_add3_u32 v1, v134, v1, 0x88fffff
	v_lshrrev_b32_e32 v1, 21, v1
	s_and_not1_saveexec_b32 s74, s74
	s_cbranch_execz .LBB25_5959
.LBB25_7950:
	v_add_f32_e64 v1, 0x42800000, |v134|
	s_and_not1_b32 s73, s73, exec_lo
	s_delay_alu instid0(VALU_DEP_1) | instskip(NEXT) | instid1(VALU_DEP_1)
	v_and_b32_e32 v1, 0xff, v1
	v_cmp_ne_u32_e32 vcc_lo, 0, v1
	s_and_b32 s75, vcc_lo, exec_lo
	s_delay_alu instid0(SALU_CYCLE_1)
	s_or_b32 s73, s73, s75
	s_or_b32 exec_lo, exec_lo, s74
	v_mov_b32_e32 v4, 0
	s_and_saveexec_b32 s74, s73
	s_cbranch_execnz .LBB25_5960
	s_branch .LBB25_5961
.LBB25_7951:
	v_bfe_u32 v1, v132, 20, 1
	s_mov_b32 s74, exec_lo
	s_delay_alu instid0(VALU_DEP_1) | instskip(NEXT) | instid1(VALU_DEP_1)
	v_add3_u32 v1, v132, v1, 0x487ffff
	v_lshrrev_b32_e32 v1, 20, v1
	s_and_not1_saveexec_b32 s75, s75
	s_cbranch_execz .LBB25_6075
.LBB25_7952:
	v_add_f32_e64 v1, 0x46000000, |v132|
	s_and_not1_b32 s74, s74, exec_lo
	s_delay_alu instid0(VALU_DEP_1) | instskip(NEXT) | instid1(VALU_DEP_1)
	v_and_b32_e32 v1, 0xff, v1
	v_cmp_ne_u32_e32 vcc_lo, 0, v1
	s_and_b32 s76, vcc_lo, exec_lo
	s_delay_alu instid0(SALU_CYCLE_1)
	s_or_b32 s74, s74, s76
	s_or_b32 exec_lo, exec_lo, s75
	v_mov_b32_e32 v4, 0
	s_and_saveexec_b32 s75, s74
	s_cbranch_execnz .LBB25_6076
	s_branch .LBB25_6077
.LBB25_7953:
	v_bfe_u32 v1, v132, 21, 1
	s_mov_b32 s75, exec_lo
	s_delay_alu instid0(VALU_DEP_1) | instskip(NEXT) | instid1(VALU_DEP_1)
	v_add3_u32 v1, v132, v1, 0x88fffff
	v_lshrrev_b32_e32 v1, 21, v1
	s_and_not1_saveexec_b32 s76, s76
	s_cbranch_execz .LBB25_6088
.LBB25_7954:
	v_add_f32_e64 v1, 0x42800000, |v132|
	s_and_not1_b32 s75, s75, exec_lo
	s_delay_alu instid0(VALU_DEP_1) | instskip(NEXT) | instid1(VALU_DEP_1)
	v_and_b32_e32 v1, 0xff, v1
	v_cmp_ne_u32_e32 vcc_lo, 0, v1
	s_and_b32 s77, vcc_lo, exec_lo
	s_delay_alu instid0(SALU_CYCLE_1)
	s_or_b32 s75, s75, s77
	s_or_b32 exec_lo, exec_lo, s76
	v_mov_b32_e32 v4, 0
	s_and_saveexec_b32 s76, s75
	s_cbranch_execnz .LBB25_6089
	s_branch .LBB25_6090
.LBB25_7955:
	v_bfe_u32 v1, v130, 20, 1
	s_mov_b32 s76, exec_lo
	s_delay_alu instid0(VALU_DEP_1) | instskip(NEXT) | instid1(VALU_DEP_1)
	v_add3_u32 v1, v130, v1, 0x487ffff
	v_lshrrev_b32_e32 v1, 20, v1
	s_and_not1_saveexec_b32 s77, s77
	s_cbranch_execz .LBB25_6204
.LBB25_7956:
	v_add_f32_e64 v1, 0x46000000, |v130|
	s_and_not1_b32 s76, s76, exec_lo
	s_delay_alu instid0(VALU_DEP_1) | instskip(NEXT) | instid1(VALU_DEP_1)
	v_and_b32_e32 v1, 0xff, v1
	v_cmp_ne_u32_e32 vcc_lo, 0, v1
	s_and_b32 s78, vcc_lo, exec_lo
	s_delay_alu instid0(SALU_CYCLE_1)
	s_or_b32 s76, s76, s78
	s_or_b32 exec_lo, exec_lo, s77
	v_mov_b32_e32 v4, 0
	s_and_saveexec_b32 s77, s76
	s_cbranch_execnz .LBB25_6205
	s_branch .LBB25_6206
.LBB25_7957:
	v_bfe_u32 v1, v130, 21, 1
	s_mov_b32 s77, exec_lo
	s_delay_alu instid0(VALU_DEP_1) | instskip(NEXT) | instid1(VALU_DEP_1)
	v_add3_u32 v1, v130, v1, 0x88fffff
	v_lshrrev_b32_e32 v1, 21, v1
	s_and_not1_saveexec_b32 s78, s78
	s_cbranch_execz .LBB25_6217
.LBB25_7958:
	v_add_f32_e64 v1, 0x42800000, |v130|
	s_and_not1_b32 s77, s77, exec_lo
	s_delay_alu instid0(VALU_DEP_1) | instskip(NEXT) | instid1(VALU_DEP_1)
	v_and_b32_e32 v1, 0xff, v1
	v_cmp_ne_u32_e32 vcc_lo, 0, v1
	s_and_b32 s79, vcc_lo, exec_lo
	s_delay_alu instid0(SALU_CYCLE_1)
	s_or_b32 s77, s77, s79
	s_or_b32 exec_lo, exec_lo, s78
	v_mov_b32_e32 v4, 0
	s_and_saveexec_b32 s78, s77
	s_cbranch_execnz .LBB25_6218
	s_branch .LBB25_6219
.LBB25_7959:
	v_bfe_u32 v1, v128, 20, 1
	s_mov_b32 s78, exec_lo
	s_delay_alu instid0(VALU_DEP_1) | instskip(NEXT) | instid1(VALU_DEP_1)
	v_add3_u32 v1, v128, v1, 0x487ffff
	v_lshrrev_b32_e32 v1, 20, v1
	s_and_not1_saveexec_b32 s79, s79
	s_cbranch_execz .LBB25_6333
.LBB25_7960:
	v_add_f32_e64 v1, 0x46000000, |v128|
	s_and_not1_b32 s78, s78, exec_lo
	s_delay_alu instid0(VALU_DEP_1) | instskip(NEXT) | instid1(VALU_DEP_1)
	v_and_b32_e32 v1, 0xff, v1
	v_cmp_ne_u32_e32 vcc_lo, 0, v1
	s_and_b32 s88, vcc_lo, exec_lo
	s_delay_alu instid0(SALU_CYCLE_1)
	s_or_b32 s78, s78, s88
	s_or_b32 exec_lo, exec_lo, s79
	v_mov_b32_e32 v4, 0
	s_and_saveexec_b32 s79, s78
	s_cbranch_execnz .LBB25_6334
	s_branch .LBB25_6335
.LBB25_7961:
	v_bfe_u32 v1, v128, 21, 1
	s_mov_b32 s79, exec_lo
	s_delay_alu instid0(VALU_DEP_1) | instskip(NEXT) | instid1(VALU_DEP_1)
	v_add3_u32 v1, v128, v1, 0x88fffff
	v_lshrrev_b32_e32 v1, 21, v1
	s_and_not1_saveexec_b32 s88, s88
	s_cbranch_execz .LBB25_6346
.LBB25_7962:
	v_add_f32_e64 v1, 0x42800000, |v128|
	s_and_not1_b32 s79, s79, exec_lo
	s_delay_alu instid0(VALU_DEP_1) | instskip(NEXT) | instid1(VALU_DEP_1)
	v_and_b32_e32 v1, 0xff, v1
	v_cmp_ne_u32_e32 vcc_lo, 0, v1
	s_and_b32 s89, vcc_lo, exec_lo
	s_delay_alu instid0(SALU_CYCLE_1)
	s_or_b32 s79, s79, s89
	s_or_b32 exec_lo, exec_lo, s88
	v_mov_b32_e32 v4, 0
	s_and_saveexec_b32 s88, s79
	s_cbranch_execnz .LBB25_6347
	s_branch .LBB25_6348
.LBB25_7963:
	v_bfe_u32 v1, v118, 20, 1
	s_mov_b32 s88, exec_lo
	s_delay_alu instid0(VALU_DEP_1) | instskip(NEXT) | instid1(VALU_DEP_1)
	v_add3_u32 v1, v118, v1, 0x487ffff
	v_lshrrev_b32_e32 v1, 20, v1
	s_and_not1_saveexec_b32 s89, s89
	s_cbranch_execz .LBB25_6462
.LBB25_7964:
	v_add_f32_e64 v1, 0x46000000, |v118|
	s_and_not1_b32 s88, s88, exec_lo
	s_delay_alu instid0(VALU_DEP_1) | instskip(NEXT) | instid1(VALU_DEP_1)
	v_and_b32_e32 v1, 0xff, v1
	v_cmp_ne_u32_e32 vcc_lo, 0, v1
	s_and_b32 s90, vcc_lo, exec_lo
	s_delay_alu instid0(SALU_CYCLE_1)
	s_or_b32 s88, s88, s90
	s_or_b32 exec_lo, exec_lo, s89
	v_mov_b32_e32 v4, 0
	s_and_saveexec_b32 s89, s88
	s_cbranch_execnz .LBB25_6463
	s_branch .LBB25_6464
.LBB25_7965:
	v_bfe_u32 v1, v118, 21, 1
	s_mov_b32 s89, exec_lo
	s_delay_alu instid0(VALU_DEP_1) | instskip(NEXT) | instid1(VALU_DEP_1)
	v_add3_u32 v1, v118, v1, 0x88fffff
	v_lshrrev_b32_e32 v1, 21, v1
	s_and_not1_saveexec_b32 s90, s90
	s_cbranch_execz .LBB25_6475
.LBB25_7966:
	v_add_f32_e64 v1, 0x42800000, |v118|
	s_and_not1_b32 s89, s89, exec_lo
	s_delay_alu instid0(VALU_DEP_1) | instskip(NEXT) | instid1(VALU_DEP_1)
	v_and_b32_e32 v1, 0xff, v1
	v_cmp_ne_u32_e32 vcc_lo, 0, v1
	s_and_b32 s91, vcc_lo, exec_lo
	s_delay_alu instid0(SALU_CYCLE_1)
	s_or_b32 s89, s89, s91
	s_or_b32 exec_lo, exec_lo, s90
	v_mov_b32_e32 v4, 0
	s_and_saveexec_b32 s90, s89
	s_cbranch_execnz .LBB25_6476
	s_branch .LBB25_6477
.LBB25_7967:
	v_bfe_u32 v1, v116, 20, 1
	s_mov_b32 s90, exec_lo
	s_delay_alu instid0(VALU_DEP_1) | instskip(NEXT) | instid1(VALU_DEP_1)
	v_add3_u32 v1, v116, v1, 0x487ffff
	v_lshrrev_b32_e32 v1, 20, v1
	s_and_not1_saveexec_b32 s91, s91
	s_cbranch_execz .LBB25_6591
.LBB25_7968:
	v_add_f32_e64 v1, 0x46000000, |v116|
	s_and_not1_b32 s90, s90, exec_lo
	s_delay_alu instid0(VALU_DEP_1) | instskip(NEXT) | instid1(VALU_DEP_1)
	v_and_b32_e32 v1, 0xff, v1
	v_cmp_ne_u32_e32 vcc_lo, 0, v1
	s_and_b32 s92, vcc_lo, exec_lo
	s_delay_alu instid0(SALU_CYCLE_1)
	s_or_b32 s90, s90, s92
	s_or_b32 exec_lo, exec_lo, s91
	v_mov_b32_e32 v4, 0
	s_and_saveexec_b32 s91, s90
	s_cbranch_execnz .LBB25_6592
	s_branch .LBB25_6593
.LBB25_7969:
	v_bfe_u32 v1, v116, 21, 1
	s_mov_b32 s91, exec_lo
	s_delay_alu instid0(VALU_DEP_1) | instskip(NEXT) | instid1(VALU_DEP_1)
	v_add3_u32 v1, v116, v1, 0x88fffff
	v_lshrrev_b32_e32 v1, 21, v1
	s_and_not1_saveexec_b32 s92, s92
	s_cbranch_execz .LBB25_6604
.LBB25_7970:
	v_add_f32_e64 v1, 0x42800000, |v116|
	s_and_not1_b32 s91, s91, exec_lo
	s_delay_alu instid0(VALU_DEP_1) | instskip(NEXT) | instid1(VALU_DEP_1)
	v_and_b32_e32 v1, 0xff, v1
	v_cmp_ne_u32_e32 vcc_lo, 0, v1
	s_and_b32 s93, vcc_lo, exec_lo
	s_delay_alu instid0(SALU_CYCLE_1)
	s_or_b32 s91, s91, s93
	s_or_b32 exec_lo, exec_lo, s92
	v_mov_b32_e32 v4, 0
	s_and_saveexec_b32 s92, s91
	s_cbranch_execnz .LBB25_6605
	s_branch .LBB25_6606
.LBB25_7971:
	v_bfe_u32 v1, v114, 20, 1
	s_mov_b32 s92, exec_lo
	s_delay_alu instid0(VALU_DEP_1) | instskip(NEXT) | instid1(VALU_DEP_1)
	v_add3_u32 v1, v114, v1, 0x487ffff
	v_lshrrev_b32_e32 v1, 20, v1
	s_and_not1_saveexec_b32 s93, s93
	s_cbranch_execz .LBB25_6720
.LBB25_7972:
	v_add_f32_e64 v1, 0x46000000, |v114|
	s_and_not1_b32 s92, s92, exec_lo
	s_delay_alu instid0(VALU_DEP_1) | instskip(NEXT) | instid1(VALU_DEP_1)
	v_and_b32_e32 v1, 0xff, v1
	v_cmp_ne_u32_e32 vcc_lo, 0, v1
	s_and_b32 s94, vcc_lo, exec_lo
	s_delay_alu instid0(SALU_CYCLE_1)
	s_or_b32 s92, s92, s94
	s_or_b32 exec_lo, exec_lo, s93
	v_mov_b32_e32 v4, 0
	s_and_saveexec_b32 s93, s92
	s_cbranch_execnz .LBB25_6721
	s_branch .LBB25_6722
.LBB25_7973:
	v_bfe_u32 v1, v114, 21, 1
	s_mov_b32 s93, exec_lo
	s_delay_alu instid0(VALU_DEP_1) | instskip(NEXT) | instid1(VALU_DEP_1)
	v_add3_u32 v1, v114, v1, 0x88fffff
	v_lshrrev_b32_e32 v1, 21, v1
	s_and_not1_saveexec_b32 s94, s94
	s_cbranch_execz .LBB25_6733
.LBB25_7974:
	v_add_f32_e64 v1, 0x42800000, |v114|
	s_and_not1_b32 s93, s93, exec_lo
	s_delay_alu instid0(VALU_DEP_1) | instskip(NEXT) | instid1(VALU_DEP_1)
	v_and_b32_e32 v1, 0xff, v1
	v_cmp_ne_u32_e32 vcc_lo, 0, v1
	s_and_b32 s95, vcc_lo, exec_lo
	s_delay_alu instid0(SALU_CYCLE_1)
	s_or_b32 s93, s93, s95
	s_or_b32 exec_lo, exec_lo, s94
	v_mov_b32_e32 v4, 0
	s_and_saveexec_b32 s94, s93
	s_cbranch_execnz .LBB25_6734
	s_branch .LBB25_6735
.LBB25_7975:
	v_bfe_u32 v1, v112, 20, 1
	s_mov_b32 s94, exec_lo
	s_delay_alu instid0(VALU_DEP_1) | instskip(NEXT) | instid1(VALU_DEP_1)
	v_add3_u32 v1, v112, v1, 0x487ffff
	v_lshrrev_b32_e32 v1, 20, v1
	s_and_not1_saveexec_b32 s95, s95
	s_cbranch_execz .LBB25_6849
.LBB25_7976:
	v_add_f32_e64 v1, 0x46000000, |v112|
	s_and_not1_b32 s94, s94, exec_lo
	s_delay_alu instid0(VALU_DEP_1) | instskip(NEXT) | instid1(VALU_DEP_1)
	v_and_b32_e32 v1, 0xff, v1
	v_cmp_ne_u32_e32 vcc_lo, 0, v1
	s_and_b32 vcc_lo, vcc_lo, exec_lo
	s_delay_alu instid0(SALU_CYCLE_1)
	s_or_b32 s94, s94, vcc_lo
	s_or_b32 exec_lo, exec_lo, s95
	v_mov_b32_e32 v4, 0
	s_and_saveexec_b32 s95, s94
	s_cbranch_execnz .LBB25_6850
	s_branch .LBB25_6851
.LBB25_7977:
	v_bfe_u32 v1, v112, 21, 1
	s_mov_b32 s95, exec_lo
	s_delay_alu instid0(VALU_DEP_1) | instskip(NEXT) | instid1(VALU_DEP_1)
	v_add3_u32 v1, v112, v1, 0x88fffff
	v_lshrrev_b32_e32 v1, 21, v1
	s_and_not1_saveexec_b32 vcc_hi, vcc_lo
	s_cbranch_execz .LBB25_6862
.LBB25_7978:
	v_add_f32_e64 v1, 0x42800000, |v112|
	s_and_not1_b32 s95, s95, exec_lo
	s_delay_alu instid0(VALU_DEP_1) | instskip(NEXT) | instid1(VALU_DEP_1)
	v_and_b32_e32 v1, 0xff, v1
	v_cmp_ne_u32_e32 vcc_lo, 0, v1
	s_and_b32 vcc_lo, vcc_lo, exec_lo
	s_delay_alu instid0(SALU_CYCLE_1)
	s_or_b32 s95, s95, vcc_lo
	s_or_b32 exec_lo, exec_lo, vcc_hi
	v_mov_b32_e32 v4, 0
	s_and_saveexec_b32 vcc_lo, s95
	s_cbranch_execnz .LBB25_6863
	s_branch .LBB25_6864
.LBB25_7979:
	v_bfe_u32 v1, v102, 20, 1
	s_mov_b32 vcc_hi, exec_lo
	s_delay_alu instid0(VALU_DEP_1) | instskip(NEXT) | instid1(VALU_DEP_1)
	v_add3_u32 v1, v102, v1, 0x487ffff
	v_lshrrev_b32_e32 v1, 20, v1
	s_and_not1_saveexec_b32 s30, vcc_lo
	s_cbranch_execz .LBB25_6978
.LBB25_7980:
	v_add_f32_e64 v1, 0x46000000, |v102|
	s_and_not1_b32 vcc_hi, vcc_hi, exec_lo
	s_delay_alu instid0(VALU_DEP_1) | instskip(NEXT) | instid1(VALU_DEP_1)
	v_and_b32_e32 v1, 0xff, v1
	v_cmp_ne_u32_e32 vcc_lo, 0, v1
	s_and_b32 vcc_lo, vcc_lo, exec_lo
	s_delay_alu instid0(SALU_CYCLE_1)
	s_or_b32 vcc_hi, vcc_hi, vcc_lo
	s_or_b32 exec_lo, exec_lo, s30
	v_mov_b32_e32 v4, 0
	s_and_saveexec_b32 vcc_lo, vcc_hi
	s_cbranch_execnz .LBB25_6979
	s_branch .LBB25_6980
.LBB25_7981:
	v_bfe_u32 v1, v102, 21, 1
	s_mov_b32 s30, exec_lo
	s_delay_alu instid0(VALU_DEP_1) | instskip(NEXT) | instid1(VALU_DEP_1)
	v_add3_u32 v1, v102, v1, 0x88fffff
	v_lshrrev_b32_e32 v1, 21, v1
	s_and_not1_saveexec_b32 s31, vcc_lo
	s_cbranch_execz .LBB25_6991
.LBB25_7982:
	v_add_f32_e64 v1, 0x42800000, |v102|
	s_and_not1_b32 s30, s30, exec_lo
	s_delay_alu instid0(VALU_DEP_1) | instskip(NEXT) | instid1(VALU_DEP_1)
	v_and_b32_e32 v1, 0xff, v1
	v_cmp_ne_u32_e32 vcc_lo, 0, v1
	s_and_b32 vcc_lo, vcc_lo, exec_lo
	s_delay_alu instid0(SALU_CYCLE_1)
	s_or_b32 s30, s30, vcc_lo
	s_or_b32 exec_lo, exec_lo, s31
	v_mov_b32_e32 v4, 0
	s_and_saveexec_b32 vcc_lo, s30
	s_cbranch_execnz .LBB25_6992
	s_branch .LBB25_6993
.LBB25_7983:
	v_bfe_u32 v1, v100, 20, 1
	s_mov_b32 s31, exec_lo
	s_delay_alu instid0(VALU_DEP_1) | instskip(NEXT) | instid1(VALU_DEP_1)
	v_add3_u32 v1, v100, v1, 0x487ffff
	v_lshrrev_b32_e32 v1, 20, v1
	s_and_not1_saveexec_b32 s34, vcc_lo
	s_cbranch_execz .LBB25_7107
.LBB25_7984:
	v_add_f32_e64 v1, 0x46000000, |v100|
	s_and_not1_b32 s31, s31, exec_lo
	s_delay_alu instid0(VALU_DEP_1) | instskip(NEXT) | instid1(VALU_DEP_1)
	v_and_b32_e32 v1, 0xff, v1
	v_cmp_ne_u32_e32 vcc_lo, 0, v1
	s_and_b32 vcc_lo, vcc_lo, exec_lo
	s_delay_alu instid0(SALU_CYCLE_1)
	s_or_b32 s31, s31, vcc_lo
	s_or_b32 exec_lo, exec_lo, s34
	v_mov_b32_e32 v4, 0
	s_and_saveexec_b32 vcc_lo, s31
	s_cbranch_execnz .LBB25_7108
	s_branch .LBB25_7109
.LBB25_7985:
	v_bfe_u32 v1, v100, 21, 1
	s_mov_b32 s34, exec_lo
	s_delay_alu instid0(VALU_DEP_1) | instskip(NEXT) | instid1(VALU_DEP_1)
	v_add3_u32 v1, v100, v1, 0x88fffff
	v_lshrrev_b32_e32 v1, 21, v1
	s_and_not1_saveexec_b32 s35, vcc_lo
	s_cbranch_execz .LBB25_7120
.LBB25_7986:
	v_add_f32_e64 v1, 0x42800000, |v100|
	s_and_not1_b32 s34, s34, exec_lo
	s_delay_alu instid0(VALU_DEP_1) | instskip(NEXT) | instid1(VALU_DEP_1)
	v_and_b32_e32 v1, 0xff, v1
	v_cmp_ne_u32_e32 vcc_lo, 0, v1
	s_and_b32 vcc_lo, vcc_lo, exec_lo
	s_delay_alu instid0(SALU_CYCLE_1)
	s_or_b32 s34, s34, vcc_lo
	s_or_b32 exec_lo, exec_lo, s35
	v_mov_b32_e32 v4, 0
	s_and_saveexec_b32 vcc_lo, s34
	s_cbranch_execnz .LBB25_7121
	s_branch .LBB25_7122
.LBB25_7987:
	v_bfe_u32 v1, v98, 20, 1
	s_mov_b32 s35, exec_lo
	s_delay_alu instid0(VALU_DEP_1) | instskip(NEXT) | instid1(VALU_DEP_1)
	v_add3_u32 v1, v98, v1, 0x487ffff
	v_lshrrev_b32_e32 v1, 20, v1
	s_and_not1_saveexec_b32 s36, vcc_lo
	s_cbranch_execz .LBB25_7236
.LBB25_7988:
	v_add_f32_e64 v1, 0x46000000, |v98|
	s_and_not1_b32 s35, s35, exec_lo
	s_delay_alu instid0(VALU_DEP_1) | instskip(NEXT) | instid1(VALU_DEP_1)
	v_and_b32_e32 v1, 0xff, v1
	v_cmp_ne_u32_e32 vcc_lo, 0, v1
	s_and_b32 vcc_lo, vcc_lo, exec_lo
	s_delay_alu instid0(SALU_CYCLE_1)
	s_or_b32 s35, s35, vcc_lo
	s_or_b32 exec_lo, exec_lo, s36
	v_mov_b32_e32 v4, 0
	s_and_saveexec_b32 vcc_lo, s35
	s_cbranch_execnz .LBB25_7237
	s_branch .LBB25_7238
.LBB25_7989:
	v_bfe_u32 v1, v98, 21, 1
	s_mov_b32 s36, exec_lo
	s_delay_alu instid0(VALU_DEP_1) | instskip(NEXT) | instid1(VALU_DEP_1)
	v_add3_u32 v1, v98, v1, 0x88fffff
	v_lshrrev_b32_e32 v1, 21, v1
	s_and_not1_saveexec_b32 s37, vcc_lo
	s_cbranch_execz .LBB25_7249
.LBB25_7990:
	v_add_f32_e64 v1, 0x42800000, |v98|
	s_and_not1_b32 s36, s36, exec_lo
	s_delay_alu instid0(VALU_DEP_1) | instskip(NEXT) | instid1(VALU_DEP_1)
	v_and_b32_e32 v1, 0xff, v1
	v_cmp_ne_u32_e32 vcc_lo, 0, v1
	s_and_b32 vcc_lo, vcc_lo, exec_lo
	s_delay_alu instid0(SALU_CYCLE_1)
	s_or_b32 s36, s36, vcc_lo
	s_or_b32 exec_lo, exec_lo, s37
	v_mov_b32_e32 v4, 0
	s_and_saveexec_b32 vcc_lo, s36
	s_cbranch_execnz .LBB25_7250
	s_branch .LBB25_7251
.LBB25_7991:
	v_bfe_u32 v1, v96, 20, 1
	s_mov_b32 s37, exec_lo
	s_delay_alu instid0(VALU_DEP_1) | instskip(NEXT) | instid1(VALU_DEP_1)
	v_add3_u32 v1, v96, v1, 0x487ffff
	v_lshrrev_b32_e32 v1, 20, v1
	s_and_not1_saveexec_b32 s38, vcc_lo
	s_cbranch_execz .LBB25_7365
.LBB25_7992:
	v_add_f32_e64 v1, 0x46000000, |v96|
	s_and_not1_b32 s37, s37, exec_lo
	s_delay_alu instid0(VALU_DEP_1) | instskip(NEXT) | instid1(VALU_DEP_1)
	v_and_b32_e32 v1, 0xff, v1
	v_cmp_ne_u32_e32 vcc_lo, 0, v1
	s_and_b32 vcc_lo, vcc_lo, exec_lo
	s_delay_alu instid0(SALU_CYCLE_1)
	s_or_b32 s37, s37, vcc_lo
	s_or_b32 exec_lo, exec_lo, s38
	v_mov_b32_e32 v4, 0
	s_and_saveexec_b32 vcc_lo, s37
	s_cbranch_execnz .LBB25_7366
	s_branch .LBB25_7367
.LBB25_7993:
	v_bfe_u32 v1, v96, 21, 1
	s_mov_b32 s38, exec_lo
	s_delay_alu instid0(VALU_DEP_1) | instskip(NEXT) | instid1(VALU_DEP_1)
	v_add3_u32 v1, v96, v1, 0x88fffff
	v_lshrrev_b32_e32 v1, 21, v1
	s_and_not1_saveexec_b32 s39, vcc_lo
	s_cbranch_execz .LBB25_7378
.LBB25_7994:
	v_add_f32_e64 v1, 0x42800000, |v96|
	s_and_not1_b32 s38, s38, exec_lo
	s_delay_alu instid0(VALU_DEP_1) | instskip(NEXT) | instid1(VALU_DEP_1)
	v_and_b32_e32 v1, 0xff, v1
	v_cmp_ne_u32_e32 vcc_lo, 0, v1
	s_and_b32 vcc_lo, vcc_lo, exec_lo
	s_delay_alu instid0(SALU_CYCLE_1)
	s_or_b32 s38, s38, vcc_lo
	s_or_b32 exec_lo, exec_lo, s39
	v_mov_b32_e32 v4, 0
	s_and_saveexec_b32 vcc_lo, s38
	s_cbranch_execnz .LBB25_7379
	s_branch .LBB25_7380
.LBB25_7995:
	v_bfe_u32 v1, v86, 20, 1
	s_mov_b32 s39, exec_lo
	s_delay_alu instid0(VALU_DEP_1) | instskip(NEXT) | instid1(VALU_DEP_1)
	v_add3_u32 v1, v86, v1, 0x487ffff
	v_lshrrev_b32_e32 v1, 20, v1
	s_and_not1_saveexec_b32 s48, vcc_lo
	s_cbranch_execz .LBB25_7494
.LBB25_7996:
	v_add_f32_e64 v1, 0x46000000, |v86|
	s_and_not1_b32 s39, s39, exec_lo
	s_delay_alu instid0(VALU_DEP_1) | instskip(NEXT) | instid1(VALU_DEP_1)
	v_and_b32_e32 v1, 0xff, v1
	v_cmp_ne_u32_e32 vcc_lo, 0, v1
	s_and_b32 vcc_lo, vcc_lo, exec_lo
	s_delay_alu instid0(SALU_CYCLE_1)
	s_or_b32 s39, s39, vcc_lo
	s_or_b32 exec_lo, exec_lo, s48
	v_mov_b32_e32 v4, 0
	s_and_saveexec_b32 vcc_lo, s39
	s_cbranch_execnz .LBB25_7495
	s_branch .LBB25_7496
.LBB25_7997:
	v_bfe_u32 v1, v86, 21, 1
	s_mov_b32 s48, exec_lo
	s_delay_alu instid0(VALU_DEP_1) | instskip(NEXT) | instid1(VALU_DEP_1)
	v_add3_u32 v1, v86, v1, 0x88fffff
	v_lshrrev_b32_e32 v1, 21, v1
	s_and_not1_saveexec_b32 s49, vcc_lo
	s_cbranch_execz .LBB25_7507
.LBB25_7998:
	v_add_f32_e64 v1, 0x42800000, |v86|
	s_and_not1_b32 s48, s48, exec_lo
	s_delay_alu instid0(VALU_DEP_1) | instskip(NEXT) | instid1(VALU_DEP_1)
	v_and_b32_e32 v1, 0xff, v1
	v_cmp_ne_u32_e32 vcc_lo, 0, v1
	s_and_b32 vcc_lo, vcc_lo, exec_lo
	s_delay_alu instid0(SALU_CYCLE_1)
	s_or_b32 s48, s48, vcc_lo
	s_or_b32 exec_lo, exec_lo, s49
	v_mov_b32_e32 v4, 0
	s_and_saveexec_b32 vcc_lo, s48
	s_cbranch_execnz .LBB25_7508
	s_branch .LBB25_7509
.LBB25_7999:
	v_bfe_u32 v1, v84, 20, 1
	s_mov_b32 s48, exec_lo
	s_delay_alu instid0(VALU_DEP_1) | instskip(NEXT) | instid1(VALU_DEP_1)
	v_add3_u32 v1, v84, v1, 0x487ffff
	v_lshrrev_b32_e32 v1, 20, v1
	s_and_not1_saveexec_b32 s49, vcc_lo
	s_cbranch_execz .LBB25_7623
.LBB25_8000:
	v_add_f32_e64 v1, 0x46000000, |v84|
	s_and_not1_b32 s48, s48, exec_lo
	s_delay_alu instid0(VALU_DEP_1) | instskip(NEXT) | instid1(VALU_DEP_1)
	v_and_b32_e32 v1, 0xff, v1
	v_cmp_ne_u32_e32 vcc_lo, 0, v1
	s_and_b32 vcc_lo, vcc_lo, exec_lo
	s_delay_alu instid0(SALU_CYCLE_1)
	s_or_b32 s48, s48, vcc_lo
	s_or_b32 exec_lo, exec_lo, s49
	v_mov_b32_e32 v5, 0
	s_and_saveexec_b32 vcc_lo, s48
	s_cbranch_execnz .LBB25_7624
	s_branch .LBB25_7625
.LBB25_8001:
	v_bfe_u32 v1, v84, 21, 1
	s_mov_b32 s49, exec_lo
	s_delay_alu instid0(VALU_DEP_1) | instskip(NEXT) | instid1(VALU_DEP_1)
	v_add3_u32 v1, v84, v1, 0x88fffff
	v_lshrrev_b32_e32 v1, 21, v1
	s_and_not1_saveexec_b32 s50, vcc_lo
	s_cbranch_execz .LBB25_7636
.LBB25_8002:
	v_add_f32_e64 v1, 0x42800000, |v84|
	s_and_not1_b32 s49, s49, exec_lo
	s_delay_alu instid0(VALU_DEP_1) | instskip(NEXT) | instid1(VALU_DEP_1)
	v_and_b32_e32 v1, 0xff, v1
	v_cmp_ne_u32_e32 vcc_lo, 0, v1
	s_and_b32 vcc_lo, vcc_lo, exec_lo
	s_delay_alu instid0(SALU_CYCLE_1)
	s_or_b32 s49, s49, vcc_lo
	s_or_b32 exec_lo, exec_lo, s50
	v_mov_b32_e32 v5, 0
	s_and_saveexec_b32 vcc_lo, s49
	s_cbranch_execnz .LBB25_7637
	s_branch .LBB25_7638
.LBB25_8003:
	v_bfe_u32 v1, v0, 20, 1
	s_mov_b32 s51, exec_lo
	s_delay_alu instid0(VALU_DEP_1) | instskip(NEXT) | instid1(VALU_DEP_1)
	v_add3_u32 v1, v0, v1, 0x487ffff
	v_lshrrev_b32_e32 v1, 20, v1
	s_and_not1_saveexec_b32 s52, vcc_lo
	s_cbranch_execz .LBB25_7749
.LBB25_8004:
	v_add_f32_e64 v1, 0x46000000, |v0|
	s_and_not1_b32 s51, s51, exec_lo
	s_delay_alu instid0(VALU_DEP_1) | instskip(NEXT) | instid1(VALU_DEP_1)
	v_and_b32_e32 v1, 0xff, v1
	v_cmp_ne_u32_e32 vcc_lo, 0, v1
	s_and_b32 vcc_lo, vcc_lo, exec_lo
	s_delay_alu instid0(SALU_CYCLE_1)
	s_or_b32 s51, s51, vcc_lo
	s_or_b32 exec_lo, exec_lo, s52
	v_mov_b32_e32 v5, 0
	s_and_saveexec_b32 vcc_lo, s51
	s_cbranch_execnz .LBB25_7750
	s_branch .LBB25_7751
.LBB25_8005:
	v_bfe_u32 v1, v0, 21, 1
	s_mov_b32 s51, exec_lo
	s_delay_alu instid0(VALU_DEP_1) | instskip(NEXT) | instid1(VALU_DEP_1)
	v_add3_u32 v1, v0, v1, 0x88fffff
	v_lshrrev_b32_e32 v1, 21, v1
	s_and_not1_saveexec_b32 s52, vcc_lo
	s_cbranch_execz .LBB25_7762
.LBB25_8006:
	v_add_f32_e64 v1, 0x42800000, |v0|
	s_and_not1_b32 s51, s51, exec_lo
	s_delay_alu instid0(VALU_DEP_1) | instskip(NEXT) | instid1(VALU_DEP_1)
	v_and_b32_e32 v1, 0xff, v1
	v_cmp_ne_u32_e32 vcc_lo, 0, v1
	s_and_b32 vcc_lo, vcc_lo, exec_lo
	s_delay_alu instid0(SALU_CYCLE_1)
	s_or_b32 s51, s51, vcc_lo
	s_or_b32 exec_lo, exec_lo, s52
	v_mov_b32_e32 v5, 0
	s_and_saveexec_b32 vcc_lo, s51
	s_cbranch_execnz .LBB25_7763
	s_branch .LBB25_7764
.Lfunc_end25:
	.size	_ZN2at6native25elementwise_kernel_helperILb1EN12_GLOBAL__N_110CalcIgammaIfEENS0_6memory8policies11unroll_baseILi512ESt5arrayIPcLm3EE23TrivialOffsetCalculatorILi2EjESB_ILi1EjENS5_12LoadWithCastILi2EEENS5_13StoreWithCastILi1EEELi32ELi1EEEEEvT0_T1_, .Lfunc_end25-_ZN2at6native25elementwise_kernel_helperILb1EN12_GLOBAL__N_110CalcIgammaIfEENS0_6memory8policies11unroll_baseILi512ESt5arrayIPcLm3EE23TrivialOffsetCalculatorILi2EjESB_ILi1EjENS5_12LoadWithCastILi2EEENS5_13StoreWithCastILi1EEELi32ELi1EEEEEvT0_T1_
                                        ; -- End function
	.set .L_ZN2at6native25elementwise_kernel_helperILb1EN12_GLOBAL__N_110CalcIgammaIfEENS0_6memory8policies11unroll_baseILi512ESt5arrayIPcLm3EE23TrivialOffsetCalculatorILi2EjESB_ILi1EjENS5_12LoadWithCastILi2EEENS5_13StoreWithCastILi1EEELi32ELi1EEEEEvT0_T1_.num_vgpr, max(214, .L_ZN3c104guts5applyIRN12_GLOBAL__N_110CalcIgammaIfEERSt5tupleIJffEEEEDaOT_OT0_.num_vgpr)
	.set .L_ZN2at6native25elementwise_kernel_helperILb1EN12_GLOBAL__N_110CalcIgammaIfEENS0_6memory8policies11unroll_baseILi512ESt5arrayIPcLm3EE23TrivialOffsetCalculatorILi2EjESB_ILi1EjENS5_12LoadWithCastILi2EEENS5_13StoreWithCastILi1EEELi32ELi1EEEEEvT0_T1_.num_agpr, max(0, .L_ZN3c104guts5applyIRN12_GLOBAL__N_110CalcIgammaIfEERSt5tupleIJffEEEEDaOT_OT0_.num_agpr)
	.set .L_ZN2at6native25elementwise_kernel_helperILb1EN12_GLOBAL__N_110CalcIgammaIfEENS0_6memory8policies11unroll_baseILi512ESt5arrayIPcLm3EE23TrivialOffsetCalculatorILi2EjESB_ILi1EjENS5_12LoadWithCastILi2EEENS5_13StoreWithCastILi1EEELi32ELi1EEEEEvT0_T1_.numbered_sgpr, max(96, .L_ZN3c104guts5applyIRN12_GLOBAL__N_110CalcIgammaIfEERSt5tupleIJffEEEEDaOT_OT0_.numbered_sgpr)
	.set .L_ZN2at6native25elementwise_kernel_helperILb1EN12_GLOBAL__N_110CalcIgammaIfEENS0_6memory8policies11unroll_baseILi512ESt5arrayIPcLm3EE23TrivialOffsetCalculatorILi2EjESB_ILi1EjENS5_12LoadWithCastILi2EEENS5_13StoreWithCastILi1EEELi32ELi1EEEEEvT0_T1_.num_named_barrier, max(0, .L_ZN3c104guts5applyIRN12_GLOBAL__N_110CalcIgammaIfEERSt5tupleIJffEEEEDaOT_OT0_.num_named_barrier)
	.set .L_ZN2at6native25elementwise_kernel_helperILb1EN12_GLOBAL__N_110CalcIgammaIfEENS0_6memory8policies11unroll_baseILi512ESt5arrayIPcLm3EE23TrivialOffsetCalculatorILi2EjESB_ILi1EjENS5_12LoadWithCastILi2EEENS5_13StoreWithCastILi1EEELi32ELi1EEEEEvT0_T1_.private_seg_size, 288+max(.L_ZN3c104guts5applyIRN12_GLOBAL__N_110CalcIgammaIfEERSt5tupleIJffEEEEDaOT_OT0_.private_seg_size)
	.set .L_ZN2at6native25elementwise_kernel_helperILb1EN12_GLOBAL__N_110CalcIgammaIfEENS0_6memory8policies11unroll_baseILi512ESt5arrayIPcLm3EE23TrivialOffsetCalculatorILi2EjESB_ILi1EjENS5_12LoadWithCastILi2EEENS5_13StoreWithCastILi1EEELi32ELi1EEEEEvT0_T1_.uses_vcc, or(1, .L_ZN3c104guts5applyIRN12_GLOBAL__N_110CalcIgammaIfEERSt5tupleIJffEEEEDaOT_OT0_.uses_vcc)
	.set .L_ZN2at6native25elementwise_kernel_helperILb1EN12_GLOBAL__N_110CalcIgammaIfEENS0_6memory8policies11unroll_baseILi512ESt5arrayIPcLm3EE23TrivialOffsetCalculatorILi2EjESB_ILi1EjENS5_12LoadWithCastILi2EEENS5_13StoreWithCastILi1EEELi32ELi1EEEEEvT0_T1_.uses_flat_scratch, or(1, .L_ZN3c104guts5applyIRN12_GLOBAL__N_110CalcIgammaIfEERSt5tupleIJffEEEEDaOT_OT0_.uses_flat_scratch)
	.set .L_ZN2at6native25elementwise_kernel_helperILb1EN12_GLOBAL__N_110CalcIgammaIfEENS0_6memory8policies11unroll_baseILi512ESt5arrayIPcLm3EE23TrivialOffsetCalculatorILi2EjESB_ILi1EjENS5_12LoadWithCastILi2EEENS5_13StoreWithCastILi1EEELi32ELi1EEEEEvT0_T1_.has_dyn_sized_stack, or(0, .L_ZN3c104guts5applyIRN12_GLOBAL__N_110CalcIgammaIfEERSt5tupleIJffEEEEDaOT_OT0_.has_dyn_sized_stack)
	.set .L_ZN2at6native25elementwise_kernel_helperILb1EN12_GLOBAL__N_110CalcIgammaIfEENS0_6memory8policies11unroll_baseILi512ESt5arrayIPcLm3EE23TrivialOffsetCalculatorILi2EjESB_ILi1EjENS5_12LoadWithCastILi2EEENS5_13StoreWithCastILi1EEELi32ELi1EEEEEvT0_T1_.has_recursion, or(0, .L_ZN3c104guts5applyIRN12_GLOBAL__N_110CalcIgammaIfEERSt5tupleIJffEEEEDaOT_OT0_.has_recursion)
	.set .L_ZN2at6native25elementwise_kernel_helperILb1EN12_GLOBAL__N_110CalcIgammaIfEENS0_6memory8policies11unroll_baseILi512ESt5arrayIPcLm3EE23TrivialOffsetCalculatorILi2EjESB_ILi1EjENS5_12LoadWithCastILi2EEENS5_13StoreWithCastILi1EEELi32ELi1EEEEEvT0_T1_.has_indirect_call, or(0, .L_ZN3c104guts5applyIRN12_GLOBAL__N_110CalcIgammaIfEERSt5tupleIJffEEEEDaOT_OT0_.has_indirect_call)
	.section	.AMDGPU.csdata,"",@progbits
; Function info:
; codeLenInByte = 173380
; TotalNumSgprs: 98
; NumVgprs: 214
; ScratchSize: 448
; MemoryBound: 1
	.section	.text._ZN2at6native39vectorized_templated_elementwise_kernelILi8EN12_GLOBAL__N_110CalcIgammaIfEESt5arrayIPcLm3EE23TrivialOffsetCalculatorILi2EjES8_ILi1EjENS0_6memory12LoadWithCastILi2EEENSB_13StoreWithCastILi1EEEfJfN3c108BFloat16EEEEviT0_T1_T2_T3_T4_T5_,"axG",@progbits,_ZN2at6native39vectorized_templated_elementwise_kernelILi8EN12_GLOBAL__N_110CalcIgammaIfEESt5arrayIPcLm3EE23TrivialOffsetCalculatorILi2EjES8_ILi1EjENS0_6memory12LoadWithCastILi2EEENSB_13StoreWithCastILi1EEEfJfN3c108BFloat16EEEEviT0_T1_T2_T3_T4_T5_,comdat
	.globl	_ZN2at6native39vectorized_templated_elementwise_kernelILi8EN12_GLOBAL__N_110CalcIgammaIfEESt5arrayIPcLm3EE23TrivialOffsetCalculatorILi2EjES8_ILi1EjENS0_6memory12LoadWithCastILi2EEENSB_13StoreWithCastILi1EEEfJfN3c108BFloat16EEEEviT0_T1_T2_T3_T4_T5_ ; -- Begin function _ZN2at6native39vectorized_templated_elementwise_kernelILi8EN12_GLOBAL__N_110CalcIgammaIfEESt5arrayIPcLm3EE23TrivialOffsetCalculatorILi2EjES8_ILi1EjENS0_6memory12LoadWithCastILi2EEENSB_13StoreWithCastILi1EEEfJfN3c108BFloat16EEEEviT0_T1_T2_T3_T4_T5_
	.p2align	8
	.type	_ZN2at6native39vectorized_templated_elementwise_kernelILi8EN12_GLOBAL__N_110CalcIgammaIfEESt5arrayIPcLm3EE23TrivialOffsetCalculatorILi2EjES8_ILi1EjENS0_6memory12LoadWithCastILi2EEENSB_13StoreWithCastILi1EEEfJfN3c108BFloat16EEEEviT0_T1_T2_T3_T4_T5_,@function
_ZN2at6native39vectorized_templated_elementwise_kernelILi8EN12_GLOBAL__N_110CalcIgammaIfEESt5arrayIPcLm3EE23TrivialOffsetCalculatorILi2EjES8_ILi1EjENS0_6memory12LoadWithCastILi2EEENSB_13StoreWithCastILi1EEEfJfN3c108BFloat16EEEEviT0_T1_T2_T3_T4_T5_: ; @_ZN2at6native39vectorized_templated_elementwise_kernelILi8EN12_GLOBAL__N_110CalcIgammaIfEESt5arrayIPcLm3EE23TrivialOffsetCalculatorILi2EjES8_ILi1EjENS0_6memory12LoadWithCastILi2EEENSB_13StoreWithCastILi1EEEfJfN3c108BFloat16EEEEviT0_T1_T2_T3_T4_T5_
; %bb.0:
	s_mov_b64 s[34:35], s[2:3]
	s_load_b64 s[2:3], s[0:1], 0x4
	s_clause 0x2
	s_load_b64 s[4:5], s[34:35], 0x0
	s_load_b64 s[46:47], s[34:35], 0x18
	s_load_b32 s6, s[34:35], 0x38
	s_wait_xcnt 0x0
	s_bfe_u32 s1, ttmp6, 0x4000c
	s_and_b32 s0, ttmp6, 15
	s_add_co_i32 s1, s1, 1
	s_load_b128 s[36:39], s[34:35], 0x8
	s_mul_i32 s1, ttmp9, s1
	s_getreg_b32 s7, hwreg(HW_REG_IB_STS2, 6, 4)
	s_add_co_i32 s0, s0, s1
	s_mov_b32 s32, 0
	s_wait_kmcnt 0x0
	s_lshr_b32 s2, s2, 16
	s_and_b32 s1, s5, 1
	v_mov_b32_e32 v46, v0
	s_mul_i32 s2, s2, s3
	s_cmp_eq_u32 s7, 0
	s_cselect_b32 s0, ttmp9, s0
	s_delay_alu instid0(VALU_DEP_1) | instskip(SKIP_3) | instid1(VALU_DEP_3)
	v_and_b32_e32 v0, 0x3ff, v46
	v_bfe_u32 v1, v46, 10, 10
	v_bfe_u32 v3, v46, 20, 10
	s_not_b32 s0, s0
	v_mul_lo_u32 v2, s2, v0
	s_delay_alu instid0(VALU_DEP_3) | instskip(SKIP_1) | instid1(SALU_CYCLE_1)
	v_mul_u32_u24_e32 v1, s3, v1
	s_add_co_i32 s6, s6, s0
	s_lshl_b32 s0, s6, 14
	s_delay_alu instid0(SALU_CYCLE_1) | instskip(NEXT) | instid1(SALU_CYCLE_1)
	s_sub_co_i32 s54, s4, s0
	s_cmp_gt_i32 s54, 0x3fff
	s_delay_alu instid0(VALU_DEP_2)
	v_add3_u32 v47, v2, v1, v3
	v_mov_b32_e32 v1, s1
	s_mov_b32 s1, -1
	ds_store_b8 v47, v1
	s_cbranch_scc1 .LBB26_3
; %bb.1:
	s_and_b32 vcc_lo, exec_lo, s1
	s_cbranch_vccnz .LBB26_132
.LBB26_2:
	s_endpgm
.LBB26_3:
	s_ashr_i32 s1, s0, 31
	v_lshlrev_b32_e32 v120, 5, v0
	s_lshl_b64 s[48:49], s[0:1], 2
	s_lshl_b64 s[0:1], s[0:1], 1
	s_add_nc_u64 s[2:3], s[38:39], s[48:49]
	s_add_nc_u64 s[0:1], s[46:47], s[0:1]
	s_clause 0x3
	global_load_b128 v[74:77], v120, s[2:3] offset:16
	global_load_b128 v[100:103], v120, s[2:3]
	global_load_b128 v[96:99], v120, s[2:3] offset:16400
	global_load_b128 v[88:91], v120, s[2:3] offset:16384
	global_load_b128 v[116:119], v0, s[0:1] scale_offset
	s_clause 0x3
	global_load_b128 v[84:87], v120, s[2:3] offset:32784
	global_load_b128 v[92:95], v120, s[2:3] offset:32768
	;; [unrolled: 1-line block ×4, first 2 shown]
	s_clause 0x2
	global_load_b128 v[112:115], v0, s[0:1] offset:8192 scale_offset
	global_load_b128 v[108:111], v0, s[0:1] offset:16384 scale_offset
	;; [unrolled: 1-line block ×3, first 2 shown]
	s_wait_xcnt 0x0
	ds_load_u8 v0, v47
	s_get_pc_i64 s[50:51]
	s_add_nc_u64 s[50:51], s[50:51], _ZN12_GLOBAL__N_111calc_igammaIfEET_S1_S1_@rel64+4
                                        ; implicit-def: $vgpr56
	s_wait_dscnt 0x0
	v_and_b32_e32 v0, 1, v0
	s_delay_alu instid0(VALU_DEP_1)
	v_cmp_eq_u32_e32 vcc_lo, 1, v0
	ds_store_b8 v47, v0 offset:512
	s_xor_b32 s55, vcc_lo, -1
	s_wait_loadcnt 0x7
	v_lshlrev_b32_e32 v1, 16, v116
	s_and_saveexec_b32 s0, s55
	s_delay_alu instid0(SALU_CYCLE_1)
	s_xor_b32 s52, exec_lo, s0
	s_cbranch_execz .LBB26_5
; %bb.4:
	v_mov_b32_e32 v0, v100
	s_swap_pc_i64 s[30:31], s[50:51]
	s_delay_alu instid0(VALU_DEP_1)
	v_mov_b32_e32 v56, v0
                                        ; implicit-def: $vgpr1
.LBB26_5:
	s_or_saveexec_b32 s26, s52
	s_get_pc_i64 s[52:53]
	s_add_nc_u64 s[52:53], s[52:53], _ZN12_GLOBAL__N_112calc_igammacIfEET_S1_S1_@rel64+4
	s_xor_b32 exec_lo, exec_lo, s26
	s_cbranch_execz .LBB26_7
; %bb.6:
	v_mov_b32_e32 v0, v100
	s_swap_pc_i64 s[30:31], s[52:53]
	s_delay_alu instid0(VALU_DEP_1)
	v_mov_b32_e32 v56, v0
.LBB26_7:
	s_or_b32 exec_lo, exec_lo, s26
	v_and_b32_e32 v1, 0xffff0000, v116
	s_and_saveexec_b32 s0, s55
	s_delay_alu instid0(SALU_CYCLE_1)
	s_xor_b32 s56, exec_lo, s0
	s_cbranch_execz .LBB26_9
; %bb.8:
	v_mov_b32_e32 v0, v101
	s_swap_pc_i64 s[30:31], s[50:51]
	s_delay_alu instid0(VALU_DEP_1)
	v_mov_b32_e32 v57, v0
                                        ; implicit-def: $vgpr1
.LBB26_9:
	s_and_not1_saveexec_b32 s26, s56
	s_cbranch_execz .LBB26_11
; %bb.10:
	v_mov_b32_e32 v0, v101
	s_swap_pc_i64 s[30:31], s[52:53]
	s_delay_alu instid0(VALU_DEP_1)
	v_mov_b32_e32 v57, v0
.LBB26_11:
	s_or_b32 exec_lo, exec_lo, s26
	v_lshlrev_b32_e32 v1, 16, v117
	s_and_saveexec_b32 s0, s55
	s_delay_alu instid0(SALU_CYCLE_1)
	s_xor_b32 s56, exec_lo, s0
	s_cbranch_execz .LBB26_13
; %bb.12:
	v_mov_b32_e32 v0, v102
	s_swap_pc_i64 s[30:31], s[50:51]
	s_delay_alu instid0(VALU_DEP_1)
	v_mov_b32_e32 v58, v0
                                        ; implicit-def: $vgpr1
.LBB26_13:
	s_and_not1_saveexec_b32 s26, s56
	s_cbranch_execz .LBB26_15
; %bb.14:
	v_mov_b32_e32 v0, v102
	s_swap_pc_i64 s[30:31], s[52:53]
	s_delay_alu instid0(VALU_DEP_1)
	v_mov_b32_e32 v58, v0
.LBB26_15:
	s_or_b32 exec_lo, exec_lo, s26
	v_and_b32_e32 v1, 0xffff0000, v117
	s_and_saveexec_b32 s0, s55
	s_delay_alu instid0(SALU_CYCLE_1)
	s_xor_b32 s56, exec_lo, s0
	s_cbranch_execz .LBB26_17
; %bb.16:
	v_mov_b32_e32 v0, v103
	s_swap_pc_i64 s[30:31], s[50:51]
	s_delay_alu instid0(VALU_DEP_1)
	v_mov_b32_e32 v59, v0
                                        ; implicit-def: $vgpr103
                                        ; implicit-def: $vgpr1
.LBB26_17:
	s_and_not1_saveexec_b32 s26, s56
	s_cbranch_execz .LBB26_19
; %bb.18:
	v_mov_b32_e32 v0, v103
	s_swap_pc_i64 s[30:31], s[52:53]
	s_delay_alu instid0(VALU_DEP_1)
	v_mov_b32_e32 v59, v0
.LBB26_19:
	s_or_b32 exec_lo, exec_lo, s26
	v_lshlrev_b32_e32 v1, 16, v118
                                        ; implicit-def: $vgpr72
	s_and_saveexec_b32 s0, s55
	s_delay_alu instid0(SALU_CYCLE_1)
	s_xor_b32 s56, exec_lo, s0
	s_cbranch_execz .LBB26_21
; %bb.20:
	v_mov_b32_e32 v0, v74
	s_swap_pc_i64 s[30:31], s[50:51]
	s_delay_alu instid0(VALU_DEP_1)
	v_mov_b32_e32 v72, v0
                                        ; implicit-def: $vgpr1
.LBB26_21:
	s_and_not1_saveexec_b32 s26, s56
	s_cbranch_execz .LBB26_23
; %bb.22:
	v_mov_b32_e32 v0, v74
	s_swap_pc_i64 s[30:31], s[52:53]
	s_delay_alu instid0(VALU_DEP_1)
	v_mov_b32_e32 v72, v0
.LBB26_23:
	s_or_b32 exec_lo, exec_lo, s26
	v_and_b32_e32 v1, 0xffff0000, v118
	s_and_saveexec_b32 s0, s55
	s_delay_alu instid0(SALU_CYCLE_1)
	s_xor_b32 s56, exec_lo, s0
	s_cbranch_execz .LBB26_25
; %bb.24:
	v_mov_b32_e32 v0, v75
	s_swap_pc_i64 s[30:31], s[50:51]
	s_delay_alu instid0(VALU_DEP_1)
	v_mov_b32_e32 v73, v0
                                        ; implicit-def: $vgpr1
.LBB26_25:
	s_and_not1_saveexec_b32 s26, s56
	s_cbranch_execz .LBB26_27
; %bb.26:
	v_mov_b32_e32 v0, v75
	s_swap_pc_i64 s[30:31], s[52:53]
	s_delay_alu instid0(VALU_DEP_1)
	v_mov_b32_e32 v73, v0
.LBB26_27:
	s_or_b32 exec_lo, exec_lo, s26
	v_lshlrev_b32_e32 v1, 16, v119
	s_and_saveexec_b32 s0, s55
	s_delay_alu instid0(SALU_CYCLE_1)
	s_xor_b32 s56, exec_lo, s0
	s_cbranch_execz .LBB26_29
; %bb.28:
	v_mov_b32_e32 v0, v76
	s_swap_pc_i64 s[30:31], s[50:51]
	s_delay_alu instid0(VALU_DEP_1)
	v_mov_b32_e32 v74, v0
                                        ; implicit-def: $vgpr1
.LBB26_29:
	s_and_not1_saveexec_b32 s26, s56
	s_cbranch_execz .LBB26_31
; %bb.30:
	v_mov_b32_e32 v0, v76
	s_swap_pc_i64 s[30:31], s[52:53]
	s_delay_alu instid0(VALU_DEP_1)
	v_mov_b32_e32 v74, v0
.LBB26_31:
	s_or_b32 exec_lo, exec_lo, s26
	v_and_b32_e32 v1, 0xffff0000, v119
	s_and_saveexec_b32 s0, s55
	s_delay_alu instid0(SALU_CYCLE_1)
	s_xor_b32 s56, exec_lo, s0
	s_cbranch_execz .LBB26_33
; %bb.32:
	v_mov_b32_e32 v0, v77
	s_swap_pc_i64 s[30:31], s[50:51]
	s_delay_alu instid0(VALU_DEP_1)
	v_mov_b32_e32 v75, v0
                                        ; implicit-def: $vgpr77
                                        ; implicit-def: $vgpr1
.LBB26_33:
	s_and_not1_saveexec_b32 s26, s56
	s_cbranch_execz .LBB26_35
; %bb.34:
	v_mov_b32_e32 v0, v77
	s_swap_pc_i64 s[30:31], s[52:53]
	s_delay_alu instid0(VALU_DEP_1)
	v_mov_b32_e32 v75, v0
.LBB26_35:
	s_or_b32 exec_lo, exec_lo, s26
	s_wait_loadcnt 0x2
	v_lshlrev_b32_e32 v1, 16, v112
                                        ; implicit-def: $vgpr76
	s_and_saveexec_b32 s0, s55
	s_delay_alu instid0(SALU_CYCLE_1)
	s_xor_b32 s56, exec_lo, s0
	s_cbranch_execz .LBB26_37
; %bb.36:
	v_mov_b32_e32 v0, v88
	s_swap_pc_i64 s[30:31], s[50:51]
	s_delay_alu instid0(VALU_DEP_1)
	v_mov_b32_e32 v76, v0
                                        ; implicit-def: $vgpr1
.LBB26_37:
	s_and_not1_saveexec_b32 s26, s56
	s_cbranch_execz .LBB26_39
; %bb.38:
	v_mov_b32_e32 v0, v88
	s_swap_pc_i64 s[30:31], s[52:53]
	s_delay_alu instid0(VALU_DEP_1)
	v_mov_b32_e32 v76, v0
.LBB26_39:
	s_or_b32 exec_lo, exec_lo, s26
	v_and_b32_e32 v1, 0xffff0000, v112
	s_and_saveexec_b32 s0, s55
	s_delay_alu instid0(SALU_CYCLE_1)
	s_xor_b32 s56, exec_lo, s0
	s_cbranch_execz .LBB26_41
; %bb.40:
	v_mov_b32_e32 v0, v89
	s_swap_pc_i64 s[30:31], s[50:51]
	s_delay_alu instid0(VALU_DEP_1)
	v_mov_b32_e32 v77, v0
                                        ; implicit-def: $vgpr1
.LBB26_41:
	s_and_not1_saveexec_b32 s26, s56
	s_cbranch_execz .LBB26_43
; %bb.42:
	v_mov_b32_e32 v0, v89
	s_swap_pc_i64 s[30:31], s[52:53]
	s_delay_alu instid0(VALU_DEP_1)
	v_mov_b32_e32 v77, v0
.LBB26_43:
	s_or_b32 exec_lo, exec_lo, s26
	v_lshlrev_b32_e32 v1, 16, v113
	s_and_saveexec_b32 s0, s55
	s_delay_alu instid0(SALU_CYCLE_1)
	s_xor_b32 s56, exec_lo, s0
	s_cbranch_execz .LBB26_45
; %bb.44:
	v_mov_b32_e32 v0, v90
	s_swap_pc_i64 s[30:31], s[50:51]
	s_delay_alu instid0(VALU_DEP_1)
	v_mov_b32_e32 v78, v0
                                        ; implicit-def: $vgpr1
.LBB26_45:
	s_and_not1_saveexec_b32 s26, s56
	s_cbranch_execz .LBB26_47
; %bb.46:
	v_mov_b32_e32 v0, v90
	s_swap_pc_i64 s[30:31], s[52:53]
	s_delay_alu instid0(VALU_DEP_1)
	v_mov_b32_e32 v78, v0
.LBB26_47:
	s_or_b32 exec_lo, exec_lo, s26
	v_and_b32_e32 v1, 0xffff0000, v113
	s_and_saveexec_b32 s0, s55
	s_delay_alu instid0(SALU_CYCLE_1)
	s_xor_b32 s56, exec_lo, s0
	s_cbranch_execz .LBB26_49
; %bb.48:
	v_mov_b32_e32 v0, v91
	s_swap_pc_i64 s[30:31], s[50:51]
	s_delay_alu instid0(VALU_DEP_1)
	v_mov_b32_e32 v79, v0
                                        ; implicit-def: $vgpr91
                                        ; implicit-def: $vgpr1
.LBB26_49:
	s_and_not1_saveexec_b32 s26, s56
	s_cbranch_execz .LBB26_51
; %bb.50:
	v_mov_b32_e32 v0, v91
	s_swap_pc_i64 s[30:31], s[52:53]
	s_delay_alu instid0(VALU_DEP_1)
	v_mov_b32_e32 v79, v0
.LBB26_51:
	s_or_b32 exec_lo, exec_lo, s26
	v_lshlrev_b32_e32 v1, 16, v114
                                        ; implicit-def: $vgpr88
	s_and_saveexec_b32 s0, s55
	s_delay_alu instid0(SALU_CYCLE_1)
	s_xor_b32 s56, exec_lo, s0
	s_cbranch_execz .LBB26_53
; %bb.52:
	v_mov_b32_e32 v0, v96
	s_swap_pc_i64 s[30:31], s[50:51]
	s_delay_alu instid0(VALU_DEP_1)
	v_mov_b32_e32 v88, v0
                                        ; implicit-def: $vgpr1
.LBB26_53:
	s_and_not1_saveexec_b32 s26, s56
	s_cbranch_execz .LBB26_55
; %bb.54:
	v_mov_b32_e32 v0, v96
	s_swap_pc_i64 s[30:31], s[52:53]
	s_delay_alu instid0(VALU_DEP_1)
	v_mov_b32_e32 v88, v0
.LBB26_55:
	s_or_b32 exec_lo, exec_lo, s26
	v_and_b32_e32 v1, 0xffff0000, v114
	s_and_saveexec_b32 s0, s55
	s_delay_alu instid0(SALU_CYCLE_1)
	s_xor_b32 s56, exec_lo, s0
	s_cbranch_execz .LBB26_57
; %bb.56:
	v_mov_b32_e32 v0, v97
	s_swap_pc_i64 s[30:31], s[50:51]
	s_delay_alu instid0(VALU_DEP_1)
	v_mov_b32_e32 v89, v0
                                        ; implicit-def: $vgpr1
.LBB26_57:
	s_and_not1_saveexec_b32 s26, s56
	s_cbranch_execz .LBB26_59
; %bb.58:
	v_mov_b32_e32 v0, v97
	s_swap_pc_i64 s[30:31], s[52:53]
	s_delay_alu instid0(VALU_DEP_1)
	v_mov_b32_e32 v89, v0
.LBB26_59:
	s_or_b32 exec_lo, exec_lo, s26
	v_lshlrev_b32_e32 v1, 16, v115
	s_and_saveexec_b32 s0, s55
	s_delay_alu instid0(SALU_CYCLE_1)
	s_xor_b32 s56, exec_lo, s0
	s_cbranch_execz .LBB26_61
; %bb.60:
	v_mov_b32_e32 v0, v98
	s_swap_pc_i64 s[30:31], s[50:51]
	s_delay_alu instid0(VALU_DEP_1)
	v_mov_b32_e32 v90, v0
                                        ; implicit-def: $vgpr1
.LBB26_61:
	s_and_not1_saveexec_b32 s26, s56
	s_cbranch_execz .LBB26_63
; %bb.62:
	v_mov_b32_e32 v0, v98
	s_swap_pc_i64 s[30:31], s[52:53]
	s_delay_alu instid0(VALU_DEP_1)
	v_mov_b32_e32 v90, v0
.LBB26_63:
	s_or_b32 exec_lo, exec_lo, s26
	v_and_b32_e32 v1, 0xffff0000, v115
	s_and_saveexec_b32 s0, s55
	s_delay_alu instid0(SALU_CYCLE_1)
	s_xor_b32 s56, exec_lo, s0
	s_cbranch_execz .LBB26_65
; %bb.64:
	v_mov_b32_e32 v0, v99
	s_swap_pc_i64 s[30:31], s[50:51]
	s_delay_alu instid0(VALU_DEP_1)
	v_mov_b32_e32 v91, v0
                                        ; implicit-def: $vgpr99
                                        ; implicit-def: $vgpr1
.LBB26_65:
	s_and_not1_saveexec_b32 s26, s56
	s_cbranch_execz .LBB26_67
; %bb.66:
	v_mov_b32_e32 v0, v99
	s_swap_pc_i64 s[30:31], s[52:53]
	s_delay_alu instid0(VALU_DEP_1)
	v_mov_b32_e32 v91, v0
.LBB26_67:
	s_or_b32 exec_lo, exec_lo, s26
	s_wait_loadcnt 0x1
	v_lshlrev_b32_e32 v1, 16, v108
                                        ; implicit-def: $vgpr96
	s_and_saveexec_b32 s0, s55
	s_delay_alu instid0(SALU_CYCLE_1)
	s_xor_b32 s56, exec_lo, s0
	s_cbranch_execz .LBB26_69
; %bb.68:
	v_mov_b32_e32 v0, v92
	s_swap_pc_i64 s[30:31], s[50:51]
	s_delay_alu instid0(VALU_DEP_1)
	v_mov_b32_e32 v96, v0
                                        ; implicit-def: $vgpr1
.LBB26_69:
	s_and_not1_saveexec_b32 s26, s56
	s_cbranch_execz .LBB26_71
; %bb.70:
	v_mov_b32_e32 v0, v92
	s_swap_pc_i64 s[30:31], s[52:53]
	s_delay_alu instid0(VALU_DEP_1)
	v_mov_b32_e32 v96, v0
.LBB26_71:
	s_or_b32 exec_lo, exec_lo, s26
	v_and_b32_e32 v1, 0xffff0000, v108
	s_and_saveexec_b32 s0, s55
	s_delay_alu instid0(SALU_CYCLE_1)
	s_xor_b32 s56, exec_lo, s0
	s_cbranch_execz .LBB26_73
; %bb.72:
	v_mov_b32_e32 v0, v93
	s_swap_pc_i64 s[30:31], s[50:51]
	s_delay_alu instid0(VALU_DEP_1)
	v_mov_b32_e32 v97, v0
                                        ; implicit-def: $vgpr1
.LBB26_73:
	s_and_not1_saveexec_b32 s26, s56
	s_cbranch_execz .LBB26_75
; %bb.74:
	v_mov_b32_e32 v0, v93
	s_swap_pc_i64 s[30:31], s[52:53]
	s_delay_alu instid0(VALU_DEP_1)
	v_mov_b32_e32 v97, v0
.LBB26_75:
	s_or_b32 exec_lo, exec_lo, s26
	v_lshlrev_b32_e32 v1, 16, v109
	s_and_saveexec_b32 s0, s55
	s_delay_alu instid0(SALU_CYCLE_1)
	s_xor_b32 s56, exec_lo, s0
	s_cbranch_execz .LBB26_77
; %bb.76:
	v_mov_b32_e32 v0, v94
	s_swap_pc_i64 s[30:31], s[50:51]
	s_delay_alu instid0(VALU_DEP_1)
	v_mov_b32_e32 v98, v0
                                        ; implicit-def: $vgpr1
.LBB26_77:
	s_and_not1_saveexec_b32 s26, s56
	s_cbranch_execz .LBB26_79
; %bb.78:
	v_mov_b32_e32 v0, v94
	s_swap_pc_i64 s[30:31], s[52:53]
	s_delay_alu instid0(VALU_DEP_1)
	v_mov_b32_e32 v98, v0
.LBB26_79:
	s_or_b32 exec_lo, exec_lo, s26
	v_and_b32_e32 v1, 0xffff0000, v109
	s_and_saveexec_b32 s0, s55
	s_delay_alu instid0(SALU_CYCLE_1)
	s_xor_b32 s56, exec_lo, s0
	s_cbranch_execz .LBB26_81
; %bb.80:
	v_mov_b32_e32 v0, v95
	s_swap_pc_i64 s[30:31], s[50:51]
	s_delay_alu instid0(VALU_DEP_1)
	v_mov_b32_e32 v99, v0
                                        ; implicit-def: $vgpr95
                                        ; implicit-def: $vgpr1
.LBB26_81:
	s_and_not1_saveexec_b32 s26, s56
	s_cbranch_execz .LBB26_83
; %bb.82:
	v_mov_b32_e32 v0, v95
	s_swap_pc_i64 s[30:31], s[52:53]
	s_delay_alu instid0(VALU_DEP_1)
	v_mov_b32_e32 v99, v0
.LBB26_83:
	s_or_b32 exec_lo, exec_lo, s26
	v_lshlrev_b32_e32 v1, 16, v110
                                        ; implicit-def: $vgpr92
	s_and_saveexec_b32 s0, s55
	s_delay_alu instid0(SALU_CYCLE_1)
	s_xor_b32 s56, exec_lo, s0
	s_cbranch_execz .LBB26_85
; %bb.84:
	v_mov_b32_e32 v0, v84
	s_swap_pc_i64 s[30:31], s[50:51]
	s_delay_alu instid0(VALU_DEP_1)
	v_mov_b32_e32 v92, v0
                                        ; implicit-def: $vgpr1
.LBB26_85:
	s_and_not1_saveexec_b32 s26, s56
	s_cbranch_execz .LBB26_87
; %bb.86:
	v_mov_b32_e32 v0, v84
	s_swap_pc_i64 s[30:31], s[52:53]
	s_delay_alu instid0(VALU_DEP_1)
	v_mov_b32_e32 v92, v0
.LBB26_87:
	s_or_b32 exec_lo, exec_lo, s26
	v_and_b32_e32 v1, 0xffff0000, v110
	s_and_saveexec_b32 s0, s55
	s_delay_alu instid0(SALU_CYCLE_1)
	s_xor_b32 s56, exec_lo, s0
	s_cbranch_execz .LBB26_89
; %bb.88:
	v_mov_b32_e32 v0, v85
	s_swap_pc_i64 s[30:31], s[50:51]
	s_delay_alu instid0(VALU_DEP_1)
	v_mov_b32_e32 v93, v0
                                        ; implicit-def: $vgpr1
.LBB26_89:
	s_and_not1_saveexec_b32 s26, s56
	s_cbranch_execz .LBB26_91
; %bb.90:
	v_mov_b32_e32 v0, v85
	s_swap_pc_i64 s[30:31], s[52:53]
	s_delay_alu instid0(VALU_DEP_1)
	v_mov_b32_e32 v93, v0
.LBB26_91:
	s_or_b32 exec_lo, exec_lo, s26
	v_lshlrev_b32_e32 v1, 16, v111
	s_and_saveexec_b32 s0, s55
	s_delay_alu instid0(SALU_CYCLE_1)
	s_xor_b32 s56, exec_lo, s0
	s_cbranch_execz .LBB26_93
; %bb.92:
	v_mov_b32_e32 v0, v86
	s_swap_pc_i64 s[30:31], s[50:51]
	s_delay_alu instid0(VALU_DEP_1)
	v_mov_b32_e32 v94, v0
                                        ; implicit-def: $vgpr1
.LBB26_93:
	s_and_not1_saveexec_b32 s26, s56
	s_cbranch_execz .LBB26_95
; %bb.94:
	v_mov_b32_e32 v0, v86
	s_swap_pc_i64 s[30:31], s[52:53]
	s_delay_alu instid0(VALU_DEP_1)
	v_mov_b32_e32 v94, v0
.LBB26_95:
	s_or_b32 exec_lo, exec_lo, s26
	v_and_b32_e32 v1, 0xffff0000, v111
	s_and_saveexec_b32 s0, s55
	s_delay_alu instid0(SALU_CYCLE_1)
	s_xor_b32 s56, exec_lo, s0
	s_cbranch_execz .LBB26_97
; %bb.96:
	v_mov_b32_e32 v0, v87
	s_swap_pc_i64 s[30:31], s[50:51]
	s_delay_alu instid0(VALU_DEP_1)
	v_mov_b32_e32 v95, v0
                                        ; implicit-def: $vgpr87
                                        ; implicit-def: $vgpr1
.LBB26_97:
	s_and_not1_saveexec_b32 s26, s56
	s_cbranch_execz .LBB26_99
; %bb.98:
	v_mov_b32_e32 v0, v87
	s_swap_pc_i64 s[30:31], s[52:53]
	s_delay_alu instid0(VALU_DEP_1)
	v_mov_b32_e32 v95, v0
.LBB26_99:
	s_or_b32 exec_lo, exec_lo, s26
	s_wait_loadcnt 0x0
	v_lshlrev_b32_e32 v1, 16, v104
                                        ; implicit-def: $vgpr84
	s_and_saveexec_b32 s0, s55
	s_delay_alu instid0(SALU_CYCLE_1)
	s_xor_b32 s56, exec_lo, s0
	s_cbranch_execz .LBB26_101
; %bb.100:
	v_mov_b32_e32 v0, v60
	s_swap_pc_i64 s[30:31], s[50:51]
	s_delay_alu instid0(VALU_DEP_1)
	v_mov_b32_e32 v84, v0
                                        ; implicit-def: $vgpr1
.LBB26_101:
	s_and_not1_saveexec_b32 s26, s56
	s_cbranch_execz .LBB26_103
; %bb.102:
	v_mov_b32_e32 v0, v60
	s_swap_pc_i64 s[30:31], s[52:53]
	s_delay_alu instid0(VALU_DEP_1)
	v_mov_b32_e32 v84, v0
.LBB26_103:
	s_or_b32 exec_lo, exec_lo, s26
	v_and_b32_e32 v1, 0xffff0000, v104
	s_and_saveexec_b32 s0, s55
	s_delay_alu instid0(SALU_CYCLE_1)
	s_xor_b32 s56, exec_lo, s0
	s_cbranch_execz .LBB26_105
; %bb.104:
	v_mov_b32_e32 v0, v61
	s_swap_pc_i64 s[30:31], s[50:51]
	s_delay_alu instid0(VALU_DEP_1)
	v_mov_b32_e32 v85, v0
                                        ; implicit-def: $vgpr1
.LBB26_105:
	s_and_not1_saveexec_b32 s26, s56
	s_cbranch_execz .LBB26_107
; %bb.106:
	v_mov_b32_e32 v0, v61
	s_swap_pc_i64 s[30:31], s[52:53]
	s_delay_alu instid0(VALU_DEP_1)
	v_mov_b32_e32 v85, v0
.LBB26_107:
	s_or_b32 exec_lo, exec_lo, s26
	v_lshlrev_b32_e32 v1, 16, v105
	s_and_saveexec_b32 s0, s55
	s_delay_alu instid0(SALU_CYCLE_1)
	s_xor_b32 s56, exec_lo, s0
	s_cbranch_execz .LBB26_109
; %bb.108:
	v_mov_b32_e32 v0, v62
	s_swap_pc_i64 s[30:31], s[50:51]
	s_delay_alu instid0(VALU_DEP_1)
	v_mov_b32_e32 v86, v0
                                        ; implicit-def: $vgpr1
.LBB26_109:
	s_and_not1_saveexec_b32 s26, s56
	s_cbranch_execz .LBB26_111
; %bb.110:
	v_mov_b32_e32 v0, v62
	s_swap_pc_i64 s[30:31], s[52:53]
	s_delay_alu instid0(VALU_DEP_1)
	v_mov_b32_e32 v86, v0
.LBB26_111:
	s_or_b32 exec_lo, exec_lo, s26
	v_and_b32_e32 v1, 0xffff0000, v105
	s_and_saveexec_b32 s0, s55
	s_delay_alu instid0(SALU_CYCLE_1)
	s_xor_b32 s56, exec_lo, s0
	s_cbranch_execz .LBB26_113
; %bb.112:
	v_mov_b32_e32 v0, v63
	s_swap_pc_i64 s[30:31], s[50:51]
	s_delay_alu instid0(VALU_DEP_1)
	v_mov_b32_e32 v87, v0
                                        ; implicit-def: $vgpr63
                                        ; implicit-def: $vgpr1
.LBB26_113:
	s_and_not1_saveexec_b32 s26, s56
	s_cbranch_execz .LBB26_115
; %bb.114:
	v_mov_b32_e32 v0, v63
	s_swap_pc_i64 s[30:31], s[52:53]
	s_delay_alu instid0(VALU_DEP_1)
	v_mov_b32_e32 v87, v0
.LBB26_115:
	s_or_b32 exec_lo, exec_lo, s26
	v_lshlrev_b32_e32 v1, 16, v106
                                        ; implicit-def: $vgpr60
	s_and_saveexec_b32 s0, s55
	s_delay_alu instid0(SALU_CYCLE_1)
	s_xor_b32 s56, exec_lo, s0
	s_cbranch_execz .LBB26_117
; %bb.116:
	v_mov_b32_e32 v0, v42
	s_swap_pc_i64 s[30:31], s[50:51]
	s_delay_alu instid0(VALU_DEP_1)
	v_mov_b32_e32 v60, v0
                                        ; implicit-def: $vgpr1
.LBB26_117:
	s_and_not1_saveexec_b32 s26, s56
	s_cbranch_execz .LBB26_119
; %bb.118:
	v_mov_b32_e32 v0, v42
	s_swap_pc_i64 s[30:31], s[52:53]
	s_delay_alu instid0(VALU_DEP_1)
	v_mov_b32_e32 v60, v0
.LBB26_119:
	s_or_b32 exec_lo, exec_lo, s26
	v_and_b32_e32 v1, 0xffff0000, v106
	s_and_saveexec_b32 s0, s55
	s_delay_alu instid0(SALU_CYCLE_1)
	s_xor_b32 s56, exec_lo, s0
	s_cbranch_execz .LBB26_121
; %bb.120:
	v_mov_b32_e32 v0, v43
	s_swap_pc_i64 s[30:31], s[50:51]
	s_delay_alu instid0(VALU_DEP_1)
	v_mov_b32_e32 v61, v0
                                        ; implicit-def: $vgpr1
.LBB26_121:
	s_and_not1_saveexec_b32 s26, s56
	s_cbranch_execz .LBB26_123
; %bb.122:
	v_mov_b32_e32 v0, v43
	s_swap_pc_i64 s[30:31], s[52:53]
	s_delay_alu instid0(VALU_DEP_1)
	v_mov_b32_e32 v61, v0
.LBB26_123:
	s_or_b32 exec_lo, exec_lo, s26
	v_lshlrev_b32_e32 v1, 16, v107
	s_and_saveexec_b32 s0, s55
	s_delay_alu instid0(SALU_CYCLE_1)
	s_xor_b32 s56, exec_lo, s0
	s_cbranch_execz .LBB26_125
; %bb.124:
	v_mov_b32_e32 v0, v44
	s_swap_pc_i64 s[30:31], s[50:51]
	s_delay_alu instid0(VALU_DEP_1)
	v_mov_b32_e32 v62, v0
                                        ; implicit-def: $vgpr1
.LBB26_125:
	s_and_not1_saveexec_b32 s26, s56
	s_cbranch_execz .LBB26_127
; %bb.126:
	v_mov_b32_e32 v0, v44
	s_swap_pc_i64 s[30:31], s[52:53]
	s_delay_alu instid0(VALU_DEP_1)
	v_mov_b32_e32 v62, v0
.LBB26_127:
	s_or_b32 exec_lo, exec_lo, s26
	v_and_b32_e32 v1, 0xffff0000, v107
	s_and_saveexec_b32 s0, s55
	s_delay_alu instid0(SALU_CYCLE_1)
	s_xor_b32 s55, exec_lo, s0
	s_cbranch_execz .LBB26_129
; %bb.128:
	v_mov_b32_e32 v0, v45
	s_swap_pc_i64 s[30:31], s[50:51]
	s_delay_alu instid0(VALU_DEP_1)
	v_mov_b32_e32 v63, v0
                                        ; implicit-def: $vgpr45
                                        ; implicit-def: $vgpr1
.LBB26_129:
	s_and_not1_saveexec_b32 s26, s55
	s_cbranch_execz .LBB26_131
; %bb.130:
	v_mov_b32_e32 v0, v45
	s_swap_pc_i64 s[30:31], s[52:53]
	s_delay_alu instid0(VALU_DEP_1)
	v_mov_b32_e32 v63, v0
.LBB26_131:
	s_or_b32 exec_lo, exec_lo, s26
	s_add_nc_u64 s[2:3], s[36:37], s[48:49]
	s_clause 0x7
	global_store_b128 v120, v[56:59], s[2:3]
	global_store_b128 v120, v[72:75], s[2:3] offset:16
	global_store_b128 v120, v[76:79], s[2:3] offset:16384
	;; [unrolled: 1-line block ×7, first 2 shown]
	s_branch .LBB26_2
.LBB26_132:
	s_clause 0x1
	s_load_b32 s6, s[34:35], 0x24
	s_load_b128 s[0:3], s[34:35], 0x28
	ds_load_u8 v0, v47
	v_dual_mov_b32 v31, v46 :: v_dual_mov_b32 v1, s36
	v_dual_mov_b32 v2, s37 :: v_dual_mov_b32 v3, s38
	;; [unrolled: 1-line block ×4, first 2 shown]
	s_add_nc_u64 s[8:9], s[34:35], 56
	s_get_pc_i64 s[4:5]
	s_add_nc_u64 s[4:5], s[4:5], _ZN2at6native25elementwise_kernel_helperILb1EN12_GLOBAL__N_110CalcIgammaIfEENS0_6memory8policies11unroll_baseILi512ESt5arrayIPcLm3EE23TrivialOffsetCalculatorILi2EjESB_ILi1EjENS5_12LoadWithCastILi2EEENS5_13StoreWithCastILi1EEELi32ELi1EEEEEvT0_T1_@rel64+4
	s_wait_kmcnt 0x0
	s_bfe_u32 s7, s6, 0x80008
	v_dual_mov_b32 v8, s6 :: v_dual_mov_b32 v10, s0
	v_dual_mov_b32 v11, s1 :: v_dual_mov_b32 v12, s2
	;; [unrolled: 1-line block ×3, first 2 shown]
	s_swap_pc_i64 s[30:31], s[4:5]
	s_endpgm
	.section	.rodata,"a",@progbits
	.p2align	6, 0x0
	.amdhsa_kernel _ZN2at6native39vectorized_templated_elementwise_kernelILi8EN12_GLOBAL__N_110CalcIgammaIfEESt5arrayIPcLm3EE23TrivialOffsetCalculatorILi2EjES8_ILi1EjENS0_6memory12LoadWithCastILi2EEENSB_13StoreWithCastILi1EEEfJfN3c108BFloat16EEEEviT0_T1_T2_T3_T4_T5_
		.amdhsa_group_segment_fixed_size 1024
		.amdhsa_private_segment_fixed_size 448
		.amdhsa_kernarg_size 312
		.amdhsa_user_sgpr_count 4
		.amdhsa_user_sgpr_dispatch_ptr 1
		.amdhsa_user_sgpr_queue_ptr 0
		.amdhsa_user_sgpr_kernarg_segment_ptr 1
		.amdhsa_user_sgpr_dispatch_id 0
		.amdhsa_user_sgpr_kernarg_preload_length 0
		.amdhsa_user_sgpr_kernarg_preload_offset 0
		.amdhsa_user_sgpr_private_segment_size 0
		.amdhsa_wavefront_size32 1
		.amdhsa_uses_dynamic_stack 0
		.amdhsa_enable_private_segment 1
		.amdhsa_system_sgpr_workgroup_id_x 1
		.amdhsa_system_sgpr_workgroup_id_y 0
		.amdhsa_system_sgpr_workgroup_id_z 0
		.amdhsa_system_sgpr_workgroup_info 0
		.amdhsa_system_vgpr_workitem_id 2
		.amdhsa_next_free_vgpr 214
		.amdhsa_next_free_sgpr 96
		.amdhsa_named_barrier_count 0
		.amdhsa_reserve_vcc 1
		.amdhsa_float_round_mode_32 0
		.amdhsa_float_round_mode_16_64 0
		.amdhsa_float_denorm_mode_32 3
		.amdhsa_float_denorm_mode_16_64 3
		.amdhsa_fp16_overflow 0
		.amdhsa_memory_ordered 1
		.amdhsa_forward_progress 1
		.amdhsa_inst_pref_size 23
		.amdhsa_round_robin_scheduling 0
		.amdhsa_exception_fp_ieee_invalid_op 0
		.amdhsa_exception_fp_denorm_src 0
		.amdhsa_exception_fp_ieee_div_zero 0
		.amdhsa_exception_fp_ieee_overflow 0
		.amdhsa_exception_fp_ieee_underflow 0
		.amdhsa_exception_fp_ieee_inexact 0
		.amdhsa_exception_int_div_zero 0
	.end_amdhsa_kernel
	.section	.text._ZN2at6native39vectorized_templated_elementwise_kernelILi8EN12_GLOBAL__N_110CalcIgammaIfEESt5arrayIPcLm3EE23TrivialOffsetCalculatorILi2EjES8_ILi1EjENS0_6memory12LoadWithCastILi2EEENSB_13StoreWithCastILi1EEEfJfN3c108BFloat16EEEEviT0_T1_T2_T3_T4_T5_,"axG",@progbits,_ZN2at6native39vectorized_templated_elementwise_kernelILi8EN12_GLOBAL__N_110CalcIgammaIfEESt5arrayIPcLm3EE23TrivialOffsetCalculatorILi2EjES8_ILi1EjENS0_6memory12LoadWithCastILi2EEENSB_13StoreWithCastILi1EEEfJfN3c108BFloat16EEEEviT0_T1_T2_T3_T4_T5_,comdat
.Lfunc_end26:
	.size	_ZN2at6native39vectorized_templated_elementwise_kernelILi8EN12_GLOBAL__N_110CalcIgammaIfEESt5arrayIPcLm3EE23TrivialOffsetCalculatorILi2EjES8_ILi1EjENS0_6memory12LoadWithCastILi2EEENSB_13StoreWithCastILi1EEEfJfN3c108BFloat16EEEEviT0_T1_T2_T3_T4_T5_, .Lfunc_end26-_ZN2at6native39vectorized_templated_elementwise_kernelILi8EN12_GLOBAL__N_110CalcIgammaIfEESt5arrayIPcLm3EE23TrivialOffsetCalculatorILi2EjES8_ILi1EjENS0_6memory12LoadWithCastILi2EEENSB_13StoreWithCastILi1EEEfJfN3c108BFloat16EEEEviT0_T1_T2_T3_T4_T5_
                                        ; -- End function
	.set _ZN2at6native39vectorized_templated_elementwise_kernelILi8EN12_GLOBAL__N_110CalcIgammaIfEESt5arrayIPcLm3EE23TrivialOffsetCalculatorILi2EjES8_ILi1EjENS0_6memory12LoadWithCastILi2EEENSB_13StoreWithCastILi1EEEfJfN3c108BFloat16EEEEviT0_T1_T2_T3_T4_T5_.num_vgpr, max(121, .L_ZN12_GLOBAL__N_111calc_igammaIfEET_S1_S1_.num_vgpr, .L_ZN12_GLOBAL__N_112calc_igammacIfEET_S1_S1_.num_vgpr, .L_ZN2at6native25elementwise_kernel_helperILb1EN12_GLOBAL__N_110CalcIgammaIfEENS0_6memory8policies11unroll_baseILi512ESt5arrayIPcLm3EE23TrivialOffsetCalculatorILi2EjESB_ILi1EjENS5_12LoadWithCastILi2EEENS5_13StoreWithCastILi1EEELi32ELi1EEEEEvT0_T1_.num_vgpr)
	.set _ZN2at6native39vectorized_templated_elementwise_kernelILi8EN12_GLOBAL__N_110CalcIgammaIfEESt5arrayIPcLm3EE23TrivialOffsetCalculatorILi2EjES8_ILi1EjENS0_6memory12LoadWithCastILi2EEENSB_13StoreWithCastILi1EEEfJfN3c108BFloat16EEEEviT0_T1_T2_T3_T4_T5_.num_agpr, max(0, .L_ZN12_GLOBAL__N_111calc_igammaIfEET_S1_S1_.num_agpr, .L_ZN12_GLOBAL__N_112calc_igammacIfEET_S1_S1_.num_agpr, .L_ZN2at6native25elementwise_kernel_helperILb1EN12_GLOBAL__N_110CalcIgammaIfEENS0_6memory8policies11unroll_baseILi512ESt5arrayIPcLm3EE23TrivialOffsetCalculatorILi2EjESB_ILi1EjENS5_12LoadWithCastILi2EEENS5_13StoreWithCastILi1EEELi32ELi1EEEEEvT0_T1_.num_agpr)
	.set _ZN2at6native39vectorized_templated_elementwise_kernelILi8EN12_GLOBAL__N_110CalcIgammaIfEESt5arrayIPcLm3EE23TrivialOffsetCalculatorILi2EjES8_ILi1EjENS0_6memory12LoadWithCastILi2EEENSB_13StoreWithCastILi1EEEfJfN3c108BFloat16EEEEviT0_T1_T2_T3_T4_T5_.numbered_sgpr, max(57, .L_ZN12_GLOBAL__N_111calc_igammaIfEET_S1_S1_.numbered_sgpr, .L_ZN12_GLOBAL__N_112calc_igammacIfEET_S1_S1_.numbered_sgpr, .L_ZN2at6native25elementwise_kernel_helperILb1EN12_GLOBAL__N_110CalcIgammaIfEENS0_6memory8policies11unroll_baseILi512ESt5arrayIPcLm3EE23TrivialOffsetCalculatorILi2EjESB_ILi1EjENS5_12LoadWithCastILi2EEENS5_13StoreWithCastILi1EEELi32ELi1EEEEEvT0_T1_.numbered_sgpr)
	.set _ZN2at6native39vectorized_templated_elementwise_kernelILi8EN12_GLOBAL__N_110CalcIgammaIfEESt5arrayIPcLm3EE23TrivialOffsetCalculatorILi2EjES8_ILi1EjENS0_6memory12LoadWithCastILi2EEENSB_13StoreWithCastILi1EEEfJfN3c108BFloat16EEEEviT0_T1_T2_T3_T4_T5_.num_named_barrier, max(0, .L_ZN12_GLOBAL__N_111calc_igammaIfEET_S1_S1_.num_named_barrier, .L_ZN12_GLOBAL__N_112calc_igammacIfEET_S1_S1_.num_named_barrier, .L_ZN2at6native25elementwise_kernel_helperILb1EN12_GLOBAL__N_110CalcIgammaIfEENS0_6memory8policies11unroll_baseILi512ESt5arrayIPcLm3EE23TrivialOffsetCalculatorILi2EjESB_ILi1EjENS5_12LoadWithCastILi2EEENS5_13StoreWithCastILi1EEELi32ELi1EEEEEvT0_T1_.num_named_barrier)
	.set _ZN2at6native39vectorized_templated_elementwise_kernelILi8EN12_GLOBAL__N_110CalcIgammaIfEESt5arrayIPcLm3EE23TrivialOffsetCalculatorILi2EjES8_ILi1EjENS0_6memory12LoadWithCastILi2EEENSB_13StoreWithCastILi1EEEfJfN3c108BFloat16EEEEviT0_T1_T2_T3_T4_T5_.private_seg_size, 0+max(.L_ZN12_GLOBAL__N_111calc_igammaIfEET_S1_S1_.private_seg_size, .L_ZN12_GLOBAL__N_112calc_igammacIfEET_S1_S1_.private_seg_size, .L_ZN2at6native25elementwise_kernel_helperILb1EN12_GLOBAL__N_110CalcIgammaIfEENS0_6memory8policies11unroll_baseILi512ESt5arrayIPcLm3EE23TrivialOffsetCalculatorILi2EjESB_ILi1EjENS5_12LoadWithCastILi2EEENS5_13StoreWithCastILi1EEELi32ELi1EEEEEvT0_T1_.private_seg_size)
	.set _ZN2at6native39vectorized_templated_elementwise_kernelILi8EN12_GLOBAL__N_110CalcIgammaIfEESt5arrayIPcLm3EE23TrivialOffsetCalculatorILi2EjES8_ILi1EjENS0_6memory12LoadWithCastILi2EEENSB_13StoreWithCastILi1EEEfJfN3c108BFloat16EEEEviT0_T1_T2_T3_T4_T5_.uses_vcc, or(1, .L_ZN12_GLOBAL__N_111calc_igammaIfEET_S1_S1_.uses_vcc, .L_ZN12_GLOBAL__N_112calc_igammacIfEET_S1_S1_.uses_vcc, .L_ZN2at6native25elementwise_kernel_helperILb1EN12_GLOBAL__N_110CalcIgammaIfEENS0_6memory8policies11unroll_baseILi512ESt5arrayIPcLm3EE23TrivialOffsetCalculatorILi2EjESB_ILi1EjENS5_12LoadWithCastILi2EEENS5_13StoreWithCastILi1EEELi32ELi1EEEEEvT0_T1_.uses_vcc)
	.set _ZN2at6native39vectorized_templated_elementwise_kernelILi8EN12_GLOBAL__N_110CalcIgammaIfEESt5arrayIPcLm3EE23TrivialOffsetCalculatorILi2EjES8_ILi1EjENS0_6memory12LoadWithCastILi2EEENSB_13StoreWithCastILi1EEEfJfN3c108BFloat16EEEEviT0_T1_T2_T3_T4_T5_.uses_flat_scratch, or(0, .L_ZN12_GLOBAL__N_111calc_igammaIfEET_S1_S1_.uses_flat_scratch, .L_ZN12_GLOBAL__N_112calc_igammacIfEET_S1_S1_.uses_flat_scratch, .L_ZN2at6native25elementwise_kernel_helperILb1EN12_GLOBAL__N_110CalcIgammaIfEENS0_6memory8policies11unroll_baseILi512ESt5arrayIPcLm3EE23TrivialOffsetCalculatorILi2EjESB_ILi1EjENS5_12LoadWithCastILi2EEENS5_13StoreWithCastILi1EEELi32ELi1EEEEEvT0_T1_.uses_flat_scratch)
	.set _ZN2at6native39vectorized_templated_elementwise_kernelILi8EN12_GLOBAL__N_110CalcIgammaIfEESt5arrayIPcLm3EE23TrivialOffsetCalculatorILi2EjES8_ILi1EjENS0_6memory12LoadWithCastILi2EEENSB_13StoreWithCastILi1EEEfJfN3c108BFloat16EEEEviT0_T1_T2_T3_T4_T5_.has_dyn_sized_stack, or(0, .L_ZN12_GLOBAL__N_111calc_igammaIfEET_S1_S1_.has_dyn_sized_stack, .L_ZN12_GLOBAL__N_112calc_igammacIfEET_S1_S1_.has_dyn_sized_stack, .L_ZN2at6native25elementwise_kernel_helperILb1EN12_GLOBAL__N_110CalcIgammaIfEENS0_6memory8policies11unroll_baseILi512ESt5arrayIPcLm3EE23TrivialOffsetCalculatorILi2EjESB_ILi1EjENS5_12LoadWithCastILi2EEENS5_13StoreWithCastILi1EEELi32ELi1EEEEEvT0_T1_.has_dyn_sized_stack)
	.set _ZN2at6native39vectorized_templated_elementwise_kernelILi8EN12_GLOBAL__N_110CalcIgammaIfEESt5arrayIPcLm3EE23TrivialOffsetCalculatorILi2EjES8_ILi1EjENS0_6memory12LoadWithCastILi2EEENSB_13StoreWithCastILi1EEEfJfN3c108BFloat16EEEEviT0_T1_T2_T3_T4_T5_.has_recursion, or(0, .L_ZN12_GLOBAL__N_111calc_igammaIfEET_S1_S1_.has_recursion, .L_ZN12_GLOBAL__N_112calc_igammacIfEET_S1_S1_.has_recursion, .L_ZN2at6native25elementwise_kernel_helperILb1EN12_GLOBAL__N_110CalcIgammaIfEENS0_6memory8policies11unroll_baseILi512ESt5arrayIPcLm3EE23TrivialOffsetCalculatorILi2EjESB_ILi1EjENS5_12LoadWithCastILi2EEENS5_13StoreWithCastILi1EEELi32ELi1EEEEEvT0_T1_.has_recursion)
	.set _ZN2at6native39vectorized_templated_elementwise_kernelILi8EN12_GLOBAL__N_110CalcIgammaIfEESt5arrayIPcLm3EE23TrivialOffsetCalculatorILi2EjES8_ILi1EjENS0_6memory12LoadWithCastILi2EEENSB_13StoreWithCastILi1EEEfJfN3c108BFloat16EEEEviT0_T1_T2_T3_T4_T5_.has_indirect_call, or(0, .L_ZN12_GLOBAL__N_111calc_igammaIfEET_S1_S1_.has_indirect_call, .L_ZN12_GLOBAL__N_112calc_igammacIfEET_S1_S1_.has_indirect_call, .L_ZN2at6native25elementwise_kernel_helperILb1EN12_GLOBAL__N_110CalcIgammaIfEENS0_6memory8policies11unroll_baseILi512ESt5arrayIPcLm3EE23TrivialOffsetCalculatorILi2EjESB_ILi1EjENS5_12LoadWithCastILi2EEENS5_13StoreWithCastILi1EEELi32ELi1EEEEEvT0_T1_.has_indirect_call)
	.section	.AMDGPU.csdata,"",@progbits
; Kernel info:
; codeLenInByte = 2856
; TotalNumSgprs: 98
; NumVgprs: 214
; ScratchSize: 448
; MemoryBound: 0
; FloatMode: 240
; IeeeMode: 1
; LDSByteSize: 1024 bytes/workgroup (compile time only)
; SGPRBlocks: 0
; VGPRBlocks: 13
; NumSGPRsForWavesPerEU: 98
; NumVGPRsForWavesPerEU: 214
; NamedBarCnt: 0
; Occupancy: 4
; WaveLimiterHint : 0
; COMPUTE_PGM_RSRC2:SCRATCH_EN: 1
; COMPUTE_PGM_RSRC2:USER_SGPR: 4
; COMPUTE_PGM_RSRC2:TRAP_HANDLER: 0
; COMPUTE_PGM_RSRC2:TGID_X_EN: 1
; COMPUTE_PGM_RSRC2:TGID_Y_EN: 0
; COMPUTE_PGM_RSRC2:TGID_Z_EN: 0
; COMPUTE_PGM_RSRC2:TIDIG_COMP_CNT: 2
	.section	.text._ZN2at6native39vectorized_templated_elementwise_kernelILi4EN12_GLOBAL__N_110CalcIgammaIfEESt5arrayIPcLm3EE23TrivialOffsetCalculatorILi2EjES8_ILi1EjENS0_6memory12LoadWithCastILi2EEENSB_13StoreWithCastILi1EEEfJfN3c108BFloat16EEEEviT0_T1_T2_T3_T4_T5_,"axG",@progbits,_ZN2at6native39vectorized_templated_elementwise_kernelILi4EN12_GLOBAL__N_110CalcIgammaIfEESt5arrayIPcLm3EE23TrivialOffsetCalculatorILi2EjES8_ILi1EjENS0_6memory12LoadWithCastILi2EEENSB_13StoreWithCastILi1EEEfJfN3c108BFloat16EEEEviT0_T1_T2_T3_T4_T5_,comdat
	.globl	_ZN2at6native39vectorized_templated_elementwise_kernelILi4EN12_GLOBAL__N_110CalcIgammaIfEESt5arrayIPcLm3EE23TrivialOffsetCalculatorILi2EjES8_ILi1EjENS0_6memory12LoadWithCastILi2EEENSB_13StoreWithCastILi1EEEfJfN3c108BFloat16EEEEviT0_T1_T2_T3_T4_T5_ ; -- Begin function _ZN2at6native39vectorized_templated_elementwise_kernelILi4EN12_GLOBAL__N_110CalcIgammaIfEESt5arrayIPcLm3EE23TrivialOffsetCalculatorILi2EjES8_ILi1EjENS0_6memory12LoadWithCastILi2EEENSB_13StoreWithCastILi1EEEfJfN3c108BFloat16EEEEviT0_T1_T2_T3_T4_T5_
	.p2align	8
	.type	_ZN2at6native39vectorized_templated_elementwise_kernelILi4EN12_GLOBAL__N_110CalcIgammaIfEESt5arrayIPcLm3EE23TrivialOffsetCalculatorILi2EjES8_ILi1EjENS0_6memory12LoadWithCastILi2EEENSB_13StoreWithCastILi1EEEfJfN3c108BFloat16EEEEviT0_T1_T2_T3_T4_T5_,@function
_ZN2at6native39vectorized_templated_elementwise_kernelILi4EN12_GLOBAL__N_110CalcIgammaIfEESt5arrayIPcLm3EE23TrivialOffsetCalculatorILi2EjES8_ILi1EjENS0_6memory12LoadWithCastILi2EEENSB_13StoreWithCastILi1EEEfJfN3c108BFloat16EEEEviT0_T1_T2_T3_T4_T5_: ; @_ZN2at6native39vectorized_templated_elementwise_kernelILi4EN12_GLOBAL__N_110CalcIgammaIfEESt5arrayIPcLm3EE23TrivialOffsetCalculatorILi2EjES8_ILi1EjENS0_6memory12LoadWithCastILi2EEENSB_13StoreWithCastILi1EEEfJfN3c108BFloat16EEEEviT0_T1_T2_T3_T4_T5_
; %bb.0:
	s_mov_b64 s[34:35], s[2:3]
	s_load_b64 s[2:3], s[0:1], 0x4
	s_clause 0x2
	s_load_b64 s[4:5], s[34:35], 0x0
	s_load_b64 s[46:47], s[34:35], 0x18
	s_load_b32 s6, s[34:35], 0x38
	s_wait_xcnt 0x0
	s_bfe_u32 s1, ttmp6, 0x4000c
	s_and_b32 s0, ttmp6, 15
	s_add_co_i32 s1, s1, 1
	s_load_b128 s[36:39], s[34:35], 0x8
	s_mul_i32 s1, ttmp9, s1
	s_getreg_b32 s7, hwreg(HW_REG_IB_STS2, 6, 4)
	s_add_co_i32 s0, s0, s1
	s_mov_b32 s32, 0
	s_wait_kmcnt 0x0
	s_lshr_b32 s2, s2, 16
	s_and_b32 s1, s5, 1
	v_mov_b32_e32 v46, v0
	s_mul_i32 s2, s2, s3
	s_cmp_eq_u32 s7, 0
	s_cselect_b32 s0, ttmp9, s0
	s_delay_alu instid0(VALU_DEP_1) | instskip(SKIP_3) | instid1(VALU_DEP_3)
	v_and_b32_e32 v114, 0x3ff, v46
	v_bfe_u32 v0, v46, 10, 10
	v_bfe_u32 v2, v46, 20, 10
	s_not_b32 s0, s0
	v_mul_lo_u32 v1, s2, v114
	s_delay_alu instid0(VALU_DEP_3) | instskip(SKIP_1) | instid1(SALU_CYCLE_1)
	v_mul_u32_u24_e32 v0, s3, v0
	s_add_co_i32 s6, s6, s0
	s_lshl_b32 s0, s6, 14
	s_delay_alu instid0(SALU_CYCLE_1) | instskip(NEXT) | instid1(SALU_CYCLE_1)
	s_sub_co_i32 s54, s4, s0
	s_cmp_gt_i32 s54, 0x3fff
	s_delay_alu instid0(VALU_DEP_2)
	v_add3_u32 v47, v1, v0, v2
	v_mov_b32_e32 v0, s1
	s_mov_b32 s1, -1
	ds_store_b8 v47, v0
	s_cbranch_scc1 .LBB27_3
; %bb.1:
	s_and_b32 vcc_lo, exec_lo, s1
	s_cbranch_vccnz .LBB27_132
.LBB27_2:
	s_endpgm
.LBB27_3:
	s_ashr_i32 s1, s0, 31
	s_get_pc_i64 s[50:51]
	s_add_nc_u64 s[50:51], s[50:51], _ZN12_GLOBAL__N_111calc_igammaIfEET_S1_S1_@rel64+4
	s_lshl_b64 s[48:49], s[0:1], 2
	s_lshl_b64 s[0:1], s[0:1], 1
	s_add_nc_u64 s[2:3], s[38:39], s[48:49]
	s_add_nc_u64 s[0:1], s[46:47], s[0:1]
	s_clause 0xf
	global_load_b128 v[72:75], v114, s[2:3] scale_offset
	global_load_b128 v[100:103], v114, s[2:3] offset:8192 scale_offset
	global_load_b128 v[86:89], v114, s[2:3] offset:16384 scale_offset
	;; [unrolled: 1-line block ×7, first 2 shown]
	global_load_b64 v[58:59], v114, s[0:1] scale_offset
	global_load_b64 v[84:85], v114, s[0:1] offset:4096 scale_offset
	global_load_b64 v[112:113], v114, s[0:1] offset:8192 scale_offset
	;; [unrolled: 1-line block ×7, first 2 shown]
	ds_load_u8 v0, v47
                                        ; implicit-def: $vgpr56
	s_wait_loadcnt_dscnt 0x700
	v_dual_lshlrev_b32 v1, 16, v58 :: v_dual_bitop2_b32 v0, 1, v0 bitop3:0x40
	s_delay_alu instid0(VALU_DEP_1) | instskip(SKIP_4) | instid1(SALU_CYCLE_1)
	v_cmp_eq_u32_e32 vcc_lo, 1, v0
	ds_store_b8 v47, v0 offset:512
	s_xor_b32 s55, vcc_lo, -1
	s_wait_xcnt 0x0
	s_and_saveexec_b32 s0, s55
	s_xor_b32 s52, exec_lo, s0
	s_cbranch_execz .LBB27_5
; %bb.4:
	v_mov_b32_e32 v0, v72
	s_swap_pc_i64 s[30:31], s[50:51]
	s_delay_alu instid0(VALU_DEP_1)
	v_mov_b32_e32 v56, v0
                                        ; implicit-def: $vgpr1
.LBB27_5:
	s_or_saveexec_b32 s26, s52
	s_get_pc_i64 s[52:53]
	s_add_nc_u64 s[52:53], s[52:53], _ZN12_GLOBAL__N_112calc_igammacIfEET_S1_S1_@rel64+4
	s_xor_b32 exec_lo, exec_lo, s26
	s_cbranch_execz .LBB27_7
; %bb.6:
	v_mov_b32_e32 v0, v72
	s_swap_pc_i64 s[30:31], s[52:53]
	s_delay_alu instid0(VALU_DEP_1)
	v_mov_b32_e32 v56, v0
.LBB27_7:
	s_or_b32 exec_lo, exec_lo, s26
	v_and_b32_e32 v1, 0xffff0000, v58
	s_and_saveexec_b32 s0, s55
	s_delay_alu instid0(SALU_CYCLE_1)
	s_xor_b32 s56, exec_lo, s0
	s_cbranch_execz .LBB27_9
; %bb.8:
	v_mov_b32_e32 v0, v73
	s_swap_pc_i64 s[30:31], s[50:51]
	s_delay_alu instid0(VALU_DEP_1)
	v_mov_b32_e32 v57, v0
                                        ; implicit-def: $vgpr1
.LBB27_9:
	s_and_not1_saveexec_b32 s26, s56
	s_cbranch_execz .LBB27_11
; %bb.10:
	v_mov_b32_e32 v0, v73
	s_swap_pc_i64 s[30:31], s[52:53]
	s_delay_alu instid0(VALU_DEP_1)
	v_mov_b32_e32 v57, v0
.LBB27_11:
	s_or_b32 exec_lo, exec_lo, s26
	v_lshlrev_b32_e32 v1, 16, v59
	s_and_saveexec_b32 s0, s55
	s_delay_alu instid0(SALU_CYCLE_1)
	s_xor_b32 s56, exec_lo, s0
	s_cbranch_execz .LBB27_13
; %bb.12:
	v_mov_b32_e32 v0, v74
	s_swap_pc_i64 s[30:31], s[50:51]
	s_delay_alu instid0(VALU_DEP_1)
	v_mov_b32_e32 v58, v0
                                        ; implicit-def: $vgpr1
.LBB27_13:
	s_and_not1_saveexec_b32 s26, s56
	s_cbranch_execz .LBB27_15
; %bb.14:
	v_mov_b32_e32 v0, v74
	s_swap_pc_i64 s[30:31], s[52:53]
	s_delay_alu instid0(VALU_DEP_1)
	v_mov_b32_e32 v58, v0
.LBB27_15:
	s_or_b32 exec_lo, exec_lo, s26
	v_and_b32_e32 v1, 0xffff0000, v59
	s_and_saveexec_b32 s0, s55
	s_delay_alu instid0(SALU_CYCLE_1)
	s_xor_b32 s56, exec_lo, s0
	s_cbranch_execz .LBB27_17
; %bb.16:
	v_mov_b32_e32 v0, v75
	s_swap_pc_i64 s[30:31], s[50:51]
	s_delay_alu instid0(VALU_DEP_1)
	v_mov_b32_e32 v59, v0
                                        ; implicit-def: $vgpr75
                                        ; implicit-def: $vgpr1
.LBB27_17:
	s_and_not1_saveexec_b32 s26, s56
	s_cbranch_execz .LBB27_19
; %bb.18:
	v_mov_b32_e32 v0, v75
	s_swap_pc_i64 s[30:31], s[52:53]
	s_delay_alu instid0(VALU_DEP_1)
	v_mov_b32_e32 v59, v0
.LBB27_19:
	s_or_b32 exec_lo, exec_lo, s26
	s_wait_loadcnt 0x6
	v_lshlrev_b32_e32 v1, 16, v84
                                        ; implicit-def: $vgpr72
	s_and_saveexec_b32 s0, s55
	s_delay_alu instid0(SALU_CYCLE_1)
	s_xor_b32 s56, exec_lo, s0
	s_cbranch_execz .LBB27_21
; %bb.20:
	v_mov_b32_e32 v0, v100
	s_swap_pc_i64 s[30:31], s[50:51]
	s_delay_alu instid0(VALU_DEP_1)
	v_mov_b32_e32 v72, v0
                                        ; implicit-def: $vgpr1
.LBB27_21:
	s_and_not1_saveexec_b32 s26, s56
	s_cbranch_execz .LBB27_23
; %bb.22:
	v_mov_b32_e32 v0, v100
	s_swap_pc_i64 s[30:31], s[52:53]
	s_delay_alu instid0(VALU_DEP_1)
	v_mov_b32_e32 v72, v0
.LBB27_23:
	s_or_b32 exec_lo, exec_lo, s26
	v_and_b32_e32 v1, 0xffff0000, v84
	s_and_saveexec_b32 s0, s55
	s_delay_alu instid0(SALU_CYCLE_1)
	s_xor_b32 s56, exec_lo, s0
	s_cbranch_execz .LBB27_25
; %bb.24:
	v_mov_b32_e32 v0, v101
	s_swap_pc_i64 s[30:31], s[50:51]
	s_delay_alu instid0(VALU_DEP_1)
	v_mov_b32_e32 v73, v0
                                        ; implicit-def: $vgpr1
.LBB27_25:
	s_and_not1_saveexec_b32 s26, s56
	s_cbranch_execz .LBB27_27
; %bb.26:
	v_mov_b32_e32 v0, v101
	s_swap_pc_i64 s[30:31], s[52:53]
	s_delay_alu instid0(VALU_DEP_1)
	v_mov_b32_e32 v73, v0
.LBB27_27:
	s_or_b32 exec_lo, exec_lo, s26
	v_lshlrev_b32_e32 v1, 16, v85
	s_and_saveexec_b32 s0, s55
	s_delay_alu instid0(SALU_CYCLE_1)
	s_xor_b32 s56, exec_lo, s0
	s_cbranch_execz .LBB27_29
; %bb.28:
	v_mov_b32_e32 v0, v102
	s_swap_pc_i64 s[30:31], s[50:51]
	s_delay_alu instid0(VALU_DEP_1)
	v_mov_b32_e32 v74, v0
                                        ; implicit-def: $vgpr1
.LBB27_29:
	s_and_not1_saveexec_b32 s26, s56
	s_cbranch_execz .LBB27_31
; %bb.30:
	v_mov_b32_e32 v0, v102
	s_swap_pc_i64 s[30:31], s[52:53]
	s_delay_alu instid0(VALU_DEP_1)
	v_mov_b32_e32 v74, v0
.LBB27_31:
	s_or_b32 exec_lo, exec_lo, s26
	v_and_b32_e32 v1, 0xffff0000, v85
	s_and_saveexec_b32 s0, s55
	s_delay_alu instid0(SALU_CYCLE_1)
	s_xor_b32 s56, exec_lo, s0
	s_cbranch_execz .LBB27_33
; %bb.32:
	v_mov_b32_e32 v0, v103
	s_swap_pc_i64 s[30:31], s[50:51]
	s_delay_alu instid0(VALU_DEP_1)
	v_mov_b32_e32 v75, v0
                                        ; implicit-def: $vgpr103
                                        ; implicit-def: $vgpr1
.LBB27_33:
	s_and_not1_saveexec_b32 s26, s56
	s_cbranch_execz .LBB27_35
; %bb.34:
	v_mov_b32_e32 v0, v103
	s_swap_pc_i64 s[30:31], s[52:53]
	s_delay_alu instid0(VALU_DEP_1)
	v_mov_b32_e32 v75, v0
.LBB27_35:
	s_or_b32 exec_lo, exec_lo, s26
	s_wait_loadcnt 0x5
	v_lshlrev_b32_e32 v1, 16, v112
                                        ; implicit-def: $vgpr84
	s_and_saveexec_b32 s0, s55
	s_delay_alu instid0(SALU_CYCLE_1)
	s_xor_b32 s56, exec_lo, s0
	s_cbranch_execz .LBB27_37
; %bb.36:
	v_mov_b32_e32 v0, v86
	s_swap_pc_i64 s[30:31], s[50:51]
	s_delay_alu instid0(VALU_DEP_1)
	v_mov_b32_e32 v84, v0
                                        ; implicit-def: $vgpr1
.LBB27_37:
	s_and_not1_saveexec_b32 s26, s56
	s_cbranch_execz .LBB27_39
; %bb.38:
	v_mov_b32_e32 v0, v86
	s_swap_pc_i64 s[30:31], s[52:53]
	s_delay_alu instid0(VALU_DEP_1)
	v_mov_b32_e32 v84, v0
.LBB27_39:
	s_or_b32 exec_lo, exec_lo, s26
	v_and_b32_e32 v1, 0xffff0000, v112
	s_and_saveexec_b32 s0, s55
	s_delay_alu instid0(SALU_CYCLE_1)
	s_xor_b32 s56, exec_lo, s0
	s_cbranch_execz .LBB27_41
; %bb.40:
	v_mov_b32_e32 v0, v87
	s_swap_pc_i64 s[30:31], s[50:51]
	s_delay_alu instid0(VALU_DEP_1)
	v_mov_b32_e32 v85, v0
                                        ; implicit-def: $vgpr1
.LBB27_41:
	s_and_not1_saveexec_b32 s26, s56
	s_cbranch_execz .LBB27_43
; %bb.42:
	v_mov_b32_e32 v0, v87
	s_swap_pc_i64 s[30:31], s[52:53]
	s_delay_alu instid0(VALU_DEP_1)
	v_mov_b32_e32 v85, v0
.LBB27_43:
	s_or_b32 exec_lo, exec_lo, s26
	v_lshlrev_b32_e32 v1, 16, v113
	s_and_saveexec_b32 s0, s55
	s_delay_alu instid0(SALU_CYCLE_1)
	s_xor_b32 s56, exec_lo, s0
	s_cbranch_execz .LBB27_45
; %bb.44:
	v_mov_b32_e32 v0, v88
	s_swap_pc_i64 s[30:31], s[50:51]
	s_delay_alu instid0(VALU_DEP_1)
	v_mov_b32_e32 v86, v0
                                        ; implicit-def: $vgpr1
.LBB27_45:
	s_and_not1_saveexec_b32 s26, s56
	s_cbranch_execz .LBB27_47
; %bb.46:
	v_mov_b32_e32 v0, v88
	s_swap_pc_i64 s[30:31], s[52:53]
	s_delay_alu instid0(VALU_DEP_1)
	v_mov_b32_e32 v86, v0
.LBB27_47:
	s_or_b32 exec_lo, exec_lo, s26
	v_and_b32_e32 v1, 0xffff0000, v113
	s_and_saveexec_b32 s0, s55
	s_delay_alu instid0(SALU_CYCLE_1)
	s_xor_b32 s56, exec_lo, s0
	s_cbranch_execz .LBB27_49
; %bb.48:
	v_mov_b32_e32 v0, v89
	s_swap_pc_i64 s[30:31], s[50:51]
	s_delay_alu instid0(VALU_DEP_1)
	v_mov_b32_e32 v87, v0
                                        ; implicit-def: $vgpr89
                                        ; implicit-def: $vgpr1
.LBB27_49:
	s_and_not1_saveexec_b32 s26, s56
	s_cbranch_execz .LBB27_51
; %bb.50:
	v_mov_b32_e32 v0, v89
	s_swap_pc_i64 s[30:31], s[52:53]
	s_delay_alu instid0(VALU_DEP_1)
	v_mov_b32_e32 v87, v0
.LBB27_51:
	s_or_b32 exec_lo, exec_lo, s26
	s_wait_loadcnt 0x4
	v_lshlrev_b32_e32 v1, 16, v90
                                        ; implicit-def: $vgpr88
	s_and_saveexec_b32 s0, s55
	s_delay_alu instid0(SALU_CYCLE_1)
	s_xor_b32 s56, exec_lo, s0
	s_cbranch_execz .LBB27_53
; %bb.52:
	v_mov_b32_e32 v0, v96
	s_swap_pc_i64 s[30:31], s[50:51]
	s_delay_alu instid0(VALU_DEP_1)
	v_mov_b32_e32 v88, v0
                                        ; implicit-def: $vgpr1
.LBB27_53:
	s_and_not1_saveexec_b32 s26, s56
	s_cbranch_execz .LBB27_55
; %bb.54:
	v_mov_b32_e32 v0, v96
	s_swap_pc_i64 s[30:31], s[52:53]
	s_delay_alu instid0(VALU_DEP_1)
	v_mov_b32_e32 v88, v0
.LBB27_55:
	s_or_b32 exec_lo, exec_lo, s26
	v_and_b32_e32 v1, 0xffff0000, v90
	s_and_saveexec_b32 s0, s55
	s_delay_alu instid0(SALU_CYCLE_1)
	s_xor_b32 s56, exec_lo, s0
	s_cbranch_execz .LBB27_57
; %bb.56:
	v_mov_b32_e32 v0, v97
	s_swap_pc_i64 s[30:31], s[50:51]
	s_delay_alu instid0(VALU_DEP_1)
	v_mov_b32_e32 v89, v0
                                        ; implicit-def: $vgpr1
.LBB27_57:
	s_and_not1_saveexec_b32 s26, s56
	s_cbranch_execz .LBB27_59
; %bb.58:
	v_mov_b32_e32 v0, v97
	s_swap_pc_i64 s[30:31], s[52:53]
	s_delay_alu instid0(VALU_DEP_1)
	v_mov_b32_e32 v89, v0
.LBB27_59:
	s_or_b32 exec_lo, exec_lo, s26
	v_lshlrev_b32_e32 v1, 16, v91
	s_and_saveexec_b32 s0, s55
	s_delay_alu instid0(SALU_CYCLE_1)
	s_xor_b32 s56, exec_lo, s0
	s_cbranch_execz .LBB27_61
; %bb.60:
	v_mov_b32_e32 v0, v98
	s_swap_pc_i64 s[30:31], s[50:51]
	s_delay_alu instid0(VALU_DEP_1)
	v_mov_b32_e32 v90, v0
                                        ; implicit-def: $vgpr1
.LBB27_61:
	s_and_not1_saveexec_b32 s26, s56
	s_cbranch_execz .LBB27_63
; %bb.62:
	v_mov_b32_e32 v0, v98
	s_swap_pc_i64 s[30:31], s[52:53]
	s_delay_alu instid0(VALU_DEP_1)
	v_mov_b32_e32 v90, v0
.LBB27_63:
	s_or_b32 exec_lo, exec_lo, s26
	v_and_b32_e32 v1, 0xffff0000, v91
	s_and_saveexec_b32 s0, s55
	s_delay_alu instid0(SALU_CYCLE_1)
	s_xor_b32 s56, exec_lo, s0
	s_cbranch_execz .LBB27_65
; %bb.64:
	v_mov_b32_e32 v0, v99
	s_swap_pc_i64 s[30:31], s[50:51]
	s_delay_alu instid0(VALU_DEP_1)
	v_mov_b32_e32 v91, v0
                                        ; implicit-def: $vgpr99
                                        ; implicit-def: $vgpr1
.LBB27_65:
	s_and_not1_saveexec_b32 s26, s56
	s_cbranch_execz .LBB27_67
; %bb.66:
	v_mov_b32_e32 v0, v99
	s_swap_pc_i64 s[30:31], s[52:53]
	s_delay_alu instid0(VALU_DEP_1)
	v_mov_b32_e32 v91, v0
.LBB27_67:
	s_or_b32 exec_lo, exec_lo, s26
	s_wait_loadcnt 0x3
	v_lshlrev_b32_e32 v1, 16, v110
                                        ; implicit-def: $vgpr96
	s_and_saveexec_b32 s0, s55
	s_delay_alu instid0(SALU_CYCLE_1)
	s_xor_b32 s56, exec_lo, s0
	s_cbranch_execz .LBB27_69
; %bb.68:
	v_mov_b32_e32 v0, v92
	s_swap_pc_i64 s[30:31], s[50:51]
	s_delay_alu instid0(VALU_DEP_1)
	v_mov_b32_e32 v96, v0
                                        ; implicit-def: $vgpr1
.LBB27_69:
	s_and_not1_saveexec_b32 s26, s56
	s_cbranch_execz .LBB27_71
; %bb.70:
	v_mov_b32_e32 v0, v92
	s_swap_pc_i64 s[30:31], s[52:53]
	s_delay_alu instid0(VALU_DEP_1)
	v_mov_b32_e32 v96, v0
.LBB27_71:
	s_or_b32 exec_lo, exec_lo, s26
	v_and_b32_e32 v1, 0xffff0000, v110
	s_and_saveexec_b32 s0, s55
	s_delay_alu instid0(SALU_CYCLE_1)
	s_xor_b32 s56, exec_lo, s0
	s_cbranch_execz .LBB27_73
; %bb.72:
	v_mov_b32_e32 v0, v93
	s_swap_pc_i64 s[30:31], s[50:51]
	s_delay_alu instid0(VALU_DEP_1)
	v_mov_b32_e32 v97, v0
                                        ; implicit-def: $vgpr1
.LBB27_73:
	s_and_not1_saveexec_b32 s26, s56
	s_cbranch_execz .LBB27_75
; %bb.74:
	v_mov_b32_e32 v0, v93
	s_swap_pc_i64 s[30:31], s[52:53]
	s_delay_alu instid0(VALU_DEP_1)
	v_mov_b32_e32 v97, v0
.LBB27_75:
	s_or_b32 exec_lo, exec_lo, s26
	v_lshlrev_b32_e32 v1, 16, v111
	s_and_saveexec_b32 s0, s55
	s_delay_alu instid0(SALU_CYCLE_1)
	s_xor_b32 s56, exec_lo, s0
	s_cbranch_execz .LBB27_77
; %bb.76:
	v_mov_b32_e32 v0, v94
	s_swap_pc_i64 s[30:31], s[50:51]
	s_delay_alu instid0(VALU_DEP_1)
	v_mov_b32_e32 v98, v0
                                        ; implicit-def: $vgpr1
.LBB27_77:
	s_and_not1_saveexec_b32 s26, s56
	s_cbranch_execz .LBB27_79
; %bb.78:
	v_mov_b32_e32 v0, v94
	s_swap_pc_i64 s[30:31], s[52:53]
	s_delay_alu instid0(VALU_DEP_1)
	v_mov_b32_e32 v98, v0
.LBB27_79:
	s_or_b32 exec_lo, exec_lo, s26
	v_and_b32_e32 v1, 0xffff0000, v111
	s_and_saveexec_b32 s0, s55
	s_delay_alu instid0(SALU_CYCLE_1)
	s_xor_b32 s56, exec_lo, s0
	s_cbranch_execz .LBB27_81
; %bb.80:
	v_mov_b32_e32 v0, v95
	s_swap_pc_i64 s[30:31], s[50:51]
	s_delay_alu instid0(VALU_DEP_1)
	v_mov_b32_e32 v99, v0
                                        ; implicit-def: $vgpr95
                                        ; implicit-def: $vgpr1
.LBB27_81:
	s_and_not1_saveexec_b32 s26, s56
	s_cbranch_execz .LBB27_83
; %bb.82:
	v_mov_b32_e32 v0, v95
	s_swap_pc_i64 s[30:31], s[52:53]
	s_delay_alu instid0(VALU_DEP_1)
	v_mov_b32_e32 v99, v0
.LBB27_83:
	s_or_b32 exec_lo, exec_lo, s26
	s_wait_loadcnt 0x2
	v_lshlrev_b32_e32 v1, 16, v108
                                        ; implicit-def: $vgpr92
	s_and_saveexec_b32 s0, s55
	s_delay_alu instid0(SALU_CYCLE_1)
	s_xor_b32 s56, exec_lo, s0
	s_cbranch_execz .LBB27_85
; %bb.84:
	v_mov_b32_e32 v0, v76
	s_swap_pc_i64 s[30:31], s[50:51]
	s_delay_alu instid0(VALU_DEP_1)
	v_mov_b32_e32 v92, v0
                                        ; implicit-def: $vgpr1
.LBB27_85:
	s_and_not1_saveexec_b32 s26, s56
	s_cbranch_execz .LBB27_87
; %bb.86:
	v_mov_b32_e32 v0, v76
	s_swap_pc_i64 s[30:31], s[52:53]
	s_delay_alu instid0(VALU_DEP_1)
	v_mov_b32_e32 v92, v0
.LBB27_87:
	s_or_b32 exec_lo, exec_lo, s26
	v_and_b32_e32 v1, 0xffff0000, v108
	s_and_saveexec_b32 s0, s55
	s_delay_alu instid0(SALU_CYCLE_1)
	s_xor_b32 s56, exec_lo, s0
	s_cbranch_execz .LBB27_89
; %bb.88:
	v_mov_b32_e32 v0, v77
	s_swap_pc_i64 s[30:31], s[50:51]
	s_delay_alu instid0(VALU_DEP_1)
	v_mov_b32_e32 v93, v0
                                        ; implicit-def: $vgpr1
.LBB27_89:
	s_and_not1_saveexec_b32 s26, s56
	s_cbranch_execz .LBB27_91
; %bb.90:
	v_mov_b32_e32 v0, v77
	s_swap_pc_i64 s[30:31], s[52:53]
	s_delay_alu instid0(VALU_DEP_1)
	v_mov_b32_e32 v93, v0
.LBB27_91:
	s_or_b32 exec_lo, exec_lo, s26
	v_lshlrev_b32_e32 v1, 16, v109
	s_and_saveexec_b32 s0, s55
	s_delay_alu instid0(SALU_CYCLE_1)
	s_xor_b32 s56, exec_lo, s0
	s_cbranch_execz .LBB27_93
; %bb.92:
	v_mov_b32_e32 v0, v78
	s_swap_pc_i64 s[30:31], s[50:51]
	s_delay_alu instid0(VALU_DEP_1)
	v_mov_b32_e32 v94, v0
                                        ; implicit-def: $vgpr1
.LBB27_93:
	s_and_not1_saveexec_b32 s26, s56
	s_cbranch_execz .LBB27_95
; %bb.94:
	v_mov_b32_e32 v0, v78
	s_swap_pc_i64 s[30:31], s[52:53]
	s_delay_alu instid0(VALU_DEP_1)
	v_mov_b32_e32 v94, v0
.LBB27_95:
	s_or_b32 exec_lo, exec_lo, s26
	v_and_b32_e32 v1, 0xffff0000, v109
	s_and_saveexec_b32 s0, s55
	s_delay_alu instid0(SALU_CYCLE_1)
	s_xor_b32 s56, exec_lo, s0
	s_cbranch_execz .LBB27_97
; %bb.96:
	v_mov_b32_e32 v0, v79
	s_swap_pc_i64 s[30:31], s[50:51]
	s_delay_alu instid0(VALU_DEP_1)
	v_mov_b32_e32 v95, v0
                                        ; implicit-def: $vgpr79
                                        ; implicit-def: $vgpr1
.LBB27_97:
	s_and_not1_saveexec_b32 s26, s56
	s_cbranch_execz .LBB27_99
; %bb.98:
	v_mov_b32_e32 v0, v79
	s_swap_pc_i64 s[30:31], s[52:53]
	s_delay_alu instid0(VALU_DEP_1)
	v_mov_b32_e32 v95, v0
.LBB27_99:
	s_or_b32 exec_lo, exec_lo, s26
	s_wait_loadcnt 0x1
	v_lshlrev_b32_e32 v1, 16, v106
                                        ; implicit-def: $vgpr76
	s_and_saveexec_b32 s0, s55
	s_delay_alu instid0(SALU_CYCLE_1)
	s_xor_b32 s56, exec_lo, s0
	s_cbranch_execz .LBB27_101
; %bb.100:
	v_mov_b32_e32 v0, v60
	s_swap_pc_i64 s[30:31], s[50:51]
	s_delay_alu instid0(VALU_DEP_1)
	v_mov_b32_e32 v76, v0
                                        ; implicit-def: $vgpr1
.LBB27_101:
	s_and_not1_saveexec_b32 s26, s56
	s_cbranch_execz .LBB27_103
; %bb.102:
	v_mov_b32_e32 v0, v60
	s_swap_pc_i64 s[30:31], s[52:53]
	s_delay_alu instid0(VALU_DEP_1)
	v_mov_b32_e32 v76, v0
.LBB27_103:
	s_or_b32 exec_lo, exec_lo, s26
	v_and_b32_e32 v1, 0xffff0000, v106
	s_and_saveexec_b32 s0, s55
	s_delay_alu instid0(SALU_CYCLE_1)
	s_xor_b32 s56, exec_lo, s0
	s_cbranch_execz .LBB27_105
; %bb.104:
	v_mov_b32_e32 v0, v61
	s_swap_pc_i64 s[30:31], s[50:51]
	s_delay_alu instid0(VALU_DEP_1)
	v_mov_b32_e32 v77, v0
                                        ; implicit-def: $vgpr1
.LBB27_105:
	s_and_not1_saveexec_b32 s26, s56
	s_cbranch_execz .LBB27_107
; %bb.106:
	v_mov_b32_e32 v0, v61
	s_swap_pc_i64 s[30:31], s[52:53]
	s_delay_alu instid0(VALU_DEP_1)
	v_mov_b32_e32 v77, v0
.LBB27_107:
	s_or_b32 exec_lo, exec_lo, s26
	v_lshlrev_b32_e32 v1, 16, v107
	s_and_saveexec_b32 s0, s55
	s_delay_alu instid0(SALU_CYCLE_1)
	s_xor_b32 s56, exec_lo, s0
	s_cbranch_execz .LBB27_109
; %bb.108:
	v_mov_b32_e32 v0, v62
	s_swap_pc_i64 s[30:31], s[50:51]
	s_delay_alu instid0(VALU_DEP_1)
	v_mov_b32_e32 v78, v0
                                        ; implicit-def: $vgpr1
.LBB27_109:
	s_and_not1_saveexec_b32 s26, s56
	s_cbranch_execz .LBB27_111
; %bb.110:
	v_mov_b32_e32 v0, v62
	s_swap_pc_i64 s[30:31], s[52:53]
	s_delay_alu instid0(VALU_DEP_1)
	v_mov_b32_e32 v78, v0
.LBB27_111:
	s_or_b32 exec_lo, exec_lo, s26
	v_and_b32_e32 v1, 0xffff0000, v107
	s_and_saveexec_b32 s0, s55
	s_delay_alu instid0(SALU_CYCLE_1)
	s_xor_b32 s56, exec_lo, s0
	s_cbranch_execz .LBB27_113
; %bb.112:
	v_mov_b32_e32 v0, v63
	s_swap_pc_i64 s[30:31], s[50:51]
	s_delay_alu instid0(VALU_DEP_1)
	v_mov_b32_e32 v79, v0
                                        ; implicit-def: $vgpr63
                                        ; implicit-def: $vgpr1
.LBB27_113:
	s_and_not1_saveexec_b32 s26, s56
	s_cbranch_execz .LBB27_115
; %bb.114:
	v_mov_b32_e32 v0, v63
	s_swap_pc_i64 s[30:31], s[52:53]
	s_delay_alu instid0(VALU_DEP_1)
	v_mov_b32_e32 v79, v0
.LBB27_115:
	s_or_b32 exec_lo, exec_lo, s26
	s_wait_loadcnt 0x0
	v_lshlrev_b32_e32 v1, 16, v104
                                        ; implicit-def: $vgpr60
	s_and_saveexec_b32 s0, s55
	s_delay_alu instid0(SALU_CYCLE_1)
	s_xor_b32 s56, exec_lo, s0
	s_cbranch_execz .LBB27_117
; %bb.116:
	v_mov_b32_e32 v0, v42
	s_swap_pc_i64 s[30:31], s[50:51]
	s_delay_alu instid0(VALU_DEP_1)
	v_mov_b32_e32 v60, v0
                                        ; implicit-def: $vgpr1
.LBB27_117:
	s_and_not1_saveexec_b32 s26, s56
	s_cbranch_execz .LBB27_119
; %bb.118:
	v_mov_b32_e32 v0, v42
	s_swap_pc_i64 s[30:31], s[52:53]
	s_delay_alu instid0(VALU_DEP_1)
	v_mov_b32_e32 v60, v0
.LBB27_119:
	s_or_b32 exec_lo, exec_lo, s26
	v_and_b32_e32 v1, 0xffff0000, v104
	s_and_saveexec_b32 s0, s55
	s_delay_alu instid0(SALU_CYCLE_1)
	s_xor_b32 s56, exec_lo, s0
	s_cbranch_execz .LBB27_121
; %bb.120:
	v_mov_b32_e32 v0, v43
	s_swap_pc_i64 s[30:31], s[50:51]
	s_delay_alu instid0(VALU_DEP_1)
	v_mov_b32_e32 v61, v0
                                        ; implicit-def: $vgpr1
.LBB27_121:
	s_and_not1_saveexec_b32 s26, s56
	s_cbranch_execz .LBB27_123
; %bb.122:
	v_mov_b32_e32 v0, v43
	s_swap_pc_i64 s[30:31], s[52:53]
	s_delay_alu instid0(VALU_DEP_1)
	v_mov_b32_e32 v61, v0
.LBB27_123:
	s_or_b32 exec_lo, exec_lo, s26
	v_lshlrev_b32_e32 v1, 16, v105
	s_and_saveexec_b32 s0, s55
	s_delay_alu instid0(SALU_CYCLE_1)
	s_xor_b32 s56, exec_lo, s0
	s_cbranch_execz .LBB27_125
; %bb.124:
	v_mov_b32_e32 v0, v44
	s_swap_pc_i64 s[30:31], s[50:51]
	s_delay_alu instid0(VALU_DEP_1)
	v_mov_b32_e32 v62, v0
                                        ; implicit-def: $vgpr1
.LBB27_125:
	s_and_not1_saveexec_b32 s26, s56
	s_cbranch_execz .LBB27_127
; %bb.126:
	v_mov_b32_e32 v0, v44
	s_swap_pc_i64 s[30:31], s[52:53]
	s_delay_alu instid0(VALU_DEP_1)
	v_mov_b32_e32 v62, v0
.LBB27_127:
	s_or_b32 exec_lo, exec_lo, s26
	v_and_b32_e32 v1, 0xffff0000, v105
	s_and_saveexec_b32 s0, s55
	s_delay_alu instid0(SALU_CYCLE_1)
	s_xor_b32 s55, exec_lo, s0
	s_cbranch_execz .LBB27_129
; %bb.128:
	v_mov_b32_e32 v0, v45
	s_swap_pc_i64 s[30:31], s[50:51]
	s_delay_alu instid0(VALU_DEP_1)
	v_mov_b32_e32 v63, v0
                                        ; implicit-def: $vgpr45
                                        ; implicit-def: $vgpr1
.LBB27_129:
	s_and_not1_saveexec_b32 s26, s55
	s_cbranch_execz .LBB27_131
; %bb.130:
	v_mov_b32_e32 v0, v45
	s_swap_pc_i64 s[30:31], s[52:53]
	s_delay_alu instid0(VALU_DEP_1)
	v_mov_b32_e32 v63, v0
.LBB27_131:
	s_or_b32 exec_lo, exec_lo, s26
	s_add_nc_u64 s[2:3], s[36:37], s[48:49]
	s_clause 0x7
	global_store_b128 v114, v[56:59], s[2:3] scale_offset
	global_store_b128 v114, v[72:75], s[2:3] offset:8192 scale_offset
	global_store_b128 v114, v[84:87], s[2:3] offset:16384 scale_offset
	;; [unrolled: 1-line block ×7, first 2 shown]
	s_branch .LBB27_2
.LBB27_132:
	s_clause 0x1
	s_load_b32 s6, s[34:35], 0x24
	s_load_b128 s[0:3], s[34:35], 0x28
	ds_load_u8 v0, v47
	v_dual_mov_b32 v31, v46 :: v_dual_mov_b32 v1, s36
	v_dual_mov_b32 v2, s37 :: v_dual_mov_b32 v3, s38
	;; [unrolled: 1-line block ×4, first 2 shown]
	s_add_nc_u64 s[8:9], s[34:35], 56
	s_get_pc_i64 s[4:5]
	s_add_nc_u64 s[4:5], s[4:5], _ZN2at6native25elementwise_kernel_helperILb1EN12_GLOBAL__N_110CalcIgammaIfEENS0_6memory8policies11unroll_baseILi512ESt5arrayIPcLm3EE23TrivialOffsetCalculatorILi2EjESB_ILi1EjENS5_12LoadWithCastILi2EEENS5_13StoreWithCastILi1EEELi32ELi1EEEEEvT0_T1_@rel64+4
	s_wait_kmcnt 0x0
	s_bfe_u32 s7, s6, 0x80008
	v_dual_mov_b32 v8, s6 :: v_dual_mov_b32 v10, s0
	v_dual_mov_b32 v11, s1 :: v_dual_mov_b32 v12, s2
	;; [unrolled: 1-line block ×3, first 2 shown]
	s_swap_pc_i64 s[30:31], s[4:5]
	s_endpgm
	.section	.rodata,"a",@progbits
	.p2align	6, 0x0
	.amdhsa_kernel _ZN2at6native39vectorized_templated_elementwise_kernelILi4EN12_GLOBAL__N_110CalcIgammaIfEESt5arrayIPcLm3EE23TrivialOffsetCalculatorILi2EjES8_ILi1EjENS0_6memory12LoadWithCastILi2EEENSB_13StoreWithCastILi1EEEfJfN3c108BFloat16EEEEviT0_T1_T2_T3_T4_T5_
		.amdhsa_group_segment_fixed_size 1024
		.amdhsa_private_segment_fixed_size 448
		.amdhsa_kernarg_size 312
		.amdhsa_user_sgpr_count 4
		.amdhsa_user_sgpr_dispatch_ptr 1
		.amdhsa_user_sgpr_queue_ptr 0
		.amdhsa_user_sgpr_kernarg_segment_ptr 1
		.amdhsa_user_sgpr_dispatch_id 0
		.amdhsa_user_sgpr_kernarg_preload_length 0
		.amdhsa_user_sgpr_kernarg_preload_offset 0
		.amdhsa_user_sgpr_private_segment_size 0
		.amdhsa_wavefront_size32 1
		.amdhsa_uses_dynamic_stack 0
		.amdhsa_enable_private_segment 1
		.amdhsa_system_sgpr_workgroup_id_x 1
		.amdhsa_system_sgpr_workgroup_id_y 0
		.amdhsa_system_sgpr_workgroup_id_z 0
		.amdhsa_system_sgpr_workgroup_info 0
		.amdhsa_system_vgpr_workitem_id 2
		.amdhsa_next_free_vgpr 214
		.amdhsa_next_free_sgpr 96
		.amdhsa_named_barrier_count 0
		.amdhsa_reserve_vcc 1
		.amdhsa_float_round_mode_32 0
		.amdhsa_float_round_mode_16_64 0
		.amdhsa_float_denorm_mode_32 3
		.amdhsa_float_denorm_mode_16_64 3
		.amdhsa_fp16_overflow 0
		.amdhsa_memory_ordered 1
		.amdhsa_forward_progress 1
		.amdhsa_inst_pref_size 23
		.amdhsa_round_robin_scheduling 0
		.amdhsa_exception_fp_ieee_invalid_op 0
		.amdhsa_exception_fp_denorm_src 0
		.amdhsa_exception_fp_ieee_div_zero 0
		.amdhsa_exception_fp_ieee_overflow 0
		.amdhsa_exception_fp_ieee_underflow 0
		.amdhsa_exception_fp_ieee_inexact 0
		.amdhsa_exception_int_div_zero 0
	.end_amdhsa_kernel
	.section	.text._ZN2at6native39vectorized_templated_elementwise_kernelILi4EN12_GLOBAL__N_110CalcIgammaIfEESt5arrayIPcLm3EE23TrivialOffsetCalculatorILi2EjES8_ILi1EjENS0_6memory12LoadWithCastILi2EEENSB_13StoreWithCastILi1EEEfJfN3c108BFloat16EEEEviT0_T1_T2_T3_T4_T5_,"axG",@progbits,_ZN2at6native39vectorized_templated_elementwise_kernelILi4EN12_GLOBAL__N_110CalcIgammaIfEESt5arrayIPcLm3EE23TrivialOffsetCalculatorILi2EjES8_ILi1EjENS0_6memory12LoadWithCastILi2EEENSB_13StoreWithCastILi1EEEfJfN3c108BFloat16EEEEviT0_T1_T2_T3_T4_T5_,comdat
.Lfunc_end27:
	.size	_ZN2at6native39vectorized_templated_elementwise_kernelILi4EN12_GLOBAL__N_110CalcIgammaIfEESt5arrayIPcLm3EE23TrivialOffsetCalculatorILi2EjES8_ILi1EjENS0_6memory12LoadWithCastILi2EEENSB_13StoreWithCastILi1EEEfJfN3c108BFloat16EEEEviT0_T1_T2_T3_T4_T5_, .Lfunc_end27-_ZN2at6native39vectorized_templated_elementwise_kernelILi4EN12_GLOBAL__N_110CalcIgammaIfEESt5arrayIPcLm3EE23TrivialOffsetCalculatorILi2EjES8_ILi1EjENS0_6memory12LoadWithCastILi2EEENSB_13StoreWithCastILi1EEEfJfN3c108BFloat16EEEEviT0_T1_T2_T3_T4_T5_
                                        ; -- End function
	.set _ZN2at6native39vectorized_templated_elementwise_kernelILi4EN12_GLOBAL__N_110CalcIgammaIfEESt5arrayIPcLm3EE23TrivialOffsetCalculatorILi2EjES8_ILi1EjENS0_6memory12LoadWithCastILi2EEENSB_13StoreWithCastILi1EEEfJfN3c108BFloat16EEEEviT0_T1_T2_T3_T4_T5_.num_vgpr, max(115, .L_ZN12_GLOBAL__N_111calc_igammaIfEET_S1_S1_.num_vgpr, .L_ZN12_GLOBAL__N_112calc_igammacIfEET_S1_S1_.num_vgpr, .L_ZN2at6native25elementwise_kernel_helperILb1EN12_GLOBAL__N_110CalcIgammaIfEENS0_6memory8policies11unroll_baseILi512ESt5arrayIPcLm3EE23TrivialOffsetCalculatorILi2EjESB_ILi1EjENS5_12LoadWithCastILi2EEENS5_13StoreWithCastILi1EEELi32ELi1EEEEEvT0_T1_.num_vgpr)
	.set _ZN2at6native39vectorized_templated_elementwise_kernelILi4EN12_GLOBAL__N_110CalcIgammaIfEESt5arrayIPcLm3EE23TrivialOffsetCalculatorILi2EjES8_ILi1EjENS0_6memory12LoadWithCastILi2EEENSB_13StoreWithCastILi1EEEfJfN3c108BFloat16EEEEviT0_T1_T2_T3_T4_T5_.num_agpr, max(0, .L_ZN12_GLOBAL__N_111calc_igammaIfEET_S1_S1_.num_agpr, .L_ZN12_GLOBAL__N_112calc_igammacIfEET_S1_S1_.num_agpr, .L_ZN2at6native25elementwise_kernel_helperILb1EN12_GLOBAL__N_110CalcIgammaIfEENS0_6memory8policies11unroll_baseILi512ESt5arrayIPcLm3EE23TrivialOffsetCalculatorILi2EjESB_ILi1EjENS5_12LoadWithCastILi2EEENS5_13StoreWithCastILi1EEELi32ELi1EEEEEvT0_T1_.num_agpr)
	.set _ZN2at6native39vectorized_templated_elementwise_kernelILi4EN12_GLOBAL__N_110CalcIgammaIfEESt5arrayIPcLm3EE23TrivialOffsetCalculatorILi2EjES8_ILi1EjENS0_6memory12LoadWithCastILi2EEENSB_13StoreWithCastILi1EEEfJfN3c108BFloat16EEEEviT0_T1_T2_T3_T4_T5_.numbered_sgpr, max(57, .L_ZN12_GLOBAL__N_111calc_igammaIfEET_S1_S1_.numbered_sgpr, .L_ZN12_GLOBAL__N_112calc_igammacIfEET_S1_S1_.numbered_sgpr, .L_ZN2at6native25elementwise_kernel_helperILb1EN12_GLOBAL__N_110CalcIgammaIfEENS0_6memory8policies11unroll_baseILi512ESt5arrayIPcLm3EE23TrivialOffsetCalculatorILi2EjESB_ILi1EjENS5_12LoadWithCastILi2EEENS5_13StoreWithCastILi1EEELi32ELi1EEEEEvT0_T1_.numbered_sgpr)
	.set _ZN2at6native39vectorized_templated_elementwise_kernelILi4EN12_GLOBAL__N_110CalcIgammaIfEESt5arrayIPcLm3EE23TrivialOffsetCalculatorILi2EjES8_ILi1EjENS0_6memory12LoadWithCastILi2EEENSB_13StoreWithCastILi1EEEfJfN3c108BFloat16EEEEviT0_T1_T2_T3_T4_T5_.num_named_barrier, max(0, .L_ZN12_GLOBAL__N_111calc_igammaIfEET_S1_S1_.num_named_barrier, .L_ZN12_GLOBAL__N_112calc_igammacIfEET_S1_S1_.num_named_barrier, .L_ZN2at6native25elementwise_kernel_helperILb1EN12_GLOBAL__N_110CalcIgammaIfEENS0_6memory8policies11unroll_baseILi512ESt5arrayIPcLm3EE23TrivialOffsetCalculatorILi2EjESB_ILi1EjENS5_12LoadWithCastILi2EEENS5_13StoreWithCastILi1EEELi32ELi1EEEEEvT0_T1_.num_named_barrier)
	.set _ZN2at6native39vectorized_templated_elementwise_kernelILi4EN12_GLOBAL__N_110CalcIgammaIfEESt5arrayIPcLm3EE23TrivialOffsetCalculatorILi2EjES8_ILi1EjENS0_6memory12LoadWithCastILi2EEENSB_13StoreWithCastILi1EEEfJfN3c108BFloat16EEEEviT0_T1_T2_T3_T4_T5_.private_seg_size, 0+max(.L_ZN12_GLOBAL__N_111calc_igammaIfEET_S1_S1_.private_seg_size, .L_ZN12_GLOBAL__N_112calc_igammacIfEET_S1_S1_.private_seg_size, .L_ZN2at6native25elementwise_kernel_helperILb1EN12_GLOBAL__N_110CalcIgammaIfEENS0_6memory8policies11unroll_baseILi512ESt5arrayIPcLm3EE23TrivialOffsetCalculatorILi2EjESB_ILi1EjENS5_12LoadWithCastILi2EEENS5_13StoreWithCastILi1EEELi32ELi1EEEEEvT0_T1_.private_seg_size)
	.set _ZN2at6native39vectorized_templated_elementwise_kernelILi4EN12_GLOBAL__N_110CalcIgammaIfEESt5arrayIPcLm3EE23TrivialOffsetCalculatorILi2EjES8_ILi1EjENS0_6memory12LoadWithCastILi2EEENSB_13StoreWithCastILi1EEEfJfN3c108BFloat16EEEEviT0_T1_T2_T3_T4_T5_.uses_vcc, or(1, .L_ZN12_GLOBAL__N_111calc_igammaIfEET_S1_S1_.uses_vcc, .L_ZN12_GLOBAL__N_112calc_igammacIfEET_S1_S1_.uses_vcc, .L_ZN2at6native25elementwise_kernel_helperILb1EN12_GLOBAL__N_110CalcIgammaIfEENS0_6memory8policies11unroll_baseILi512ESt5arrayIPcLm3EE23TrivialOffsetCalculatorILi2EjESB_ILi1EjENS5_12LoadWithCastILi2EEENS5_13StoreWithCastILi1EEELi32ELi1EEEEEvT0_T1_.uses_vcc)
	.set _ZN2at6native39vectorized_templated_elementwise_kernelILi4EN12_GLOBAL__N_110CalcIgammaIfEESt5arrayIPcLm3EE23TrivialOffsetCalculatorILi2EjES8_ILi1EjENS0_6memory12LoadWithCastILi2EEENSB_13StoreWithCastILi1EEEfJfN3c108BFloat16EEEEviT0_T1_T2_T3_T4_T5_.uses_flat_scratch, or(0, .L_ZN12_GLOBAL__N_111calc_igammaIfEET_S1_S1_.uses_flat_scratch, .L_ZN12_GLOBAL__N_112calc_igammacIfEET_S1_S1_.uses_flat_scratch, .L_ZN2at6native25elementwise_kernel_helperILb1EN12_GLOBAL__N_110CalcIgammaIfEENS0_6memory8policies11unroll_baseILi512ESt5arrayIPcLm3EE23TrivialOffsetCalculatorILi2EjESB_ILi1EjENS5_12LoadWithCastILi2EEENS5_13StoreWithCastILi1EEELi32ELi1EEEEEvT0_T1_.uses_flat_scratch)
	.set _ZN2at6native39vectorized_templated_elementwise_kernelILi4EN12_GLOBAL__N_110CalcIgammaIfEESt5arrayIPcLm3EE23TrivialOffsetCalculatorILi2EjES8_ILi1EjENS0_6memory12LoadWithCastILi2EEENSB_13StoreWithCastILi1EEEfJfN3c108BFloat16EEEEviT0_T1_T2_T3_T4_T5_.has_dyn_sized_stack, or(0, .L_ZN12_GLOBAL__N_111calc_igammaIfEET_S1_S1_.has_dyn_sized_stack, .L_ZN12_GLOBAL__N_112calc_igammacIfEET_S1_S1_.has_dyn_sized_stack, .L_ZN2at6native25elementwise_kernel_helperILb1EN12_GLOBAL__N_110CalcIgammaIfEENS0_6memory8policies11unroll_baseILi512ESt5arrayIPcLm3EE23TrivialOffsetCalculatorILi2EjESB_ILi1EjENS5_12LoadWithCastILi2EEENS5_13StoreWithCastILi1EEELi32ELi1EEEEEvT0_T1_.has_dyn_sized_stack)
	.set _ZN2at6native39vectorized_templated_elementwise_kernelILi4EN12_GLOBAL__N_110CalcIgammaIfEESt5arrayIPcLm3EE23TrivialOffsetCalculatorILi2EjES8_ILi1EjENS0_6memory12LoadWithCastILi2EEENSB_13StoreWithCastILi1EEEfJfN3c108BFloat16EEEEviT0_T1_T2_T3_T4_T5_.has_recursion, or(0, .L_ZN12_GLOBAL__N_111calc_igammaIfEET_S1_S1_.has_recursion, .L_ZN12_GLOBAL__N_112calc_igammacIfEET_S1_S1_.has_recursion, .L_ZN2at6native25elementwise_kernel_helperILb1EN12_GLOBAL__N_110CalcIgammaIfEENS0_6memory8policies11unroll_baseILi512ESt5arrayIPcLm3EE23TrivialOffsetCalculatorILi2EjESB_ILi1EjENS5_12LoadWithCastILi2EEENS5_13StoreWithCastILi1EEELi32ELi1EEEEEvT0_T1_.has_recursion)
	.set _ZN2at6native39vectorized_templated_elementwise_kernelILi4EN12_GLOBAL__N_110CalcIgammaIfEESt5arrayIPcLm3EE23TrivialOffsetCalculatorILi2EjES8_ILi1EjENS0_6memory12LoadWithCastILi2EEENSB_13StoreWithCastILi1EEEfJfN3c108BFloat16EEEEviT0_T1_T2_T3_T4_T5_.has_indirect_call, or(0, .L_ZN12_GLOBAL__N_111calc_igammaIfEET_S1_S1_.has_indirect_call, .L_ZN12_GLOBAL__N_112calc_igammacIfEET_S1_S1_.has_indirect_call, .L_ZN2at6native25elementwise_kernel_helperILb1EN12_GLOBAL__N_110CalcIgammaIfEENS0_6memory8policies11unroll_baseILi512ESt5arrayIPcLm3EE23TrivialOffsetCalculatorILi2EjESB_ILi1EjENS5_12LoadWithCastILi2EEENS5_13StoreWithCastILi1EEELi32ELi1EEEEEvT0_T1_.has_indirect_call)
	.section	.AMDGPU.csdata,"",@progbits
; Kernel info:
; codeLenInByte = 2904
; TotalNumSgprs: 98
; NumVgprs: 214
; ScratchSize: 448
; MemoryBound: 0
; FloatMode: 240
; IeeeMode: 1
; LDSByteSize: 1024 bytes/workgroup (compile time only)
; SGPRBlocks: 0
; VGPRBlocks: 13
; NumSGPRsForWavesPerEU: 98
; NumVGPRsForWavesPerEU: 214
; NamedBarCnt: 0
; Occupancy: 4
; WaveLimiterHint : 0
; COMPUTE_PGM_RSRC2:SCRATCH_EN: 1
; COMPUTE_PGM_RSRC2:USER_SGPR: 4
; COMPUTE_PGM_RSRC2:TRAP_HANDLER: 0
; COMPUTE_PGM_RSRC2:TGID_X_EN: 1
; COMPUTE_PGM_RSRC2:TGID_Y_EN: 0
; COMPUTE_PGM_RSRC2:TGID_Z_EN: 0
; COMPUTE_PGM_RSRC2:TIDIG_COMP_CNT: 2
	.section	.text._ZN2at6native39vectorized_templated_elementwise_kernelILi2EN12_GLOBAL__N_110CalcIgammaIfEESt5arrayIPcLm3EE23TrivialOffsetCalculatorILi2EjES8_ILi1EjENS0_6memory12LoadWithCastILi2EEENSB_13StoreWithCastILi1EEEfJfN3c108BFloat16EEEEviT0_T1_T2_T3_T4_T5_,"axG",@progbits,_ZN2at6native39vectorized_templated_elementwise_kernelILi2EN12_GLOBAL__N_110CalcIgammaIfEESt5arrayIPcLm3EE23TrivialOffsetCalculatorILi2EjES8_ILi1EjENS0_6memory12LoadWithCastILi2EEENSB_13StoreWithCastILi1EEEfJfN3c108BFloat16EEEEviT0_T1_T2_T3_T4_T5_,comdat
	.globl	_ZN2at6native39vectorized_templated_elementwise_kernelILi2EN12_GLOBAL__N_110CalcIgammaIfEESt5arrayIPcLm3EE23TrivialOffsetCalculatorILi2EjES8_ILi1EjENS0_6memory12LoadWithCastILi2EEENSB_13StoreWithCastILi1EEEfJfN3c108BFloat16EEEEviT0_T1_T2_T3_T4_T5_ ; -- Begin function _ZN2at6native39vectorized_templated_elementwise_kernelILi2EN12_GLOBAL__N_110CalcIgammaIfEESt5arrayIPcLm3EE23TrivialOffsetCalculatorILi2EjES8_ILi1EjENS0_6memory12LoadWithCastILi2EEENSB_13StoreWithCastILi1EEEfJfN3c108BFloat16EEEEviT0_T1_T2_T3_T4_T5_
	.p2align	8
	.type	_ZN2at6native39vectorized_templated_elementwise_kernelILi2EN12_GLOBAL__N_110CalcIgammaIfEESt5arrayIPcLm3EE23TrivialOffsetCalculatorILi2EjES8_ILi1EjENS0_6memory12LoadWithCastILi2EEENSB_13StoreWithCastILi1EEEfJfN3c108BFloat16EEEEviT0_T1_T2_T3_T4_T5_,@function
_ZN2at6native39vectorized_templated_elementwise_kernelILi2EN12_GLOBAL__N_110CalcIgammaIfEESt5arrayIPcLm3EE23TrivialOffsetCalculatorILi2EjES8_ILi1EjENS0_6memory12LoadWithCastILi2EEENSB_13StoreWithCastILi1EEEfJfN3c108BFloat16EEEEviT0_T1_T2_T3_T4_T5_: ; @_ZN2at6native39vectorized_templated_elementwise_kernelILi2EN12_GLOBAL__N_110CalcIgammaIfEESt5arrayIPcLm3EE23TrivialOffsetCalculatorILi2EjES8_ILi1EjENS0_6memory12LoadWithCastILi2EEENSB_13StoreWithCastILi1EEEfJfN3c108BFloat16EEEEviT0_T1_T2_T3_T4_T5_
; %bb.0:
	s_mov_b64 s[34:35], s[2:3]
	s_load_b64 s[2:3], s[0:1], 0x4
	s_clause 0x2
	s_load_b64 s[4:5], s[34:35], 0x0
	s_load_b64 s[46:47], s[34:35], 0x18
	s_load_b32 s6, s[34:35], 0x38
	s_wait_xcnt 0x0
	s_bfe_u32 s1, ttmp6, 0x4000c
	s_and_b32 s0, ttmp6, 15
	s_add_co_i32 s1, s1, 1
	s_load_b128 s[36:39], s[34:35], 0x8
	s_mul_i32 s1, ttmp9, s1
	s_getreg_b32 s7, hwreg(HW_REG_IB_STS2, 6, 4)
	s_add_co_i32 s0, s0, s1
	s_mov_b32 s32, 0
	s_wait_kmcnt 0x0
	s_lshr_b32 s2, s2, 16
	s_and_b32 s1, s5, 1
	v_mov_b32_e32 v96, v0
	s_mul_i32 s2, s2, s3
	s_cmp_eq_u32 s7, 0
	s_cselect_b32 s0, ttmp9, s0
	s_delay_alu instid0(VALU_DEP_1) | instskip(SKIP_3) | instid1(VALU_DEP_3)
	v_and_b32_e32 v98, 0x3ff, v96
	v_bfe_u32 v0, v96, 10, 10
	v_bfe_u32 v2, v96, 20, 10
	s_not_b32 s0, s0
	v_mul_lo_u32 v1, s2, v98
	s_delay_alu instid0(VALU_DEP_3) | instskip(SKIP_1) | instid1(SALU_CYCLE_1)
	v_mul_u32_u24_e32 v0, s3, v0
	s_add_co_i32 s6, s6, s0
	s_lshl_b32 s0, s6, 14
	s_delay_alu instid0(SALU_CYCLE_1) | instskip(NEXT) | instid1(SALU_CYCLE_1)
	s_sub_co_i32 s54, s4, s0
	s_cmp_gt_i32 s54, 0x3fff
	s_delay_alu instid0(VALU_DEP_2)
	v_add3_u32 v97, v1, v0, v2
	v_mov_b32_e32 v0, s1
	s_mov_b32 s1, -1
	ds_store_b8 v97, v0
	s_cbranch_scc1 .LBB28_3
; %bb.1:
	s_and_b32 vcc_lo, exec_lo, s1
	s_cbranch_vccnz .LBB28_132
.LBB28_2:
	s_endpgm
.LBB28_3:
	s_ashr_i32 s1, s0, 31
	s_get_pc_i64 s[50:51]
	s_add_nc_u64 s[50:51], s[50:51], _ZN12_GLOBAL__N_111calc_igammaIfEET_S1_S1_@rel64+4
	s_lshl_b64 s[48:49], s[0:1], 2
	s_lshl_b64 s[0:1], s[0:1], 1
	s_add_nc_u64 s[2:3], s[38:39], s[48:49]
	s_add_nc_u64 s[0:1], s[46:47], s[0:1]
	s_clause 0x1f
	global_load_b64 v[56:57], v98, s[2:3] scale_offset
	global_load_b64 v[60:61], v98, s[2:3] offset:4096 scale_offset
	global_load_b64 v[72:73], v98, s[2:3] offset:8192 scale_offset
	;; [unrolled: 1-line block ×15, first 2 shown]
	global_load_b32 v45, v98, s[0:1] scale_offset
	global_load_b32 v113, v98, s[0:1] offset:2048 scale_offset
	global_load_b32 v112, v98, s[0:1] offset:4096 scale_offset
	global_load_b32 v111, v98, s[0:1] offset:6144 scale_offset
	global_load_b32 v110, v98, s[0:1] offset:8192 scale_offset
	global_load_b32 v109, v98, s[0:1] offset:10240 scale_offset
	global_load_b32 v108, v98, s[0:1] offset:12288 scale_offset
	global_load_b32 v107, v98, s[0:1] offset:14336 scale_offset
	global_load_b32 v106, v98, s[0:1] offset:16384 scale_offset
	global_load_b32 v105, v98, s[0:1] offset:18432 scale_offset
	global_load_b32 v104, v98, s[0:1] offset:20480 scale_offset
	; meta instruction
	global_load_b32 v103, v98, s[0:1] offset:22528 scale_offset
	global_load_b32 v102, v98, s[0:1] offset:24576 scale_offset
	;; [unrolled: 1-line block ×5, first 2 shown]
	ds_load_u8 v0, v97
                                        ; implicit-def: $vgpr44
	s_wait_loadcnt_dscnt 0xf00
	v_dual_lshlrev_b32 v1, 16, v45 :: v_dual_bitop2_b32 v0, 1, v0 bitop3:0x40
	s_delay_alu instid0(VALU_DEP_1) | instskip(SKIP_4) | instid1(SALU_CYCLE_1)
	v_cmp_eq_u32_e32 vcc_lo, 1, v0
	ds_store_b8 v97, v0 offset:512
	s_xor_b32 s55, vcc_lo, -1
	s_wait_xcnt 0x0
	s_and_saveexec_b32 s0, s55
	s_xor_b32 s52, exec_lo, s0
	s_cbranch_execz .LBB28_5
; %bb.4:
	v_mov_b32_e32 v0, v56
	s_swap_pc_i64 s[30:31], s[50:51]
	s_delay_alu instid0(VALU_DEP_1)
	v_mov_b32_e32 v44, v0
                                        ; implicit-def: $vgpr1
.LBB28_5:
	s_or_saveexec_b32 s26, s52
	s_get_pc_i64 s[52:53]
	s_add_nc_u64 s[52:53], s[52:53], _ZN12_GLOBAL__N_112calc_igammacIfEET_S1_S1_@rel64+4
	s_xor_b32 exec_lo, exec_lo, s26
	s_cbranch_execz .LBB28_7
; %bb.6:
	v_mov_b32_e32 v0, v56
	s_swap_pc_i64 s[30:31], s[52:53]
	s_delay_alu instid0(VALU_DEP_1)
	v_mov_b32_e32 v44, v0
.LBB28_7:
	s_or_b32 exec_lo, exec_lo, s26
	v_and_b32_e32 v1, 0xffff0000, v45
	s_and_saveexec_b32 s0, s55
	s_delay_alu instid0(SALU_CYCLE_1)
	s_xor_b32 s56, exec_lo, s0
	s_cbranch_execz .LBB28_9
; %bb.8:
	v_mov_b32_e32 v0, v57
	s_swap_pc_i64 s[30:31], s[50:51]
	s_delay_alu instid0(VALU_DEP_1)
	v_mov_b32_e32 v45, v0
                                        ; implicit-def: $vgpr57
                                        ; implicit-def: $vgpr1
.LBB28_9:
	s_and_not1_saveexec_b32 s26, s56
	s_cbranch_execz .LBB28_11
; %bb.10:
	v_mov_b32_e32 v0, v57
	s_swap_pc_i64 s[30:31], s[52:53]
	s_delay_alu instid0(VALU_DEP_1)
	v_mov_b32_e32 v45, v0
.LBB28_11:
	s_or_b32 exec_lo, exec_lo, s26
	s_wait_loadcnt 0xe
	v_lshlrev_b32_e32 v1, 16, v113
                                        ; implicit-def: $vgpr56
	s_and_saveexec_b32 s0, s55
	s_delay_alu instid0(SALU_CYCLE_1)
	s_xor_b32 s56, exec_lo, s0
	s_cbranch_execz .LBB28_13
; %bb.12:
	v_mov_b32_e32 v0, v60
	s_swap_pc_i64 s[30:31], s[50:51]
	s_delay_alu instid0(VALU_DEP_1)
	v_mov_b32_e32 v56, v0
                                        ; implicit-def: $vgpr1
.LBB28_13:
	s_and_not1_saveexec_b32 s26, s56
	s_cbranch_execz .LBB28_15
; %bb.14:
	v_mov_b32_e32 v0, v60
	s_swap_pc_i64 s[30:31], s[52:53]
	s_delay_alu instid0(VALU_DEP_1)
	v_mov_b32_e32 v56, v0
.LBB28_15:
	s_or_b32 exec_lo, exec_lo, s26
	v_and_b32_e32 v1, 0xffff0000, v113
	s_and_saveexec_b32 s0, s55
	s_delay_alu instid0(SALU_CYCLE_1)
	s_xor_b32 s56, exec_lo, s0
	s_cbranch_execz .LBB28_17
; %bb.16:
	v_mov_b32_e32 v0, v61
	s_swap_pc_i64 s[30:31], s[50:51]
	s_delay_alu instid0(VALU_DEP_1)
	v_mov_b32_e32 v57, v0
                                        ; implicit-def: $vgpr61
                                        ; implicit-def: $vgpr1
.LBB28_17:
	s_and_not1_saveexec_b32 s26, s56
	s_cbranch_execz .LBB28_19
; %bb.18:
	v_mov_b32_e32 v0, v61
	s_swap_pc_i64 s[30:31], s[52:53]
	s_delay_alu instid0(VALU_DEP_1)
	v_mov_b32_e32 v57, v0
.LBB28_19:
	s_or_b32 exec_lo, exec_lo, s26
	s_wait_loadcnt 0xd
	v_lshlrev_b32_e32 v1, 16, v112
                                        ; implicit-def: $vgpr60
	s_and_saveexec_b32 s0, s55
	s_delay_alu instid0(SALU_CYCLE_1)
	s_xor_b32 s56, exec_lo, s0
	s_cbranch_execz .LBB28_21
; %bb.20:
	v_mov_b32_e32 v0, v72
	s_swap_pc_i64 s[30:31], s[50:51]
	s_delay_alu instid0(VALU_DEP_1)
	v_mov_b32_e32 v60, v0
                                        ; implicit-def: $vgpr1
.LBB28_21:
	s_and_not1_saveexec_b32 s26, s56
	s_cbranch_execz .LBB28_23
; %bb.22:
	v_mov_b32_e32 v0, v72
	s_swap_pc_i64 s[30:31], s[52:53]
	s_delay_alu instid0(VALU_DEP_1)
	v_mov_b32_e32 v60, v0
.LBB28_23:
	s_or_b32 exec_lo, exec_lo, s26
	v_and_b32_e32 v1, 0xffff0000, v112
	s_and_saveexec_b32 s0, s55
	s_delay_alu instid0(SALU_CYCLE_1)
	s_xor_b32 s56, exec_lo, s0
	s_cbranch_execz .LBB28_25
; %bb.24:
	v_mov_b32_e32 v0, v73
	s_swap_pc_i64 s[30:31], s[50:51]
	s_delay_alu instid0(VALU_DEP_1)
	v_mov_b32_e32 v61, v0
                                        ; implicit-def: $vgpr73
                                        ; implicit-def: $vgpr1
.LBB28_25:
	s_and_not1_saveexec_b32 s26, s56
	s_cbranch_execz .LBB28_27
; %bb.26:
	v_mov_b32_e32 v0, v73
	s_swap_pc_i64 s[30:31], s[52:53]
	s_delay_alu instid0(VALU_DEP_1)
	v_mov_b32_e32 v61, v0
.LBB28_27:
	s_or_b32 exec_lo, exec_lo, s26
	s_wait_loadcnt 0xc
	v_lshlrev_b32_e32 v1, 16, v111
                                        ; implicit-def: $vgpr72
	s_and_saveexec_b32 s0, s55
	s_delay_alu instid0(SALU_CYCLE_1)
	s_xor_b32 s56, exec_lo, s0
	s_cbranch_execz .LBB28_29
; %bb.28:
	v_mov_b32_e32 v0, v76
	s_swap_pc_i64 s[30:31], s[50:51]
	s_delay_alu instid0(VALU_DEP_1)
	v_mov_b32_e32 v72, v0
                                        ; implicit-def: $vgpr1
.LBB28_29:
	s_and_not1_saveexec_b32 s26, s56
	s_cbranch_execz .LBB28_31
; %bb.30:
	v_mov_b32_e32 v0, v76
	s_swap_pc_i64 s[30:31], s[52:53]
	s_delay_alu instid0(VALU_DEP_1)
	v_mov_b32_e32 v72, v0
.LBB28_31:
	s_or_b32 exec_lo, exec_lo, s26
	v_and_b32_e32 v1, 0xffff0000, v111
	s_and_saveexec_b32 s0, s55
	s_delay_alu instid0(SALU_CYCLE_1)
	s_xor_b32 s56, exec_lo, s0
	s_cbranch_execz .LBB28_33
; %bb.32:
	v_mov_b32_e32 v0, v77
	s_swap_pc_i64 s[30:31], s[50:51]
	s_delay_alu instid0(VALU_DEP_1)
	v_mov_b32_e32 v73, v0
                                        ; implicit-def: $vgpr77
                                        ; implicit-def: $vgpr1
.LBB28_33:
	s_and_not1_saveexec_b32 s26, s56
	s_cbranch_execz .LBB28_35
; %bb.34:
	v_mov_b32_e32 v0, v77
	s_swap_pc_i64 s[30:31], s[52:53]
	s_delay_alu instid0(VALU_DEP_1)
	v_mov_b32_e32 v73, v0
.LBB28_35:
	s_or_b32 exec_lo, exec_lo, s26
	s_wait_loadcnt 0xb
	v_lshlrev_b32_e32 v1, 16, v110
                                        ; implicit-def: $vgpr76
	s_and_saveexec_b32 s0, s55
	s_delay_alu instid0(SALU_CYCLE_1)
	s_xor_b32 s56, exec_lo, s0
	s_cbranch_execz .LBB28_37
; %bb.36:
	v_mov_b32_e32 v0, v84
	s_swap_pc_i64 s[30:31], s[50:51]
	s_delay_alu instid0(VALU_DEP_1)
	v_mov_b32_e32 v76, v0
                                        ; implicit-def: $vgpr1
.LBB28_37:
	s_and_not1_saveexec_b32 s26, s56
	s_cbranch_execz .LBB28_39
; %bb.38:
	v_mov_b32_e32 v0, v84
	s_swap_pc_i64 s[30:31], s[52:53]
	s_delay_alu instid0(VALU_DEP_1)
	v_mov_b32_e32 v76, v0
.LBB28_39:
	s_or_b32 exec_lo, exec_lo, s26
	v_and_b32_e32 v1, 0xffff0000, v110
	s_and_saveexec_b32 s0, s55
	s_delay_alu instid0(SALU_CYCLE_1)
	s_xor_b32 s56, exec_lo, s0
	s_cbranch_execz .LBB28_41
; %bb.40:
	v_mov_b32_e32 v0, v85
	s_swap_pc_i64 s[30:31], s[50:51]
	s_delay_alu instid0(VALU_DEP_1)
	v_mov_b32_e32 v77, v0
                                        ; implicit-def: $vgpr85
                                        ; implicit-def: $vgpr1
.LBB28_41:
	s_and_not1_saveexec_b32 s26, s56
	s_cbranch_execz .LBB28_43
; %bb.42:
	v_mov_b32_e32 v0, v85
	s_swap_pc_i64 s[30:31], s[52:53]
	s_delay_alu instid0(VALU_DEP_1)
	v_mov_b32_e32 v77, v0
.LBB28_43:
	s_or_b32 exec_lo, exec_lo, s26
	s_wait_loadcnt 0xa
	v_lshlrev_b32_e32 v1, 16, v109
                                        ; implicit-def: $vgpr84
	s_and_saveexec_b32 s0, s55
	s_delay_alu instid0(SALU_CYCLE_1)
	s_xor_b32 s56, exec_lo, s0
	s_cbranch_execz .LBB28_45
; %bb.44:
	v_mov_b32_e32 v0, v88
	s_swap_pc_i64 s[30:31], s[50:51]
	s_delay_alu instid0(VALU_DEP_1)
	v_mov_b32_e32 v84, v0
                                        ; implicit-def: $vgpr1
.LBB28_45:
	s_and_not1_saveexec_b32 s26, s56
	s_cbranch_execz .LBB28_47
; %bb.46:
	v_mov_b32_e32 v0, v88
	s_swap_pc_i64 s[30:31], s[52:53]
	s_delay_alu instid0(VALU_DEP_1)
	v_mov_b32_e32 v84, v0
.LBB28_47:
	s_or_b32 exec_lo, exec_lo, s26
	v_and_b32_e32 v1, 0xffff0000, v109
	s_and_saveexec_b32 s0, s55
	s_delay_alu instid0(SALU_CYCLE_1)
	s_xor_b32 s56, exec_lo, s0
	s_cbranch_execz .LBB28_49
; %bb.48:
	v_mov_b32_e32 v0, v89
	s_swap_pc_i64 s[30:31], s[50:51]
	s_delay_alu instid0(VALU_DEP_1)
	v_mov_b32_e32 v85, v0
                                        ; implicit-def: $vgpr89
                                        ; implicit-def: $vgpr1
.LBB28_49:
	s_and_not1_saveexec_b32 s26, s56
	s_cbranch_execz .LBB28_51
; %bb.50:
	v_mov_b32_e32 v0, v89
	s_swap_pc_i64 s[30:31], s[52:53]
	s_delay_alu instid0(VALU_DEP_1)
	v_mov_b32_e32 v85, v0
.LBB28_51:
	s_or_b32 exec_lo, exec_lo, s26
	s_wait_loadcnt 0x9
	v_lshlrev_b32_e32 v1, 16, v108
                                        ; implicit-def: $vgpr88
	s_and_saveexec_b32 s0, s55
	s_delay_alu instid0(SALU_CYCLE_1)
	s_xor_b32 s56, exec_lo, s0
	s_cbranch_execz .LBB28_53
; %bb.52:
	v_mov_b32_e32 v0, v92
	s_swap_pc_i64 s[30:31], s[50:51]
	s_delay_alu instid0(VALU_DEP_1)
	v_mov_b32_e32 v88, v0
                                        ; implicit-def: $vgpr1
.LBB28_53:
	s_and_not1_saveexec_b32 s26, s56
	s_cbranch_execz .LBB28_55
; %bb.54:
	v_mov_b32_e32 v0, v92
	s_swap_pc_i64 s[30:31], s[52:53]
	s_delay_alu instid0(VALU_DEP_1)
	v_mov_b32_e32 v88, v0
.LBB28_55:
	s_or_b32 exec_lo, exec_lo, s26
	v_and_b32_e32 v1, 0xffff0000, v108
	s_and_saveexec_b32 s0, s55
	s_delay_alu instid0(SALU_CYCLE_1)
	s_xor_b32 s56, exec_lo, s0
	s_cbranch_execz .LBB28_57
; %bb.56:
	v_mov_b32_e32 v0, v93
	s_swap_pc_i64 s[30:31], s[50:51]
	s_delay_alu instid0(VALU_DEP_1)
	v_mov_b32_e32 v89, v0
                                        ; implicit-def: $vgpr93
                                        ; implicit-def: $vgpr1
.LBB28_57:
	s_and_not1_saveexec_b32 s26, s56
	s_cbranch_execz .LBB28_59
; %bb.58:
	v_mov_b32_e32 v0, v93
	s_swap_pc_i64 s[30:31], s[52:53]
	s_delay_alu instid0(VALU_DEP_1)
	v_mov_b32_e32 v89, v0
.LBB28_59:
	s_or_b32 exec_lo, exec_lo, s26
	s_wait_loadcnt 0x8
	v_lshlrev_b32_e32 v1, 16, v107
                                        ; implicit-def: $vgpr92
	s_and_saveexec_b32 s0, s55
	s_delay_alu instid0(SALU_CYCLE_1)
	s_xor_b32 s56, exec_lo, s0
	s_cbranch_execz .LBB28_61
; %bb.60:
	v_mov_b32_e32 v0, v94
	s_swap_pc_i64 s[30:31], s[50:51]
	s_delay_alu instid0(VALU_DEP_1)
	v_mov_b32_e32 v92, v0
                                        ; implicit-def: $vgpr1
.LBB28_61:
	s_and_not1_saveexec_b32 s26, s56
	s_cbranch_execz .LBB28_63
; %bb.62:
	v_mov_b32_e32 v0, v94
	s_swap_pc_i64 s[30:31], s[52:53]
	s_delay_alu instid0(VALU_DEP_1)
	v_mov_b32_e32 v92, v0
.LBB28_63:
	s_or_b32 exec_lo, exec_lo, s26
	v_and_b32_e32 v1, 0xffff0000, v107
	s_and_saveexec_b32 s0, s55
	s_delay_alu instid0(SALU_CYCLE_1)
	s_xor_b32 s56, exec_lo, s0
	s_cbranch_execz .LBB28_65
; %bb.64:
	v_mov_b32_e32 v0, v95
	s_swap_pc_i64 s[30:31], s[50:51]
	s_delay_alu instid0(VALU_DEP_1)
	v_mov_b32_e32 v93, v0
                                        ; implicit-def: $vgpr95
                                        ; implicit-def: $vgpr1
.LBB28_65:
	s_and_not1_saveexec_b32 s26, s56
	s_cbranch_execz .LBB28_67
; %bb.66:
	v_mov_b32_e32 v0, v95
	s_swap_pc_i64 s[30:31], s[52:53]
	s_delay_alu instid0(VALU_DEP_1)
	v_mov_b32_e32 v93, v0
.LBB28_67:
	s_or_b32 exec_lo, exec_lo, s26
	s_wait_loadcnt 0x7
	v_lshlrev_b32_e32 v1, 16, v106
                                        ; implicit-def: $vgpr94
	s_and_saveexec_b32 s0, s55
	s_delay_alu instid0(SALU_CYCLE_1)
	s_xor_b32 s56, exec_lo, s0
	s_cbranch_execz .LBB28_69
; %bb.68:
	v_mov_b32_e32 v0, v90
	s_swap_pc_i64 s[30:31], s[50:51]
	s_delay_alu instid0(VALU_DEP_1)
	v_mov_b32_e32 v94, v0
                                        ; implicit-def: $vgpr1
.LBB28_69:
	s_and_not1_saveexec_b32 s26, s56
	s_cbranch_execz .LBB28_71
; %bb.70:
	v_mov_b32_e32 v0, v90
	s_swap_pc_i64 s[30:31], s[52:53]
	s_delay_alu instid0(VALU_DEP_1)
	v_mov_b32_e32 v94, v0
.LBB28_71:
	s_or_b32 exec_lo, exec_lo, s26
	v_and_b32_e32 v1, 0xffff0000, v106
	s_and_saveexec_b32 s0, s55
	s_delay_alu instid0(SALU_CYCLE_1)
	s_xor_b32 s56, exec_lo, s0
	s_cbranch_execz .LBB28_73
; %bb.72:
	v_mov_b32_e32 v0, v91
	s_swap_pc_i64 s[30:31], s[50:51]
	s_delay_alu instid0(VALU_DEP_1)
	v_mov_b32_e32 v95, v0
                                        ; implicit-def: $vgpr91
                                        ; implicit-def: $vgpr1
.LBB28_73:
	s_and_not1_saveexec_b32 s26, s56
	s_cbranch_execz .LBB28_75
; %bb.74:
	v_mov_b32_e32 v0, v91
	s_swap_pc_i64 s[30:31], s[52:53]
	s_delay_alu instid0(VALU_DEP_1)
	v_mov_b32_e32 v95, v0
.LBB28_75:
	s_or_b32 exec_lo, exec_lo, s26
	s_wait_loadcnt 0x6
	v_lshlrev_b32_e32 v1, 16, v105
                                        ; implicit-def: $vgpr90
	s_and_saveexec_b32 s0, s55
	s_delay_alu instid0(SALU_CYCLE_1)
	s_xor_b32 s56, exec_lo, s0
	s_cbranch_execz .LBB28_77
; %bb.76:
	v_mov_b32_e32 v0, v86
	s_swap_pc_i64 s[30:31], s[50:51]
	s_delay_alu instid0(VALU_DEP_1)
	v_mov_b32_e32 v90, v0
                                        ; implicit-def: $vgpr1
.LBB28_77:
	s_and_not1_saveexec_b32 s26, s56
	s_cbranch_execz .LBB28_79
; %bb.78:
	v_mov_b32_e32 v0, v86
	s_swap_pc_i64 s[30:31], s[52:53]
	s_delay_alu instid0(VALU_DEP_1)
	v_mov_b32_e32 v90, v0
.LBB28_79:
	s_or_b32 exec_lo, exec_lo, s26
	v_and_b32_e32 v1, 0xffff0000, v105
	s_and_saveexec_b32 s0, s55
	s_delay_alu instid0(SALU_CYCLE_1)
	s_xor_b32 s56, exec_lo, s0
	s_cbranch_execz .LBB28_81
; %bb.80:
	v_mov_b32_e32 v0, v87
	s_swap_pc_i64 s[30:31], s[50:51]
	s_delay_alu instid0(VALU_DEP_1)
	v_mov_b32_e32 v91, v0
                                        ; implicit-def: $vgpr87
                                        ; implicit-def: $vgpr1
.LBB28_81:
	s_and_not1_saveexec_b32 s26, s56
	s_cbranch_execz .LBB28_83
; %bb.82:
	v_mov_b32_e32 v0, v87
	s_swap_pc_i64 s[30:31], s[52:53]
	s_delay_alu instid0(VALU_DEP_1)
	v_mov_b32_e32 v91, v0
.LBB28_83:
	s_or_b32 exec_lo, exec_lo, s26
	s_wait_loadcnt 0x5
	v_lshlrev_b32_e32 v1, 16, v104
                                        ; implicit-def: $vgpr86
	s_and_saveexec_b32 s0, s55
	s_delay_alu instid0(SALU_CYCLE_1)
	s_xor_b32 s56, exec_lo, s0
	s_cbranch_execz .LBB28_85
; %bb.84:
	v_mov_b32_e32 v0, v78
	s_swap_pc_i64 s[30:31], s[50:51]
	s_delay_alu instid0(VALU_DEP_1)
	v_mov_b32_e32 v86, v0
                                        ; implicit-def: $vgpr1
.LBB28_85:
	s_and_not1_saveexec_b32 s26, s56
	s_cbranch_execz .LBB28_87
; %bb.86:
	v_mov_b32_e32 v0, v78
	s_swap_pc_i64 s[30:31], s[52:53]
	s_delay_alu instid0(VALU_DEP_1)
	v_mov_b32_e32 v86, v0
.LBB28_87:
	s_or_b32 exec_lo, exec_lo, s26
	v_and_b32_e32 v1, 0xffff0000, v104
	s_and_saveexec_b32 s0, s55
	s_delay_alu instid0(SALU_CYCLE_1)
	s_xor_b32 s56, exec_lo, s0
	s_cbranch_execz .LBB28_89
; %bb.88:
	v_mov_b32_e32 v0, v79
	s_swap_pc_i64 s[30:31], s[50:51]
	s_delay_alu instid0(VALU_DEP_1)
	v_mov_b32_e32 v87, v0
                                        ; implicit-def: $vgpr79
                                        ; implicit-def: $vgpr1
.LBB28_89:
	s_and_not1_saveexec_b32 s26, s56
	s_cbranch_execz .LBB28_91
; %bb.90:
	v_mov_b32_e32 v0, v79
	s_swap_pc_i64 s[30:31], s[52:53]
	s_delay_alu instid0(VALU_DEP_1)
	v_mov_b32_e32 v87, v0
.LBB28_91:
	s_or_b32 exec_lo, exec_lo, s26
	s_wait_loadcnt 0x4
	v_lshlrev_b32_e32 v1, 16, v103
                                        ; implicit-def: $vgpr78
	s_and_saveexec_b32 s0, s55
	s_delay_alu instid0(SALU_CYCLE_1)
	s_xor_b32 s56, exec_lo, s0
	s_cbranch_execz .LBB28_93
; %bb.92:
	v_mov_b32_e32 v0, v74
	s_swap_pc_i64 s[30:31], s[50:51]
	s_delay_alu instid0(VALU_DEP_1)
	v_mov_b32_e32 v78, v0
                                        ; implicit-def: $vgpr1
.LBB28_93:
	s_and_not1_saveexec_b32 s26, s56
	s_cbranch_execz .LBB28_95
; %bb.94:
	v_mov_b32_e32 v0, v74
	s_swap_pc_i64 s[30:31], s[52:53]
	s_delay_alu instid0(VALU_DEP_1)
	v_mov_b32_e32 v78, v0
.LBB28_95:
	s_or_b32 exec_lo, exec_lo, s26
	v_and_b32_e32 v1, 0xffff0000, v103
	s_and_saveexec_b32 s0, s55
	s_delay_alu instid0(SALU_CYCLE_1)
	s_xor_b32 s56, exec_lo, s0
	s_cbranch_execz .LBB28_97
; %bb.96:
	v_mov_b32_e32 v0, v75
	s_swap_pc_i64 s[30:31], s[50:51]
	s_delay_alu instid0(VALU_DEP_1)
	v_mov_b32_e32 v79, v0
                                        ; implicit-def: $vgpr75
                                        ; implicit-def: $vgpr1
.LBB28_97:
	s_and_not1_saveexec_b32 s26, s56
	s_cbranch_execz .LBB28_99
; %bb.98:
	v_mov_b32_e32 v0, v75
	s_swap_pc_i64 s[30:31], s[52:53]
	s_delay_alu instid0(VALU_DEP_1)
	v_mov_b32_e32 v79, v0
.LBB28_99:
	s_or_b32 exec_lo, exec_lo, s26
	s_wait_loadcnt 0x3
	v_lshlrev_b32_e32 v1, 16, v102
                                        ; implicit-def: $vgpr74
	s_and_saveexec_b32 s0, s55
	s_delay_alu instid0(SALU_CYCLE_1)
	s_xor_b32 s56, exec_lo, s0
	s_cbranch_execz .LBB28_101
; %bb.100:
	v_mov_b32_e32 v0, v62
	s_swap_pc_i64 s[30:31], s[50:51]
	s_delay_alu instid0(VALU_DEP_1)
	v_mov_b32_e32 v74, v0
                                        ; implicit-def: $vgpr1
.LBB28_101:
	s_and_not1_saveexec_b32 s26, s56
	s_cbranch_execz .LBB28_103
; %bb.102:
	v_mov_b32_e32 v0, v62
	s_swap_pc_i64 s[30:31], s[52:53]
	s_delay_alu instid0(VALU_DEP_1)
	v_mov_b32_e32 v74, v0
.LBB28_103:
	s_or_b32 exec_lo, exec_lo, s26
	v_and_b32_e32 v1, 0xffff0000, v102
	s_and_saveexec_b32 s0, s55
	s_delay_alu instid0(SALU_CYCLE_1)
	s_xor_b32 s56, exec_lo, s0
	s_cbranch_execz .LBB28_105
; %bb.104:
	v_mov_b32_e32 v0, v63
	s_swap_pc_i64 s[30:31], s[50:51]
	s_delay_alu instid0(VALU_DEP_1)
	v_mov_b32_e32 v75, v0
                                        ; implicit-def: $vgpr63
                                        ; implicit-def: $vgpr1
.LBB28_105:
	s_and_not1_saveexec_b32 s26, s56
	s_cbranch_execz .LBB28_107
; %bb.106:
	v_mov_b32_e32 v0, v63
	s_swap_pc_i64 s[30:31], s[52:53]
	s_delay_alu instid0(VALU_DEP_1)
	v_mov_b32_e32 v75, v0
.LBB28_107:
	s_or_b32 exec_lo, exec_lo, s26
	s_wait_loadcnt 0x2
	v_lshlrev_b32_e32 v1, 16, v101
                                        ; implicit-def: $vgpr62
	s_and_saveexec_b32 s0, s55
	s_delay_alu instid0(SALU_CYCLE_1)
	s_xor_b32 s56, exec_lo, s0
	s_cbranch_execz .LBB28_109
; %bb.108:
	v_mov_b32_e32 v0, v58
	s_swap_pc_i64 s[30:31], s[50:51]
	s_delay_alu instid0(VALU_DEP_1)
	v_mov_b32_e32 v62, v0
                                        ; implicit-def: $vgpr1
.LBB28_109:
	s_and_not1_saveexec_b32 s26, s56
	s_cbranch_execz .LBB28_111
; %bb.110:
	v_mov_b32_e32 v0, v58
	s_swap_pc_i64 s[30:31], s[52:53]
	s_delay_alu instid0(VALU_DEP_1)
	v_mov_b32_e32 v62, v0
.LBB28_111:
	s_or_b32 exec_lo, exec_lo, s26
	v_and_b32_e32 v1, 0xffff0000, v101
	s_and_saveexec_b32 s0, s55
	s_delay_alu instid0(SALU_CYCLE_1)
	s_xor_b32 s56, exec_lo, s0
	s_cbranch_execz .LBB28_113
; %bb.112:
	v_mov_b32_e32 v0, v59
	s_swap_pc_i64 s[30:31], s[50:51]
	s_delay_alu instid0(VALU_DEP_1)
	v_mov_b32_e32 v63, v0
                                        ; implicit-def: $vgpr59
                                        ; implicit-def: $vgpr1
.LBB28_113:
	s_and_not1_saveexec_b32 s26, s56
	s_cbranch_execz .LBB28_115
; %bb.114:
	v_mov_b32_e32 v0, v59
	s_swap_pc_i64 s[30:31], s[52:53]
	s_delay_alu instid0(VALU_DEP_1)
	v_mov_b32_e32 v63, v0
.LBB28_115:
	s_or_b32 exec_lo, exec_lo, s26
	s_wait_loadcnt 0x1
	v_lshlrev_b32_e32 v1, 16, v100
                                        ; implicit-def: $vgpr58
	s_and_saveexec_b32 s0, s55
	s_delay_alu instid0(SALU_CYCLE_1)
	s_xor_b32 s56, exec_lo, s0
	s_cbranch_execz .LBB28_117
; %bb.116:
	v_mov_b32_e32 v0, v46
	s_swap_pc_i64 s[30:31], s[50:51]
	s_delay_alu instid0(VALU_DEP_1)
	v_mov_b32_e32 v58, v0
                                        ; implicit-def: $vgpr1
.LBB28_117:
	s_and_not1_saveexec_b32 s26, s56
	s_cbranch_execz .LBB28_119
; %bb.118:
	v_mov_b32_e32 v0, v46
	s_swap_pc_i64 s[30:31], s[52:53]
	s_delay_alu instid0(VALU_DEP_1)
	v_mov_b32_e32 v58, v0
.LBB28_119:
	s_or_b32 exec_lo, exec_lo, s26
	v_and_b32_e32 v1, 0xffff0000, v100
	s_and_saveexec_b32 s0, s55
	s_delay_alu instid0(SALU_CYCLE_1)
	s_xor_b32 s56, exec_lo, s0
	s_cbranch_execz .LBB28_121
; %bb.120:
	v_mov_b32_e32 v0, v47
	s_swap_pc_i64 s[30:31], s[50:51]
	s_delay_alu instid0(VALU_DEP_1)
	v_mov_b32_e32 v59, v0
                                        ; implicit-def: $vgpr47
                                        ; implicit-def: $vgpr1
.LBB28_121:
	s_and_not1_saveexec_b32 s26, s56
	s_cbranch_execz .LBB28_123
; %bb.122:
	v_mov_b32_e32 v0, v47
	s_swap_pc_i64 s[30:31], s[52:53]
	s_delay_alu instid0(VALU_DEP_1)
	v_mov_b32_e32 v59, v0
.LBB28_123:
	s_or_b32 exec_lo, exec_lo, s26
	s_wait_loadcnt 0x0
	v_lshlrev_b32_e32 v1, 16, v99
                                        ; implicit-def: $vgpr46
	s_and_saveexec_b32 s0, s55
	s_delay_alu instid0(SALU_CYCLE_1)
	s_xor_b32 s56, exec_lo, s0
	s_cbranch_execz .LBB28_125
; %bb.124:
	v_mov_b32_e32 v0, v42
	s_swap_pc_i64 s[30:31], s[50:51]
	s_delay_alu instid0(VALU_DEP_1)
	v_mov_b32_e32 v46, v0
                                        ; implicit-def: $vgpr1
.LBB28_125:
	s_and_not1_saveexec_b32 s26, s56
	s_cbranch_execz .LBB28_127
; %bb.126:
	v_mov_b32_e32 v0, v42
	s_swap_pc_i64 s[30:31], s[52:53]
	s_delay_alu instid0(VALU_DEP_1)
	v_mov_b32_e32 v46, v0
.LBB28_127:
	s_or_b32 exec_lo, exec_lo, s26
	v_and_b32_e32 v1, 0xffff0000, v99
	s_and_saveexec_b32 s0, s55
	s_delay_alu instid0(SALU_CYCLE_1)
	s_xor_b32 s55, exec_lo, s0
	s_cbranch_execz .LBB28_129
; %bb.128:
	v_mov_b32_e32 v0, v43
	s_swap_pc_i64 s[30:31], s[50:51]
	s_delay_alu instid0(VALU_DEP_1)
	v_mov_b32_e32 v47, v0
                                        ; implicit-def: $vgpr43
                                        ; implicit-def: $vgpr1
.LBB28_129:
	s_and_not1_saveexec_b32 s26, s55
	s_cbranch_execz .LBB28_131
; %bb.130:
	v_mov_b32_e32 v0, v43
	s_swap_pc_i64 s[30:31], s[52:53]
	s_delay_alu instid0(VALU_DEP_1)
	v_mov_b32_e32 v47, v0
.LBB28_131:
	s_or_b32 exec_lo, exec_lo, s26
	s_add_nc_u64 s[2:3], s[36:37], s[48:49]
	s_clause 0xf
	global_store_b64 v98, v[44:45], s[2:3] scale_offset
	global_store_b64 v98, v[56:57], s[2:3] offset:4096 scale_offset
	global_store_b64 v98, v[60:61], s[2:3] offset:8192 scale_offset
	;; [unrolled: 1-line block ×15, first 2 shown]
	s_branch .LBB28_2
.LBB28_132:
	s_clause 0x1
	s_load_b32 s6, s[34:35], 0x24
	s_load_b128 s[0:3], s[34:35], 0x28
	ds_load_u8 v0, v97
	v_dual_mov_b32 v31, v96 :: v_dual_mov_b32 v1, s36
	v_dual_mov_b32 v2, s37 :: v_dual_mov_b32 v3, s38
	;; [unrolled: 1-line block ×4, first 2 shown]
	s_add_nc_u64 s[8:9], s[34:35], 56
	s_get_pc_i64 s[4:5]
	s_add_nc_u64 s[4:5], s[4:5], _ZN2at6native25elementwise_kernel_helperILb1EN12_GLOBAL__N_110CalcIgammaIfEENS0_6memory8policies11unroll_baseILi512ESt5arrayIPcLm3EE23TrivialOffsetCalculatorILi2EjESB_ILi1EjENS5_12LoadWithCastILi2EEENS5_13StoreWithCastILi1EEELi32ELi1EEEEEvT0_T1_@rel64+4
	s_wait_kmcnt 0x0
	s_bfe_u32 s7, s6, 0x80008
	v_dual_mov_b32 v8, s6 :: v_dual_mov_b32 v10, s0
	v_dual_mov_b32 v11, s1 :: v_dual_mov_b32 v12, s2
	;; [unrolled: 1-line block ×3, first 2 shown]
	s_swap_pc_i64 s[30:31], s[4:5]
	s_endpgm
	.section	.rodata,"a",@progbits
	.p2align	6, 0x0
	.amdhsa_kernel _ZN2at6native39vectorized_templated_elementwise_kernelILi2EN12_GLOBAL__N_110CalcIgammaIfEESt5arrayIPcLm3EE23TrivialOffsetCalculatorILi2EjES8_ILi1EjENS0_6memory12LoadWithCastILi2EEENSB_13StoreWithCastILi1EEEfJfN3c108BFloat16EEEEviT0_T1_T2_T3_T4_T5_
		.amdhsa_group_segment_fixed_size 1024
		.amdhsa_private_segment_fixed_size 448
		.amdhsa_kernarg_size 312
		.amdhsa_user_sgpr_count 4
		.amdhsa_user_sgpr_dispatch_ptr 1
		.amdhsa_user_sgpr_queue_ptr 0
		.amdhsa_user_sgpr_kernarg_segment_ptr 1
		.amdhsa_user_sgpr_dispatch_id 0
		.amdhsa_user_sgpr_kernarg_preload_length 0
		.amdhsa_user_sgpr_kernarg_preload_offset 0
		.amdhsa_user_sgpr_private_segment_size 0
		.amdhsa_wavefront_size32 1
		.amdhsa_uses_dynamic_stack 0
		.amdhsa_enable_private_segment 1
		.amdhsa_system_sgpr_workgroup_id_x 1
		.amdhsa_system_sgpr_workgroup_id_y 0
		.amdhsa_system_sgpr_workgroup_id_z 0
		.amdhsa_system_sgpr_workgroup_info 0
		.amdhsa_system_vgpr_workitem_id 2
		.amdhsa_next_free_vgpr 214
		.amdhsa_next_free_sgpr 96
		.amdhsa_named_barrier_count 0
		.amdhsa_reserve_vcc 1
		.amdhsa_float_round_mode_32 0
		.amdhsa_float_round_mode_16_64 0
		.amdhsa_float_denorm_mode_32 3
		.amdhsa_float_denorm_mode_16_64 3
		.amdhsa_fp16_overflow 0
		.amdhsa_memory_ordered 1
		.amdhsa_forward_progress 1
		.amdhsa_inst_pref_size 26
		.amdhsa_round_robin_scheduling 0
		.amdhsa_exception_fp_ieee_invalid_op 0
		.amdhsa_exception_fp_denorm_src 0
		.amdhsa_exception_fp_ieee_div_zero 0
		.amdhsa_exception_fp_ieee_overflow 0
		.amdhsa_exception_fp_ieee_underflow 0
		.amdhsa_exception_fp_ieee_inexact 0
		.amdhsa_exception_int_div_zero 0
	.end_amdhsa_kernel
	.section	.text._ZN2at6native39vectorized_templated_elementwise_kernelILi2EN12_GLOBAL__N_110CalcIgammaIfEESt5arrayIPcLm3EE23TrivialOffsetCalculatorILi2EjES8_ILi1EjENS0_6memory12LoadWithCastILi2EEENSB_13StoreWithCastILi1EEEfJfN3c108BFloat16EEEEviT0_T1_T2_T3_T4_T5_,"axG",@progbits,_ZN2at6native39vectorized_templated_elementwise_kernelILi2EN12_GLOBAL__N_110CalcIgammaIfEESt5arrayIPcLm3EE23TrivialOffsetCalculatorILi2EjES8_ILi1EjENS0_6memory12LoadWithCastILi2EEENSB_13StoreWithCastILi1EEEfJfN3c108BFloat16EEEEviT0_T1_T2_T3_T4_T5_,comdat
.Lfunc_end28:
	.size	_ZN2at6native39vectorized_templated_elementwise_kernelILi2EN12_GLOBAL__N_110CalcIgammaIfEESt5arrayIPcLm3EE23TrivialOffsetCalculatorILi2EjES8_ILi1EjENS0_6memory12LoadWithCastILi2EEENSB_13StoreWithCastILi1EEEfJfN3c108BFloat16EEEEviT0_T1_T2_T3_T4_T5_, .Lfunc_end28-_ZN2at6native39vectorized_templated_elementwise_kernelILi2EN12_GLOBAL__N_110CalcIgammaIfEESt5arrayIPcLm3EE23TrivialOffsetCalculatorILi2EjES8_ILi1EjENS0_6memory12LoadWithCastILi2EEENSB_13StoreWithCastILi1EEEfJfN3c108BFloat16EEEEviT0_T1_T2_T3_T4_T5_
                                        ; -- End function
	.set _ZN2at6native39vectorized_templated_elementwise_kernelILi2EN12_GLOBAL__N_110CalcIgammaIfEESt5arrayIPcLm3EE23TrivialOffsetCalculatorILi2EjES8_ILi1EjENS0_6memory12LoadWithCastILi2EEENSB_13StoreWithCastILi1EEEfJfN3c108BFloat16EEEEviT0_T1_T2_T3_T4_T5_.num_vgpr, max(114, .L_ZN12_GLOBAL__N_111calc_igammaIfEET_S1_S1_.num_vgpr, .L_ZN12_GLOBAL__N_112calc_igammacIfEET_S1_S1_.num_vgpr, .L_ZN2at6native25elementwise_kernel_helperILb1EN12_GLOBAL__N_110CalcIgammaIfEENS0_6memory8policies11unroll_baseILi512ESt5arrayIPcLm3EE23TrivialOffsetCalculatorILi2EjESB_ILi1EjENS5_12LoadWithCastILi2EEENS5_13StoreWithCastILi1EEELi32ELi1EEEEEvT0_T1_.num_vgpr)
	.set _ZN2at6native39vectorized_templated_elementwise_kernelILi2EN12_GLOBAL__N_110CalcIgammaIfEESt5arrayIPcLm3EE23TrivialOffsetCalculatorILi2EjES8_ILi1EjENS0_6memory12LoadWithCastILi2EEENSB_13StoreWithCastILi1EEEfJfN3c108BFloat16EEEEviT0_T1_T2_T3_T4_T5_.num_agpr, max(0, .L_ZN12_GLOBAL__N_111calc_igammaIfEET_S1_S1_.num_agpr, .L_ZN12_GLOBAL__N_112calc_igammacIfEET_S1_S1_.num_agpr, .L_ZN2at6native25elementwise_kernel_helperILb1EN12_GLOBAL__N_110CalcIgammaIfEENS0_6memory8policies11unroll_baseILi512ESt5arrayIPcLm3EE23TrivialOffsetCalculatorILi2EjESB_ILi1EjENS5_12LoadWithCastILi2EEENS5_13StoreWithCastILi1EEELi32ELi1EEEEEvT0_T1_.num_agpr)
	.set _ZN2at6native39vectorized_templated_elementwise_kernelILi2EN12_GLOBAL__N_110CalcIgammaIfEESt5arrayIPcLm3EE23TrivialOffsetCalculatorILi2EjES8_ILi1EjENS0_6memory12LoadWithCastILi2EEENSB_13StoreWithCastILi1EEEfJfN3c108BFloat16EEEEviT0_T1_T2_T3_T4_T5_.numbered_sgpr, max(57, .L_ZN12_GLOBAL__N_111calc_igammaIfEET_S1_S1_.numbered_sgpr, .L_ZN12_GLOBAL__N_112calc_igammacIfEET_S1_S1_.numbered_sgpr, .L_ZN2at6native25elementwise_kernel_helperILb1EN12_GLOBAL__N_110CalcIgammaIfEENS0_6memory8policies11unroll_baseILi512ESt5arrayIPcLm3EE23TrivialOffsetCalculatorILi2EjESB_ILi1EjENS5_12LoadWithCastILi2EEENS5_13StoreWithCastILi1EEELi32ELi1EEEEEvT0_T1_.numbered_sgpr)
	.set _ZN2at6native39vectorized_templated_elementwise_kernelILi2EN12_GLOBAL__N_110CalcIgammaIfEESt5arrayIPcLm3EE23TrivialOffsetCalculatorILi2EjES8_ILi1EjENS0_6memory12LoadWithCastILi2EEENSB_13StoreWithCastILi1EEEfJfN3c108BFloat16EEEEviT0_T1_T2_T3_T4_T5_.num_named_barrier, max(0, .L_ZN12_GLOBAL__N_111calc_igammaIfEET_S1_S1_.num_named_barrier, .L_ZN12_GLOBAL__N_112calc_igammacIfEET_S1_S1_.num_named_barrier, .L_ZN2at6native25elementwise_kernel_helperILb1EN12_GLOBAL__N_110CalcIgammaIfEENS0_6memory8policies11unroll_baseILi512ESt5arrayIPcLm3EE23TrivialOffsetCalculatorILi2EjESB_ILi1EjENS5_12LoadWithCastILi2EEENS5_13StoreWithCastILi1EEELi32ELi1EEEEEvT0_T1_.num_named_barrier)
	.set _ZN2at6native39vectorized_templated_elementwise_kernelILi2EN12_GLOBAL__N_110CalcIgammaIfEESt5arrayIPcLm3EE23TrivialOffsetCalculatorILi2EjES8_ILi1EjENS0_6memory12LoadWithCastILi2EEENSB_13StoreWithCastILi1EEEfJfN3c108BFloat16EEEEviT0_T1_T2_T3_T4_T5_.private_seg_size, 0+max(.L_ZN12_GLOBAL__N_111calc_igammaIfEET_S1_S1_.private_seg_size, .L_ZN12_GLOBAL__N_112calc_igammacIfEET_S1_S1_.private_seg_size, .L_ZN2at6native25elementwise_kernel_helperILb1EN12_GLOBAL__N_110CalcIgammaIfEENS0_6memory8policies11unroll_baseILi512ESt5arrayIPcLm3EE23TrivialOffsetCalculatorILi2EjESB_ILi1EjENS5_12LoadWithCastILi2EEENS5_13StoreWithCastILi1EEELi32ELi1EEEEEvT0_T1_.private_seg_size)
	.set _ZN2at6native39vectorized_templated_elementwise_kernelILi2EN12_GLOBAL__N_110CalcIgammaIfEESt5arrayIPcLm3EE23TrivialOffsetCalculatorILi2EjES8_ILi1EjENS0_6memory12LoadWithCastILi2EEENSB_13StoreWithCastILi1EEEfJfN3c108BFloat16EEEEviT0_T1_T2_T3_T4_T5_.uses_vcc, or(1, .L_ZN12_GLOBAL__N_111calc_igammaIfEET_S1_S1_.uses_vcc, .L_ZN12_GLOBAL__N_112calc_igammacIfEET_S1_S1_.uses_vcc, .L_ZN2at6native25elementwise_kernel_helperILb1EN12_GLOBAL__N_110CalcIgammaIfEENS0_6memory8policies11unroll_baseILi512ESt5arrayIPcLm3EE23TrivialOffsetCalculatorILi2EjESB_ILi1EjENS5_12LoadWithCastILi2EEENS5_13StoreWithCastILi1EEELi32ELi1EEEEEvT0_T1_.uses_vcc)
	.set _ZN2at6native39vectorized_templated_elementwise_kernelILi2EN12_GLOBAL__N_110CalcIgammaIfEESt5arrayIPcLm3EE23TrivialOffsetCalculatorILi2EjES8_ILi1EjENS0_6memory12LoadWithCastILi2EEENSB_13StoreWithCastILi1EEEfJfN3c108BFloat16EEEEviT0_T1_T2_T3_T4_T5_.uses_flat_scratch, or(0, .L_ZN12_GLOBAL__N_111calc_igammaIfEET_S1_S1_.uses_flat_scratch, .L_ZN12_GLOBAL__N_112calc_igammacIfEET_S1_S1_.uses_flat_scratch, .L_ZN2at6native25elementwise_kernel_helperILb1EN12_GLOBAL__N_110CalcIgammaIfEENS0_6memory8policies11unroll_baseILi512ESt5arrayIPcLm3EE23TrivialOffsetCalculatorILi2EjESB_ILi1EjENS5_12LoadWithCastILi2EEENS5_13StoreWithCastILi1EEELi32ELi1EEEEEvT0_T1_.uses_flat_scratch)
	.set _ZN2at6native39vectorized_templated_elementwise_kernelILi2EN12_GLOBAL__N_110CalcIgammaIfEESt5arrayIPcLm3EE23TrivialOffsetCalculatorILi2EjES8_ILi1EjENS0_6memory12LoadWithCastILi2EEENSB_13StoreWithCastILi1EEEfJfN3c108BFloat16EEEEviT0_T1_T2_T3_T4_T5_.has_dyn_sized_stack, or(0, .L_ZN12_GLOBAL__N_111calc_igammaIfEET_S1_S1_.has_dyn_sized_stack, .L_ZN12_GLOBAL__N_112calc_igammacIfEET_S1_S1_.has_dyn_sized_stack, .L_ZN2at6native25elementwise_kernel_helperILb1EN12_GLOBAL__N_110CalcIgammaIfEENS0_6memory8policies11unroll_baseILi512ESt5arrayIPcLm3EE23TrivialOffsetCalculatorILi2EjESB_ILi1EjENS5_12LoadWithCastILi2EEENS5_13StoreWithCastILi1EEELi32ELi1EEEEEvT0_T1_.has_dyn_sized_stack)
	.set _ZN2at6native39vectorized_templated_elementwise_kernelILi2EN12_GLOBAL__N_110CalcIgammaIfEESt5arrayIPcLm3EE23TrivialOffsetCalculatorILi2EjES8_ILi1EjENS0_6memory12LoadWithCastILi2EEENSB_13StoreWithCastILi1EEEfJfN3c108BFloat16EEEEviT0_T1_T2_T3_T4_T5_.has_recursion, or(0, .L_ZN12_GLOBAL__N_111calc_igammaIfEET_S1_S1_.has_recursion, .L_ZN12_GLOBAL__N_112calc_igammacIfEET_S1_S1_.has_recursion, .L_ZN2at6native25elementwise_kernel_helperILb1EN12_GLOBAL__N_110CalcIgammaIfEENS0_6memory8policies11unroll_baseILi512ESt5arrayIPcLm3EE23TrivialOffsetCalculatorILi2EjESB_ILi1EjENS5_12LoadWithCastILi2EEENS5_13StoreWithCastILi1EEELi32ELi1EEEEEvT0_T1_.has_recursion)
	.set _ZN2at6native39vectorized_templated_elementwise_kernelILi2EN12_GLOBAL__N_110CalcIgammaIfEESt5arrayIPcLm3EE23TrivialOffsetCalculatorILi2EjES8_ILi1EjENS0_6memory12LoadWithCastILi2EEENSB_13StoreWithCastILi1EEEfJfN3c108BFloat16EEEEviT0_T1_T2_T3_T4_T5_.has_indirect_call, or(0, .L_ZN12_GLOBAL__N_111calc_igammaIfEET_S1_S1_.has_indirect_call, .L_ZN12_GLOBAL__N_112calc_igammacIfEET_S1_S1_.has_indirect_call, .L_ZN2at6native25elementwise_kernel_helperILb1EN12_GLOBAL__N_110CalcIgammaIfEENS0_6memory8policies11unroll_baseILi512ESt5arrayIPcLm3EE23TrivialOffsetCalculatorILi2EjESB_ILi1EjENS5_12LoadWithCastILi2EEENS5_13StoreWithCastILi1EEELi32ELi1EEEEEvT0_T1_.has_indirect_call)
	.section	.AMDGPU.csdata,"",@progbits
; Kernel info:
; codeLenInByte = 3224
; TotalNumSgprs: 98
; NumVgprs: 214
; ScratchSize: 448
; MemoryBound: 0
; FloatMode: 240
; IeeeMode: 1
; LDSByteSize: 1024 bytes/workgroup (compile time only)
; SGPRBlocks: 0
; VGPRBlocks: 13
; NumSGPRsForWavesPerEU: 98
; NumVGPRsForWavesPerEU: 214
; NamedBarCnt: 0
; Occupancy: 4
; WaveLimiterHint : 0
; COMPUTE_PGM_RSRC2:SCRATCH_EN: 1
; COMPUTE_PGM_RSRC2:USER_SGPR: 4
; COMPUTE_PGM_RSRC2:TRAP_HANDLER: 0
; COMPUTE_PGM_RSRC2:TGID_X_EN: 1
; COMPUTE_PGM_RSRC2:TGID_Y_EN: 0
; COMPUTE_PGM_RSRC2:TGID_Z_EN: 0
; COMPUTE_PGM_RSRC2:TIDIG_COMP_CNT: 2
	.section	.text._ZN2at6native39vectorized_templated_elementwise_kernelILi8EN12_GLOBAL__N_110CalcIgammaIfEESt5arrayIPcLm3EE23TrivialOffsetCalculatorILi2EjES8_ILi1EjENS0_6memory12LoadWithCastILi2EEENSB_13StoreWithCastILi1EEEfJN3c108BFloat16EfEEEviT0_T1_T2_T3_T4_T5_,"axG",@progbits,_ZN2at6native39vectorized_templated_elementwise_kernelILi8EN12_GLOBAL__N_110CalcIgammaIfEESt5arrayIPcLm3EE23TrivialOffsetCalculatorILi2EjES8_ILi1EjENS0_6memory12LoadWithCastILi2EEENSB_13StoreWithCastILi1EEEfJN3c108BFloat16EfEEEviT0_T1_T2_T3_T4_T5_,comdat
	.globl	_ZN2at6native39vectorized_templated_elementwise_kernelILi8EN12_GLOBAL__N_110CalcIgammaIfEESt5arrayIPcLm3EE23TrivialOffsetCalculatorILi2EjES8_ILi1EjENS0_6memory12LoadWithCastILi2EEENSB_13StoreWithCastILi1EEEfJN3c108BFloat16EfEEEviT0_T1_T2_T3_T4_T5_ ; -- Begin function _ZN2at6native39vectorized_templated_elementwise_kernelILi8EN12_GLOBAL__N_110CalcIgammaIfEESt5arrayIPcLm3EE23TrivialOffsetCalculatorILi2EjES8_ILi1EjENS0_6memory12LoadWithCastILi2EEENSB_13StoreWithCastILi1EEEfJN3c108BFloat16EfEEEviT0_T1_T2_T3_T4_T5_
	.p2align	8
	.type	_ZN2at6native39vectorized_templated_elementwise_kernelILi8EN12_GLOBAL__N_110CalcIgammaIfEESt5arrayIPcLm3EE23TrivialOffsetCalculatorILi2EjES8_ILi1EjENS0_6memory12LoadWithCastILi2EEENSB_13StoreWithCastILi1EEEfJN3c108BFloat16EfEEEviT0_T1_T2_T3_T4_T5_,@function
_ZN2at6native39vectorized_templated_elementwise_kernelILi8EN12_GLOBAL__N_110CalcIgammaIfEESt5arrayIPcLm3EE23TrivialOffsetCalculatorILi2EjES8_ILi1EjENS0_6memory12LoadWithCastILi2EEENSB_13StoreWithCastILi1EEEfJN3c108BFloat16EfEEEviT0_T1_T2_T3_T4_T5_: ; @_ZN2at6native39vectorized_templated_elementwise_kernelILi8EN12_GLOBAL__N_110CalcIgammaIfEESt5arrayIPcLm3EE23TrivialOffsetCalculatorILi2EjES8_ILi1EjENS0_6memory12LoadWithCastILi2EEENSB_13StoreWithCastILi1EEEfJN3c108BFloat16EfEEEviT0_T1_T2_T3_T4_T5_
; %bb.0:
	s_mov_b64 s[34:35], s[2:3]
	s_load_b64 s[2:3], s[0:1], 0x4
	s_clause 0x2
	s_load_b64 s[4:5], s[34:35], 0x0
	s_load_b64 s[46:47], s[34:35], 0x18
	s_load_b32 s6, s[34:35], 0x38
	s_wait_xcnt 0x0
	s_bfe_u32 s1, ttmp6, 0x4000c
	s_and_b32 s0, ttmp6, 15
	s_add_co_i32 s1, s1, 1
	s_load_b128 s[36:39], s[34:35], 0x8
	s_mul_i32 s1, ttmp9, s1
	s_getreg_b32 s7, hwreg(HW_REG_IB_STS2, 6, 4)
	s_add_co_i32 s0, s0, s1
	s_mov_b32 s32, 0
	s_wait_kmcnt 0x0
	s_lshr_b32 s2, s2, 16
	s_and_b32 s1, s5, 1
	v_mov_b32_e32 v46, v0
	s_mul_i32 s2, s2, s3
	s_cmp_eq_u32 s7, 0
	s_cselect_b32 s0, ttmp9, s0
	s_delay_alu instid0(VALU_DEP_1) | instskip(SKIP_3) | instid1(VALU_DEP_3)
	v_and_b32_e32 v0, 0x3ff, v46
	v_bfe_u32 v1, v46, 10, 10
	v_bfe_u32 v3, v46, 20, 10
	s_not_b32 s0, s0
	v_mul_lo_u32 v2, s2, v0
	s_delay_alu instid0(VALU_DEP_3) | instskip(SKIP_1) | instid1(SALU_CYCLE_1)
	v_mul_u32_u24_e32 v1, s3, v1
	s_add_co_i32 s6, s6, s0
	s_lshl_b32 s0, s6, 14
	s_delay_alu instid0(SALU_CYCLE_1) | instskip(NEXT) | instid1(SALU_CYCLE_1)
	s_sub_co_i32 s54, s4, s0
	s_cmp_gt_i32 s54, 0x3fff
	s_delay_alu instid0(VALU_DEP_2)
	v_add3_u32 v47, v2, v1, v3
	v_mov_b32_e32 v1, s1
	s_mov_b32 s1, -1
	ds_store_b8 v47, v1
	s_cbranch_scc1 .LBB29_3
; %bb.1:
	s_and_b32 vcc_lo, exec_lo, s1
	s_cbranch_vccnz .LBB29_132
.LBB29_2:
	s_endpgm
.LBB29_3:
	s_ashr_i32 s1, s0, 31
	v_lshlrev_b32_e32 v116, 5, v0
	s_lshl_b64 s[2:3], s[0:1], 1
	s_lshl_b64 s[48:49], s[0:1], 2
	s_add_nc_u64 s[2:3], s[38:39], s[2:3]
	s_add_nc_u64 s[0:1], s[46:47], s[48:49]
	s_clause 0x3
	global_load_b128 v[112:115], v0, s[2:3] scale_offset
	global_load_b128 v[108:111], v0, s[2:3] offset:8192 scale_offset
	global_load_b128 v[104:107], v0, s[2:3] offset:16384 scale_offset
	;; [unrolled: 1-line block ×3, first 2 shown]
	s_clause 0x7
	global_load_b128 v[76:79], v116, s[0:1] offset:16
	global_load_b128 v[58:61], v116, s[0:1]
	global_load_b128 v[96:99], v116, s[0:1] offset:16400
	global_load_b128 v[88:91], v116, s[0:1] offset:16384
	;; [unrolled: 1-line block ×6, first 2 shown]
	s_wait_xcnt 0x8
	ds_load_u8 v0, v47
	s_get_pc_i64 s[50:51]
	s_add_nc_u64 s[50:51], s[50:51], _ZN12_GLOBAL__N_111calc_igammaIfEET_S1_S1_@rel64+4
                                        ; implicit-def: $vgpr56
	s_wait_dscnt 0x0
	v_and_b32_e32 v1, 1, v0
	s_delay_alu instid0(VALU_DEP_1)
	v_cmp_eq_u32_e32 vcc_lo, 1, v1
	ds_store_b8 v47, v1 offset:512
	s_xor_b32 s55, vcc_lo, -1
	s_wait_loadcnt 0xb
	v_lshlrev_b32_e32 v0, 16, v112
	s_wait_xcnt 0x0
	s_and_saveexec_b32 s0, s55
	s_delay_alu instid0(SALU_CYCLE_1)
	s_xor_b32 s52, exec_lo, s0
	s_cbranch_execz .LBB29_5
; %bb.4:
	s_wait_loadcnt 0x6
	v_mov_b32_e32 v1, v58
	s_swap_pc_i64 s[30:31], s[50:51]
	v_mov_b32_e32 v56, v0
                                        ; implicit-def: $vgpr0
.LBB29_5:
	s_or_saveexec_b32 s26, s52
	s_get_pc_i64 s[52:53]
	s_add_nc_u64 s[52:53], s[52:53], _ZN12_GLOBAL__N_112calc_igammacIfEET_S1_S1_@rel64+4
	s_xor_b32 exec_lo, exec_lo, s26
	s_cbranch_execz .LBB29_7
; %bb.6:
	s_wait_loadcnt 0x6
	v_mov_b32_e32 v1, v58
	s_swap_pc_i64 s[30:31], s[52:53]
	v_mov_b32_e32 v56, v0
.LBB29_7:
	s_or_b32 exec_lo, exec_lo, s26
	v_and_b32_e32 v0, 0xffff0000, v112
	s_and_saveexec_b32 s0, s55
	s_delay_alu instid0(SALU_CYCLE_1)
	s_xor_b32 s56, exec_lo, s0
	s_cbranch_execz .LBB29_9
; %bb.8:
	s_wait_loadcnt 0x6
	v_mov_b32_e32 v1, v59
	s_swap_pc_i64 s[30:31], s[50:51]
	v_mov_b32_e32 v57, v0
                                        ; implicit-def: $vgpr0
.LBB29_9:
	s_and_not1_saveexec_b32 s26, s56
	s_cbranch_execz .LBB29_11
; %bb.10:
	s_wait_loadcnt 0x6
	v_mov_b32_e32 v1, v59
	s_swap_pc_i64 s[30:31], s[52:53]
	v_mov_b32_e32 v57, v0
.LBB29_11:
	s_or_b32 exec_lo, exec_lo, s26
	v_lshlrev_b32_e32 v0, 16, v113
	s_and_saveexec_b32 s0, s55
	s_delay_alu instid0(SALU_CYCLE_1)
	s_xor_b32 s56, exec_lo, s0
	s_cbranch_execz .LBB29_13
; %bb.12:
	s_wait_loadcnt 0x6
	v_mov_b32_e32 v1, v60
	s_swap_pc_i64 s[30:31], s[50:51]
	v_mov_b32_e32 v58, v0
                                        ; implicit-def: $vgpr0
.LBB29_13:
	s_and_not1_saveexec_b32 s26, s56
	s_cbranch_execz .LBB29_15
; %bb.14:
	s_wait_loadcnt 0x6
	v_mov_b32_e32 v1, v60
	s_swap_pc_i64 s[30:31], s[52:53]
	v_mov_b32_e32 v58, v0
.LBB29_15:
	s_or_b32 exec_lo, exec_lo, s26
	v_and_b32_e32 v0, 0xffff0000, v113
	s_and_saveexec_b32 s0, s55
	s_delay_alu instid0(SALU_CYCLE_1)
	s_xor_b32 s56, exec_lo, s0
	s_cbranch_execz .LBB29_17
; %bb.16:
	s_wait_loadcnt 0x6
	v_mov_b32_e32 v1, v61
	s_swap_pc_i64 s[30:31], s[50:51]
	v_mov_b32_e32 v59, v0
                                        ; implicit-def: $vgpr0
                                        ; implicit-def: $vgpr61
.LBB29_17:
	s_and_not1_saveexec_b32 s26, s56
	s_cbranch_execz .LBB29_19
; %bb.18:
	s_wait_loadcnt 0x6
	v_mov_b32_e32 v1, v61
	s_swap_pc_i64 s[30:31], s[52:53]
	v_mov_b32_e32 v59, v0
.LBB29_19:
	s_or_b32 exec_lo, exec_lo, s26
	v_lshlrev_b32_e32 v0, 16, v114
                                        ; implicit-def: $vgpr60
	s_and_saveexec_b32 s0, s55
	s_delay_alu instid0(SALU_CYCLE_1)
	s_xor_b32 s56, exec_lo, s0
	s_cbranch_execz .LBB29_21
; %bb.20:
	s_wait_loadcnt 0x7
	v_mov_b32_e32 v1, v76
	s_swap_pc_i64 s[30:31], s[50:51]
	v_mov_b32_e32 v60, v0
                                        ; implicit-def: $vgpr0
.LBB29_21:
	s_and_not1_saveexec_b32 s26, s56
	s_cbranch_execz .LBB29_23
; %bb.22:
	s_wait_loadcnt 0x7
	v_mov_b32_e32 v1, v76
	s_swap_pc_i64 s[30:31], s[52:53]
	v_mov_b32_e32 v60, v0
.LBB29_23:
	s_or_b32 exec_lo, exec_lo, s26
	v_and_b32_e32 v0, 0xffff0000, v114
	s_and_saveexec_b32 s0, s55
	s_delay_alu instid0(SALU_CYCLE_1)
	s_xor_b32 s56, exec_lo, s0
	s_cbranch_execz .LBB29_25
; %bb.24:
	s_wait_loadcnt 0x7
	v_mov_b32_e32 v1, v77
	s_swap_pc_i64 s[30:31], s[50:51]
	v_mov_b32_e32 v61, v0
                                        ; implicit-def: $vgpr0
.LBB29_25:
	s_and_not1_saveexec_b32 s26, s56
	s_cbranch_execz .LBB29_27
; %bb.26:
	s_wait_loadcnt 0x7
	v_mov_b32_e32 v1, v77
	s_swap_pc_i64 s[30:31], s[52:53]
	v_mov_b32_e32 v61, v0
.LBB29_27:
	s_or_b32 exec_lo, exec_lo, s26
	v_lshlrev_b32_e32 v0, 16, v115
	s_and_saveexec_b32 s0, s55
	s_delay_alu instid0(SALU_CYCLE_1)
	s_xor_b32 s56, exec_lo, s0
	s_cbranch_execz .LBB29_29
; %bb.28:
	s_wait_loadcnt 0x7
	v_mov_b32_e32 v1, v78
	s_swap_pc_i64 s[30:31], s[50:51]
	v_mov_b32_e32 v62, v0
                                        ; implicit-def: $vgpr0
.LBB29_29:
	s_and_not1_saveexec_b32 s26, s56
	s_cbranch_execz .LBB29_31
; %bb.30:
	s_wait_loadcnt 0x7
	v_mov_b32_e32 v1, v78
	s_swap_pc_i64 s[30:31], s[52:53]
	v_mov_b32_e32 v62, v0
.LBB29_31:
	s_or_b32 exec_lo, exec_lo, s26
	v_and_b32_e32 v0, 0xffff0000, v115
	s_and_saveexec_b32 s0, s55
	s_delay_alu instid0(SALU_CYCLE_1)
	s_xor_b32 s56, exec_lo, s0
	s_cbranch_execz .LBB29_33
; %bb.32:
	s_wait_loadcnt 0x7
	v_mov_b32_e32 v1, v79
	s_swap_pc_i64 s[30:31], s[50:51]
	v_mov_b32_e32 v63, v0
                                        ; implicit-def: $vgpr0
                                        ; implicit-def: $vgpr79
.LBB29_33:
	s_and_not1_saveexec_b32 s26, s56
	s_cbranch_execz .LBB29_35
; %bb.34:
	s_wait_loadcnt 0x7
	v_mov_b32_e32 v1, v79
	s_swap_pc_i64 s[30:31], s[52:53]
	v_mov_b32_e32 v63, v0
.LBB29_35:
	s_or_b32 exec_lo, exec_lo, s26
	s_wait_loadcnt 0xa
	v_lshlrev_b32_e32 v0, 16, v108
                                        ; implicit-def: $vgpr76
	s_and_saveexec_b32 s0, s55
	s_delay_alu instid0(SALU_CYCLE_1)
	s_xor_b32 s56, exec_lo, s0
	s_cbranch_execz .LBB29_37
; %bb.36:
	s_wait_loadcnt 0x4
	v_mov_b32_e32 v1, v88
	s_swap_pc_i64 s[30:31], s[50:51]
	v_mov_b32_e32 v76, v0
                                        ; implicit-def: $vgpr0
.LBB29_37:
	s_and_not1_saveexec_b32 s26, s56
	s_cbranch_execz .LBB29_39
; %bb.38:
	s_wait_loadcnt 0x4
	v_mov_b32_e32 v1, v88
	s_swap_pc_i64 s[30:31], s[52:53]
	v_mov_b32_e32 v76, v0
.LBB29_39:
	s_or_b32 exec_lo, exec_lo, s26
	v_and_b32_e32 v0, 0xffff0000, v108
	s_and_saveexec_b32 s0, s55
	s_delay_alu instid0(SALU_CYCLE_1)
	s_xor_b32 s56, exec_lo, s0
	s_cbranch_execz .LBB29_41
; %bb.40:
	s_wait_loadcnt 0x4
	v_mov_b32_e32 v1, v89
	s_swap_pc_i64 s[30:31], s[50:51]
	v_mov_b32_e32 v77, v0
                                        ; implicit-def: $vgpr0
.LBB29_41:
	s_and_not1_saveexec_b32 s26, s56
	s_cbranch_execz .LBB29_43
; %bb.42:
	s_wait_loadcnt 0x4
	v_mov_b32_e32 v1, v89
	s_swap_pc_i64 s[30:31], s[52:53]
	v_mov_b32_e32 v77, v0
.LBB29_43:
	s_or_b32 exec_lo, exec_lo, s26
	v_lshlrev_b32_e32 v0, 16, v109
	s_and_saveexec_b32 s0, s55
	s_delay_alu instid0(SALU_CYCLE_1)
	s_xor_b32 s56, exec_lo, s0
	s_cbranch_execz .LBB29_45
; %bb.44:
	s_wait_loadcnt 0x4
	v_mov_b32_e32 v1, v90
	s_swap_pc_i64 s[30:31], s[50:51]
	v_mov_b32_e32 v78, v0
                                        ; implicit-def: $vgpr0
.LBB29_45:
	s_and_not1_saveexec_b32 s26, s56
	s_cbranch_execz .LBB29_47
; %bb.46:
	s_wait_loadcnt 0x4
	v_mov_b32_e32 v1, v90
	s_swap_pc_i64 s[30:31], s[52:53]
	v_mov_b32_e32 v78, v0
.LBB29_47:
	s_or_b32 exec_lo, exec_lo, s26
	v_and_b32_e32 v0, 0xffff0000, v109
	s_and_saveexec_b32 s0, s55
	s_delay_alu instid0(SALU_CYCLE_1)
	s_xor_b32 s56, exec_lo, s0
	s_cbranch_execz .LBB29_49
; %bb.48:
	s_wait_loadcnt 0x4
	v_mov_b32_e32 v1, v91
	s_swap_pc_i64 s[30:31], s[50:51]
	v_mov_b32_e32 v79, v0
                                        ; implicit-def: $vgpr0
                                        ; implicit-def: $vgpr91
.LBB29_49:
	s_and_not1_saveexec_b32 s26, s56
	s_cbranch_execz .LBB29_51
; %bb.50:
	s_wait_loadcnt 0x4
	v_mov_b32_e32 v1, v91
	s_swap_pc_i64 s[30:31], s[52:53]
	v_mov_b32_e32 v79, v0
.LBB29_51:
	s_or_b32 exec_lo, exec_lo, s26
	v_lshlrev_b32_e32 v0, 16, v110
                                        ; implicit-def: $vgpr88
	s_and_saveexec_b32 s0, s55
	s_delay_alu instid0(SALU_CYCLE_1)
	s_xor_b32 s56, exec_lo, s0
	s_cbranch_execz .LBB29_53
; %bb.52:
	s_wait_loadcnt 0x5
	v_mov_b32_e32 v1, v96
	s_swap_pc_i64 s[30:31], s[50:51]
	v_mov_b32_e32 v88, v0
                                        ; implicit-def: $vgpr0
.LBB29_53:
	s_and_not1_saveexec_b32 s26, s56
	s_cbranch_execz .LBB29_55
; %bb.54:
	s_wait_loadcnt 0x5
	v_mov_b32_e32 v1, v96
	s_swap_pc_i64 s[30:31], s[52:53]
	v_mov_b32_e32 v88, v0
.LBB29_55:
	s_or_b32 exec_lo, exec_lo, s26
	v_and_b32_e32 v0, 0xffff0000, v110
	s_and_saveexec_b32 s0, s55
	s_delay_alu instid0(SALU_CYCLE_1)
	s_xor_b32 s56, exec_lo, s0
	s_cbranch_execz .LBB29_57
; %bb.56:
	s_wait_loadcnt 0x5
	v_mov_b32_e32 v1, v97
	s_swap_pc_i64 s[30:31], s[50:51]
	v_mov_b32_e32 v89, v0
                                        ; implicit-def: $vgpr0
.LBB29_57:
	s_and_not1_saveexec_b32 s26, s56
	s_cbranch_execz .LBB29_59
; %bb.58:
	s_wait_loadcnt 0x5
	v_mov_b32_e32 v1, v97
	s_swap_pc_i64 s[30:31], s[52:53]
	v_mov_b32_e32 v89, v0
.LBB29_59:
	s_or_b32 exec_lo, exec_lo, s26
	v_lshlrev_b32_e32 v0, 16, v111
	s_and_saveexec_b32 s0, s55
	s_delay_alu instid0(SALU_CYCLE_1)
	s_xor_b32 s56, exec_lo, s0
	s_cbranch_execz .LBB29_61
; %bb.60:
	s_wait_loadcnt 0x5
	v_mov_b32_e32 v1, v98
	s_swap_pc_i64 s[30:31], s[50:51]
	v_mov_b32_e32 v90, v0
                                        ; implicit-def: $vgpr0
.LBB29_61:
	s_and_not1_saveexec_b32 s26, s56
	s_cbranch_execz .LBB29_63
; %bb.62:
	s_wait_loadcnt 0x5
	v_mov_b32_e32 v1, v98
	s_swap_pc_i64 s[30:31], s[52:53]
	v_mov_b32_e32 v90, v0
.LBB29_63:
	s_or_b32 exec_lo, exec_lo, s26
	v_and_b32_e32 v0, 0xffff0000, v111
	s_and_saveexec_b32 s0, s55
	s_delay_alu instid0(SALU_CYCLE_1)
	s_xor_b32 s56, exec_lo, s0
	s_cbranch_execz .LBB29_65
; %bb.64:
	s_wait_loadcnt 0x5
	v_mov_b32_e32 v1, v99
	s_swap_pc_i64 s[30:31], s[50:51]
	v_mov_b32_e32 v91, v0
                                        ; implicit-def: $vgpr0
                                        ; implicit-def: $vgpr99
.LBB29_65:
	s_and_not1_saveexec_b32 s26, s56
	s_cbranch_execz .LBB29_67
; %bb.66:
	s_wait_loadcnt 0x5
	v_mov_b32_e32 v1, v99
	s_swap_pc_i64 s[30:31], s[52:53]
	v_mov_b32_e32 v91, v0
.LBB29_67:
	s_or_b32 exec_lo, exec_lo, s26
	s_wait_loadcnt 0x9
	v_lshlrev_b32_e32 v0, 16, v104
                                        ; implicit-def: $vgpr96
	s_and_saveexec_b32 s0, s55
	s_delay_alu instid0(SALU_CYCLE_1)
	s_xor_b32 s56, exec_lo, s0
	s_cbranch_execz .LBB29_69
; %bb.68:
	s_wait_loadcnt 0x2
	v_mov_b32_e32 v1, v92
	s_swap_pc_i64 s[30:31], s[50:51]
	v_mov_b32_e32 v96, v0
                                        ; implicit-def: $vgpr0
.LBB29_69:
	s_and_not1_saveexec_b32 s26, s56
	s_cbranch_execz .LBB29_71
; %bb.70:
	s_wait_loadcnt 0x2
	v_mov_b32_e32 v1, v92
	s_swap_pc_i64 s[30:31], s[52:53]
	v_mov_b32_e32 v96, v0
.LBB29_71:
	s_or_b32 exec_lo, exec_lo, s26
	v_and_b32_e32 v0, 0xffff0000, v104
	s_and_saveexec_b32 s0, s55
	s_delay_alu instid0(SALU_CYCLE_1)
	s_xor_b32 s56, exec_lo, s0
	s_cbranch_execz .LBB29_73
; %bb.72:
	s_wait_loadcnt 0x2
	v_mov_b32_e32 v1, v93
	s_swap_pc_i64 s[30:31], s[50:51]
	v_mov_b32_e32 v97, v0
                                        ; implicit-def: $vgpr0
.LBB29_73:
	s_and_not1_saveexec_b32 s26, s56
	s_cbranch_execz .LBB29_75
; %bb.74:
	s_wait_loadcnt 0x2
	v_mov_b32_e32 v1, v93
	s_swap_pc_i64 s[30:31], s[52:53]
	v_mov_b32_e32 v97, v0
.LBB29_75:
	s_or_b32 exec_lo, exec_lo, s26
	v_lshlrev_b32_e32 v0, 16, v105
	s_and_saveexec_b32 s0, s55
	s_delay_alu instid0(SALU_CYCLE_1)
	s_xor_b32 s56, exec_lo, s0
	s_cbranch_execz .LBB29_77
; %bb.76:
	s_wait_loadcnt 0x2
	v_mov_b32_e32 v1, v94
	s_swap_pc_i64 s[30:31], s[50:51]
	v_mov_b32_e32 v98, v0
                                        ; implicit-def: $vgpr0
.LBB29_77:
	s_and_not1_saveexec_b32 s26, s56
	s_cbranch_execz .LBB29_79
; %bb.78:
	s_wait_loadcnt 0x2
	v_mov_b32_e32 v1, v94
	s_swap_pc_i64 s[30:31], s[52:53]
	v_mov_b32_e32 v98, v0
.LBB29_79:
	s_or_b32 exec_lo, exec_lo, s26
	v_and_b32_e32 v0, 0xffff0000, v105
	s_and_saveexec_b32 s0, s55
	s_delay_alu instid0(SALU_CYCLE_1)
	s_xor_b32 s56, exec_lo, s0
	s_cbranch_execz .LBB29_81
; %bb.80:
	s_wait_loadcnt 0x2
	v_mov_b32_e32 v1, v95
	s_swap_pc_i64 s[30:31], s[50:51]
	v_mov_b32_e32 v99, v0
                                        ; implicit-def: $vgpr0
                                        ; implicit-def: $vgpr95
.LBB29_81:
	s_and_not1_saveexec_b32 s26, s56
	s_cbranch_execz .LBB29_83
; %bb.82:
	s_wait_loadcnt 0x2
	v_mov_b32_e32 v1, v95
	s_swap_pc_i64 s[30:31], s[52:53]
	v_mov_b32_e32 v99, v0
.LBB29_83:
	s_or_b32 exec_lo, exec_lo, s26
	v_lshlrev_b32_e32 v0, 16, v106
                                        ; implicit-def: $vgpr92
	s_and_saveexec_b32 s0, s55
	s_delay_alu instid0(SALU_CYCLE_1)
	s_xor_b32 s56, exec_lo, s0
	s_cbranch_execz .LBB29_85
; %bb.84:
	s_wait_loadcnt 0x3
	v_mov_b32_e32 v1, v84
	s_swap_pc_i64 s[30:31], s[50:51]
	v_mov_b32_e32 v92, v0
                                        ; implicit-def: $vgpr0
.LBB29_85:
	s_and_not1_saveexec_b32 s26, s56
	s_cbranch_execz .LBB29_87
; %bb.86:
	s_wait_loadcnt 0x3
	v_mov_b32_e32 v1, v84
	s_swap_pc_i64 s[30:31], s[52:53]
	v_mov_b32_e32 v92, v0
.LBB29_87:
	s_or_b32 exec_lo, exec_lo, s26
	v_and_b32_e32 v0, 0xffff0000, v106
	s_and_saveexec_b32 s0, s55
	s_delay_alu instid0(SALU_CYCLE_1)
	s_xor_b32 s56, exec_lo, s0
	s_cbranch_execz .LBB29_89
; %bb.88:
	s_wait_loadcnt 0x3
	v_mov_b32_e32 v1, v85
	s_swap_pc_i64 s[30:31], s[50:51]
	v_mov_b32_e32 v93, v0
                                        ; implicit-def: $vgpr0
.LBB29_89:
	s_and_not1_saveexec_b32 s26, s56
	s_cbranch_execz .LBB29_91
; %bb.90:
	s_wait_loadcnt 0x3
	v_mov_b32_e32 v1, v85
	s_swap_pc_i64 s[30:31], s[52:53]
	v_mov_b32_e32 v93, v0
.LBB29_91:
	s_or_b32 exec_lo, exec_lo, s26
	v_lshlrev_b32_e32 v0, 16, v107
	s_and_saveexec_b32 s0, s55
	s_delay_alu instid0(SALU_CYCLE_1)
	s_xor_b32 s56, exec_lo, s0
	s_cbranch_execz .LBB29_93
; %bb.92:
	s_wait_loadcnt 0x3
	v_mov_b32_e32 v1, v86
	s_swap_pc_i64 s[30:31], s[50:51]
	v_mov_b32_e32 v94, v0
                                        ; implicit-def: $vgpr0
.LBB29_93:
	s_and_not1_saveexec_b32 s26, s56
	s_cbranch_execz .LBB29_95
; %bb.94:
	s_wait_loadcnt 0x3
	v_mov_b32_e32 v1, v86
	s_swap_pc_i64 s[30:31], s[52:53]
	v_mov_b32_e32 v94, v0
.LBB29_95:
	s_or_b32 exec_lo, exec_lo, s26
	v_and_b32_e32 v0, 0xffff0000, v107
	s_and_saveexec_b32 s0, s55
	s_delay_alu instid0(SALU_CYCLE_1)
	s_xor_b32 s56, exec_lo, s0
	s_cbranch_execz .LBB29_97
; %bb.96:
	s_wait_loadcnt 0x3
	v_mov_b32_e32 v1, v87
	s_swap_pc_i64 s[30:31], s[50:51]
	v_mov_b32_e32 v95, v0
                                        ; implicit-def: $vgpr0
                                        ; implicit-def: $vgpr87
.LBB29_97:
	s_and_not1_saveexec_b32 s26, s56
	s_cbranch_execz .LBB29_99
; %bb.98:
	s_wait_loadcnt 0x3
	v_mov_b32_e32 v1, v87
	s_swap_pc_i64 s[30:31], s[52:53]
	v_mov_b32_e32 v95, v0
.LBB29_99:
	s_or_b32 exec_lo, exec_lo, s26
	s_wait_loadcnt 0x8
	v_lshlrev_b32_e32 v0, 16, v100
                                        ; implicit-def: $vgpr84
	s_and_saveexec_b32 s0, s55
	s_delay_alu instid0(SALU_CYCLE_1)
	s_xor_b32 s56, exec_lo, s0
	s_cbranch_execz .LBB29_101
; %bb.100:
	s_wait_loadcnt 0x0
	v_mov_b32_e32 v1, v72
	s_swap_pc_i64 s[30:31], s[50:51]
	v_mov_b32_e32 v84, v0
                                        ; implicit-def: $vgpr0
.LBB29_101:
	s_and_not1_saveexec_b32 s26, s56
	s_cbranch_execz .LBB29_103
; %bb.102:
	s_wait_loadcnt 0x0
	v_mov_b32_e32 v1, v72
	s_swap_pc_i64 s[30:31], s[52:53]
	v_mov_b32_e32 v84, v0
.LBB29_103:
	s_or_b32 exec_lo, exec_lo, s26
	v_and_b32_e32 v0, 0xffff0000, v100
	s_and_saveexec_b32 s0, s55
	s_delay_alu instid0(SALU_CYCLE_1)
	s_xor_b32 s56, exec_lo, s0
	s_cbranch_execz .LBB29_105
; %bb.104:
	s_wait_loadcnt 0x0
	v_mov_b32_e32 v1, v73
	s_swap_pc_i64 s[30:31], s[50:51]
	v_mov_b32_e32 v85, v0
                                        ; implicit-def: $vgpr0
.LBB29_105:
	s_and_not1_saveexec_b32 s26, s56
	s_cbranch_execz .LBB29_107
; %bb.106:
	s_wait_loadcnt 0x0
	v_mov_b32_e32 v1, v73
	s_swap_pc_i64 s[30:31], s[52:53]
	v_mov_b32_e32 v85, v0
.LBB29_107:
	s_or_b32 exec_lo, exec_lo, s26
	v_lshlrev_b32_e32 v0, 16, v101
	s_and_saveexec_b32 s0, s55
	s_delay_alu instid0(SALU_CYCLE_1)
	s_xor_b32 s56, exec_lo, s0
	s_cbranch_execz .LBB29_109
; %bb.108:
	s_wait_loadcnt 0x0
	v_mov_b32_e32 v1, v74
	s_swap_pc_i64 s[30:31], s[50:51]
	v_mov_b32_e32 v86, v0
                                        ; implicit-def: $vgpr0
.LBB29_109:
	s_and_not1_saveexec_b32 s26, s56
	s_cbranch_execz .LBB29_111
; %bb.110:
	s_wait_loadcnt 0x0
	v_mov_b32_e32 v1, v74
	s_swap_pc_i64 s[30:31], s[52:53]
	v_mov_b32_e32 v86, v0
.LBB29_111:
	s_or_b32 exec_lo, exec_lo, s26
	v_and_b32_e32 v0, 0xffff0000, v101
	s_and_saveexec_b32 s0, s55
	s_delay_alu instid0(SALU_CYCLE_1)
	s_xor_b32 s56, exec_lo, s0
	s_cbranch_execz .LBB29_113
; %bb.112:
	s_wait_loadcnt 0x0
	v_mov_b32_e32 v1, v75
	s_swap_pc_i64 s[30:31], s[50:51]
	v_mov_b32_e32 v87, v0
                                        ; implicit-def: $vgpr0
                                        ; implicit-def: $vgpr75
.LBB29_113:
	s_and_not1_saveexec_b32 s26, s56
	s_cbranch_execz .LBB29_115
; %bb.114:
	s_wait_loadcnt 0x0
	v_mov_b32_e32 v1, v75
	s_swap_pc_i64 s[30:31], s[52:53]
	v_mov_b32_e32 v87, v0
.LBB29_115:
	s_or_b32 exec_lo, exec_lo, s26
	v_lshlrev_b32_e32 v0, 16, v102
                                        ; implicit-def: $vgpr72
	s_and_saveexec_b32 s0, s55
	s_delay_alu instid0(SALU_CYCLE_1)
	s_xor_b32 s56, exec_lo, s0
	s_cbranch_execz .LBB29_117
; %bb.116:
	s_wait_loadcnt 0x1
	v_mov_b32_e32 v1, v42
	s_swap_pc_i64 s[30:31], s[50:51]
	v_mov_b32_e32 v72, v0
                                        ; implicit-def: $vgpr0
.LBB29_117:
	s_and_not1_saveexec_b32 s26, s56
	s_cbranch_execz .LBB29_119
; %bb.118:
	s_wait_loadcnt 0x1
	v_mov_b32_e32 v1, v42
	s_swap_pc_i64 s[30:31], s[52:53]
	v_mov_b32_e32 v72, v0
.LBB29_119:
	s_or_b32 exec_lo, exec_lo, s26
	v_and_b32_e32 v0, 0xffff0000, v102
	s_and_saveexec_b32 s0, s55
	s_delay_alu instid0(SALU_CYCLE_1)
	s_xor_b32 s56, exec_lo, s0
	s_cbranch_execz .LBB29_121
; %bb.120:
	s_wait_loadcnt 0x1
	v_mov_b32_e32 v1, v43
	s_swap_pc_i64 s[30:31], s[50:51]
	v_mov_b32_e32 v73, v0
                                        ; implicit-def: $vgpr0
.LBB29_121:
	s_and_not1_saveexec_b32 s26, s56
	s_cbranch_execz .LBB29_123
; %bb.122:
	s_wait_loadcnt 0x1
	v_mov_b32_e32 v1, v43
	s_swap_pc_i64 s[30:31], s[52:53]
	v_mov_b32_e32 v73, v0
.LBB29_123:
	s_or_b32 exec_lo, exec_lo, s26
	v_lshlrev_b32_e32 v0, 16, v103
	s_and_saveexec_b32 s0, s55
	s_delay_alu instid0(SALU_CYCLE_1)
	s_xor_b32 s56, exec_lo, s0
	s_cbranch_execz .LBB29_125
; %bb.124:
	s_wait_loadcnt 0x1
	v_mov_b32_e32 v1, v44
	s_swap_pc_i64 s[30:31], s[50:51]
	v_mov_b32_e32 v74, v0
                                        ; implicit-def: $vgpr0
.LBB29_125:
	s_and_not1_saveexec_b32 s26, s56
	s_cbranch_execz .LBB29_127
; %bb.126:
	s_wait_loadcnt 0x1
	v_mov_b32_e32 v1, v44
	s_swap_pc_i64 s[30:31], s[52:53]
	v_mov_b32_e32 v74, v0
.LBB29_127:
	s_or_b32 exec_lo, exec_lo, s26
	v_and_b32_e32 v0, 0xffff0000, v103
	s_and_saveexec_b32 s0, s55
	s_delay_alu instid0(SALU_CYCLE_1)
	s_xor_b32 s55, exec_lo, s0
	s_cbranch_execz .LBB29_129
; %bb.128:
	s_wait_loadcnt 0x1
	v_mov_b32_e32 v1, v45
	s_swap_pc_i64 s[30:31], s[50:51]
	v_mov_b32_e32 v75, v0
                                        ; implicit-def: $vgpr0
                                        ; implicit-def: $vgpr45
.LBB29_129:
	s_and_not1_saveexec_b32 s26, s55
	s_cbranch_execz .LBB29_131
; %bb.130:
	s_wait_loadcnt 0x1
	v_mov_b32_e32 v1, v45
	s_swap_pc_i64 s[30:31], s[52:53]
	v_mov_b32_e32 v75, v0
.LBB29_131:
	s_or_b32 exec_lo, exec_lo, s26
	s_add_nc_u64 s[2:3], s[36:37], s[48:49]
	s_wait_loadcnt 0x6
	s_clause 0x2
	global_store_b128 v116, v[56:59], s[2:3]
	global_store_b128 v116, v[60:63], s[2:3] offset:16
	global_store_b128 v116, v[76:79], s[2:3] offset:16384
	s_wait_loadcnt 0x4
	s_clause 0x1
	global_store_b128 v116, v[88:91], s[2:3] offset:16400
	global_store_b128 v116, v[96:99], s[2:3] offset:32768
	s_wait_loadcnt 0x2
	s_clause 0x1
	global_store_b128 v116, v[92:95], s[2:3] offset:32784
	global_store_b128 v116, v[84:87], s[2:3] offset:49152
	s_wait_loadcnt 0x0
	global_store_b128 v116, v[72:75], s[2:3] offset:49168
	s_branch .LBB29_2
.LBB29_132:
	s_clause 0x1
	s_load_b32 s6, s[34:35], 0x24
	s_load_b128 s[0:3], s[34:35], 0x28
	ds_load_u8 v0, v47
	v_dual_mov_b32 v31, v46 :: v_dual_mov_b32 v1, s36
	v_dual_mov_b32 v2, s37 :: v_dual_mov_b32 v3, s38
	;; [unrolled: 1-line block ×4, first 2 shown]
	s_add_nc_u64 s[8:9], s[34:35], 56
	s_get_pc_i64 s[4:5]
	s_add_nc_u64 s[4:5], s[4:5], _ZN2at6native25elementwise_kernel_helperILb1EN12_GLOBAL__N_110CalcIgammaIfEENS0_6memory8policies11unroll_baseILi512ESt5arrayIPcLm3EE23TrivialOffsetCalculatorILi2EjESB_ILi1EjENS5_12LoadWithCastILi2EEENS5_13StoreWithCastILi1EEELi32ELi1EEEEEvT0_T1_@rel64+4
	s_wait_kmcnt 0x0
	s_bfe_u32 s7, s6, 0x80008
	v_dual_mov_b32 v8, s6 :: v_dual_mov_b32 v10, s0
	v_dual_mov_b32 v11, s1 :: v_dual_mov_b32 v12, s2
	;; [unrolled: 1-line block ×3, first 2 shown]
	s_swap_pc_i64 s[30:31], s[4:5]
	s_endpgm
	.section	.rodata,"a",@progbits
	.p2align	6, 0x0
	.amdhsa_kernel _ZN2at6native39vectorized_templated_elementwise_kernelILi8EN12_GLOBAL__N_110CalcIgammaIfEESt5arrayIPcLm3EE23TrivialOffsetCalculatorILi2EjES8_ILi1EjENS0_6memory12LoadWithCastILi2EEENSB_13StoreWithCastILi1EEEfJN3c108BFloat16EfEEEviT0_T1_T2_T3_T4_T5_
		.amdhsa_group_segment_fixed_size 1024
		.amdhsa_private_segment_fixed_size 448
		.amdhsa_kernarg_size 312
		.amdhsa_user_sgpr_count 4
		.amdhsa_user_sgpr_dispatch_ptr 1
		.amdhsa_user_sgpr_queue_ptr 0
		.amdhsa_user_sgpr_kernarg_segment_ptr 1
		.amdhsa_user_sgpr_dispatch_id 0
		.amdhsa_user_sgpr_kernarg_preload_length 0
		.amdhsa_user_sgpr_kernarg_preload_offset 0
		.amdhsa_user_sgpr_private_segment_size 0
		.amdhsa_wavefront_size32 1
		.amdhsa_uses_dynamic_stack 0
		.amdhsa_enable_private_segment 1
		.amdhsa_system_sgpr_workgroup_id_x 1
		.amdhsa_system_sgpr_workgroup_id_y 0
		.amdhsa_system_sgpr_workgroup_id_z 0
		.amdhsa_system_sgpr_workgroup_info 0
		.amdhsa_system_vgpr_workitem_id 2
		.amdhsa_next_free_vgpr 214
		.amdhsa_next_free_sgpr 96
		.amdhsa_named_barrier_count 0
		.amdhsa_reserve_vcc 1
		.amdhsa_float_round_mode_32 0
		.amdhsa_float_round_mode_16_64 0
		.amdhsa_float_denorm_mode_32 3
		.amdhsa_float_denorm_mode_16_64 3
		.amdhsa_fp16_overflow 0
		.amdhsa_memory_ordered 1
		.amdhsa_forward_progress 1
		.amdhsa_inst_pref_size 23
		.amdhsa_round_robin_scheduling 0
		.amdhsa_exception_fp_ieee_invalid_op 0
		.amdhsa_exception_fp_denorm_src 0
		.amdhsa_exception_fp_ieee_div_zero 0
		.amdhsa_exception_fp_ieee_overflow 0
		.amdhsa_exception_fp_ieee_underflow 0
		.amdhsa_exception_fp_ieee_inexact 0
		.amdhsa_exception_int_div_zero 0
	.end_amdhsa_kernel
	.section	.text._ZN2at6native39vectorized_templated_elementwise_kernelILi8EN12_GLOBAL__N_110CalcIgammaIfEESt5arrayIPcLm3EE23TrivialOffsetCalculatorILi2EjES8_ILi1EjENS0_6memory12LoadWithCastILi2EEENSB_13StoreWithCastILi1EEEfJN3c108BFloat16EfEEEviT0_T1_T2_T3_T4_T5_,"axG",@progbits,_ZN2at6native39vectorized_templated_elementwise_kernelILi8EN12_GLOBAL__N_110CalcIgammaIfEESt5arrayIPcLm3EE23TrivialOffsetCalculatorILi2EjES8_ILi1EjENS0_6memory12LoadWithCastILi2EEENSB_13StoreWithCastILi1EEEfJN3c108BFloat16EfEEEviT0_T1_T2_T3_T4_T5_,comdat
.Lfunc_end29:
	.size	_ZN2at6native39vectorized_templated_elementwise_kernelILi8EN12_GLOBAL__N_110CalcIgammaIfEESt5arrayIPcLm3EE23TrivialOffsetCalculatorILi2EjES8_ILi1EjENS0_6memory12LoadWithCastILi2EEENSB_13StoreWithCastILi1EEEfJN3c108BFloat16EfEEEviT0_T1_T2_T3_T4_T5_, .Lfunc_end29-_ZN2at6native39vectorized_templated_elementwise_kernelILi8EN12_GLOBAL__N_110CalcIgammaIfEESt5arrayIPcLm3EE23TrivialOffsetCalculatorILi2EjES8_ILi1EjENS0_6memory12LoadWithCastILi2EEENSB_13StoreWithCastILi1EEEfJN3c108BFloat16EfEEEviT0_T1_T2_T3_T4_T5_
                                        ; -- End function
	.set _ZN2at6native39vectorized_templated_elementwise_kernelILi8EN12_GLOBAL__N_110CalcIgammaIfEESt5arrayIPcLm3EE23TrivialOffsetCalculatorILi2EjES8_ILi1EjENS0_6memory12LoadWithCastILi2EEENSB_13StoreWithCastILi1EEEfJN3c108BFloat16EfEEEviT0_T1_T2_T3_T4_T5_.num_vgpr, max(117, .L_ZN12_GLOBAL__N_111calc_igammaIfEET_S1_S1_.num_vgpr, .L_ZN12_GLOBAL__N_112calc_igammacIfEET_S1_S1_.num_vgpr, .L_ZN2at6native25elementwise_kernel_helperILb1EN12_GLOBAL__N_110CalcIgammaIfEENS0_6memory8policies11unroll_baseILi512ESt5arrayIPcLm3EE23TrivialOffsetCalculatorILi2EjESB_ILi1EjENS5_12LoadWithCastILi2EEENS5_13StoreWithCastILi1EEELi32ELi1EEEEEvT0_T1_.num_vgpr)
	.set _ZN2at6native39vectorized_templated_elementwise_kernelILi8EN12_GLOBAL__N_110CalcIgammaIfEESt5arrayIPcLm3EE23TrivialOffsetCalculatorILi2EjES8_ILi1EjENS0_6memory12LoadWithCastILi2EEENSB_13StoreWithCastILi1EEEfJN3c108BFloat16EfEEEviT0_T1_T2_T3_T4_T5_.num_agpr, max(0, .L_ZN12_GLOBAL__N_111calc_igammaIfEET_S1_S1_.num_agpr, .L_ZN12_GLOBAL__N_112calc_igammacIfEET_S1_S1_.num_agpr, .L_ZN2at6native25elementwise_kernel_helperILb1EN12_GLOBAL__N_110CalcIgammaIfEENS0_6memory8policies11unroll_baseILi512ESt5arrayIPcLm3EE23TrivialOffsetCalculatorILi2EjESB_ILi1EjENS5_12LoadWithCastILi2EEENS5_13StoreWithCastILi1EEELi32ELi1EEEEEvT0_T1_.num_agpr)
	.set _ZN2at6native39vectorized_templated_elementwise_kernelILi8EN12_GLOBAL__N_110CalcIgammaIfEESt5arrayIPcLm3EE23TrivialOffsetCalculatorILi2EjES8_ILi1EjENS0_6memory12LoadWithCastILi2EEENSB_13StoreWithCastILi1EEEfJN3c108BFloat16EfEEEviT0_T1_T2_T3_T4_T5_.numbered_sgpr, max(57, .L_ZN12_GLOBAL__N_111calc_igammaIfEET_S1_S1_.numbered_sgpr, .L_ZN12_GLOBAL__N_112calc_igammacIfEET_S1_S1_.numbered_sgpr, .L_ZN2at6native25elementwise_kernel_helperILb1EN12_GLOBAL__N_110CalcIgammaIfEENS0_6memory8policies11unroll_baseILi512ESt5arrayIPcLm3EE23TrivialOffsetCalculatorILi2EjESB_ILi1EjENS5_12LoadWithCastILi2EEENS5_13StoreWithCastILi1EEELi32ELi1EEEEEvT0_T1_.numbered_sgpr)
	.set _ZN2at6native39vectorized_templated_elementwise_kernelILi8EN12_GLOBAL__N_110CalcIgammaIfEESt5arrayIPcLm3EE23TrivialOffsetCalculatorILi2EjES8_ILi1EjENS0_6memory12LoadWithCastILi2EEENSB_13StoreWithCastILi1EEEfJN3c108BFloat16EfEEEviT0_T1_T2_T3_T4_T5_.num_named_barrier, max(0, .L_ZN12_GLOBAL__N_111calc_igammaIfEET_S1_S1_.num_named_barrier, .L_ZN12_GLOBAL__N_112calc_igammacIfEET_S1_S1_.num_named_barrier, .L_ZN2at6native25elementwise_kernel_helperILb1EN12_GLOBAL__N_110CalcIgammaIfEENS0_6memory8policies11unroll_baseILi512ESt5arrayIPcLm3EE23TrivialOffsetCalculatorILi2EjESB_ILi1EjENS5_12LoadWithCastILi2EEENS5_13StoreWithCastILi1EEELi32ELi1EEEEEvT0_T1_.num_named_barrier)
	.set _ZN2at6native39vectorized_templated_elementwise_kernelILi8EN12_GLOBAL__N_110CalcIgammaIfEESt5arrayIPcLm3EE23TrivialOffsetCalculatorILi2EjES8_ILi1EjENS0_6memory12LoadWithCastILi2EEENSB_13StoreWithCastILi1EEEfJN3c108BFloat16EfEEEviT0_T1_T2_T3_T4_T5_.private_seg_size, 0+max(.L_ZN12_GLOBAL__N_111calc_igammaIfEET_S1_S1_.private_seg_size, .L_ZN12_GLOBAL__N_112calc_igammacIfEET_S1_S1_.private_seg_size, .L_ZN2at6native25elementwise_kernel_helperILb1EN12_GLOBAL__N_110CalcIgammaIfEENS0_6memory8policies11unroll_baseILi512ESt5arrayIPcLm3EE23TrivialOffsetCalculatorILi2EjESB_ILi1EjENS5_12LoadWithCastILi2EEENS5_13StoreWithCastILi1EEELi32ELi1EEEEEvT0_T1_.private_seg_size)
	.set _ZN2at6native39vectorized_templated_elementwise_kernelILi8EN12_GLOBAL__N_110CalcIgammaIfEESt5arrayIPcLm3EE23TrivialOffsetCalculatorILi2EjES8_ILi1EjENS0_6memory12LoadWithCastILi2EEENSB_13StoreWithCastILi1EEEfJN3c108BFloat16EfEEEviT0_T1_T2_T3_T4_T5_.uses_vcc, or(1, .L_ZN12_GLOBAL__N_111calc_igammaIfEET_S1_S1_.uses_vcc, .L_ZN12_GLOBAL__N_112calc_igammacIfEET_S1_S1_.uses_vcc, .L_ZN2at6native25elementwise_kernel_helperILb1EN12_GLOBAL__N_110CalcIgammaIfEENS0_6memory8policies11unroll_baseILi512ESt5arrayIPcLm3EE23TrivialOffsetCalculatorILi2EjESB_ILi1EjENS5_12LoadWithCastILi2EEENS5_13StoreWithCastILi1EEELi32ELi1EEEEEvT0_T1_.uses_vcc)
	.set _ZN2at6native39vectorized_templated_elementwise_kernelILi8EN12_GLOBAL__N_110CalcIgammaIfEESt5arrayIPcLm3EE23TrivialOffsetCalculatorILi2EjES8_ILi1EjENS0_6memory12LoadWithCastILi2EEENSB_13StoreWithCastILi1EEEfJN3c108BFloat16EfEEEviT0_T1_T2_T3_T4_T5_.uses_flat_scratch, or(0, .L_ZN12_GLOBAL__N_111calc_igammaIfEET_S1_S1_.uses_flat_scratch, .L_ZN12_GLOBAL__N_112calc_igammacIfEET_S1_S1_.uses_flat_scratch, .L_ZN2at6native25elementwise_kernel_helperILb1EN12_GLOBAL__N_110CalcIgammaIfEENS0_6memory8policies11unroll_baseILi512ESt5arrayIPcLm3EE23TrivialOffsetCalculatorILi2EjESB_ILi1EjENS5_12LoadWithCastILi2EEENS5_13StoreWithCastILi1EEELi32ELi1EEEEEvT0_T1_.uses_flat_scratch)
	.set _ZN2at6native39vectorized_templated_elementwise_kernelILi8EN12_GLOBAL__N_110CalcIgammaIfEESt5arrayIPcLm3EE23TrivialOffsetCalculatorILi2EjES8_ILi1EjENS0_6memory12LoadWithCastILi2EEENSB_13StoreWithCastILi1EEEfJN3c108BFloat16EfEEEviT0_T1_T2_T3_T4_T5_.has_dyn_sized_stack, or(0, .L_ZN12_GLOBAL__N_111calc_igammaIfEET_S1_S1_.has_dyn_sized_stack, .L_ZN12_GLOBAL__N_112calc_igammacIfEET_S1_S1_.has_dyn_sized_stack, .L_ZN2at6native25elementwise_kernel_helperILb1EN12_GLOBAL__N_110CalcIgammaIfEENS0_6memory8policies11unroll_baseILi512ESt5arrayIPcLm3EE23TrivialOffsetCalculatorILi2EjESB_ILi1EjENS5_12LoadWithCastILi2EEENS5_13StoreWithCastILi1EEELi32ELi1EEEEEvT0_T1_.has_dyn_sized_stack)
	.set _ZN2at6native39vectorized_templated_elementwise_kernelILi8EN12_GLOBAL__N_110CalcIgammaIfEESt5arrayIPcLm3EE23TrivialOffsetCalculatorILi2EjES8_ILi1EjENS0_6memory12LoadWithCastILi2EEENSB_13StoreWithCastILi1EEEfJN3c108BFloat16EfEEEviT0_T1_T2_T3_T4_T5_.has_recursion, or(0, .L_ZN12_GLOBAL__N_111calc_igammaIfEET_S1_S1_.has_recursion, .L_ZN12_GLOBAL__N_112calc_igammacIfEET_S1_S1_.has_recursion, .L_ZN2at6native25elementwise_kernel_helperILb1EN12_GLOBAL__N_110CalcIgammaIfEENS0_6memory8policies11unroll_baseILi512ESt5arrayIPcLm3EE23TrivialOffsetCalculatorILi2EjESB_ILi1EjENS5_12LoadWithCastILi2EEENS5_13StoreWithCastILi1EEELi32ELi1EEEEEvT0_T1_.has_recursion)
	.set _ZN2at6native39vectorized_templated_elementwise_kernelILi8EN12_GLOBAL__N_110CalcIgammaIfEESt5arrayIPcLm3EE23TrivialOffsetCalculatorILi2EjES8_ILi1EjENS0_6memory12LoadWithCastILi2EEENSB_13StoreWithCastILi1EEEfJN3c108BFloat16EfEEEviT0_T1_T2_T3_T4_T5_.has_indirect_call, or(0, .L_ZN12_GLOBAL__N_111calc_igammaIfEET_S1_S1_.has_indirect_call, .L_ZN12_GLOBAL__N_112calc_igammacIfEET_S1_S1_.has_indirect_call, .L_ZN2at6native25elementwise_kernel_helperILb1EN12_GLOBAL__N_110CalcIgammaIfEENS0_6memory8policies11unroll_baseILi512ESt5arrayIPcLm3EE23TrivialOffsetCalculatorILi2EjESB_ILi1EjENS5_12LoadWithCastILi2EEENS5_13StoreWithCastILi1EEELi32ELi1EEEEEvT0_T1_.has_indirect_call)
	.section	.AMDGPU.csdata,"",@progbits
; Kernel info:
; codeLenInByte = 2880
; TotalNumSgprs: 98
; NumVgprs: 214
; ScratchSize: 448
; MemoryBound: 0
; FloatMode: 240
; IeeeMode: 1
; LDSByteSize: 1024 bytes/workgroup (compile time only)
; SGPRBlocks: 0
; VGPRBlocks: 13
; NumSGPRsForWavesPerEU: 98
; NumVGPRsForWavesPerEU: 214
; NamedBarCnt: 0
; Occupancy: 4
; WaveLimiterHint : 0
; COMPUTE_PGM_RSRC2:SCRATCH_EN: 1
; COMPUTE_PGM_RSRC2:USER_SGPR: 4
; COMPUTE_PGM_RSRC2:TRAP_HANDLER: 0
; COMPUTE_PGM_RSRC2:TGID_X_EN: 1
; COMPUTE_PGM_RSRC2:TGID_Y_EN: 0
; COMPUTE_PGM_RSRC2:TGID_Z_EN: 0
; COMPUTE_PGM_RSRC2:TIDIG_COMP_CNT: 2
	.section	.text._ZN2at6native39vectorized_templated_elementwise_kernelILi4EN12_GLOBAL__N_110CalcIgammaIfEESt5arrayIPcLm3EE23TrivialOffsetCalculatorILi2EjES8_ILi1EjENS0_6memory12LoadWithCastILi2EEENSB_13StoreWithCastILi1EEEfJN3c108BFloat16EfEEEviT0_T1_T2_T3_T4_T5_,"axG",@progbits,_ZN2at6native39vectorized_templated_elementwise_kernelILi4EN12_GLOBAL__N_110CalcIgammaIfEESt5arrayIPcLm3EE23TrivialOffsetCalculatorILi2EjES8_ILi1EjENS0_6memory12LoadWithCastILi2EEENSB_13StoreWithCastILi1EEEfJN3c108BFloat16EfEEEviT0_T1_T2_T3_T4_T5_,comdat
	.globl	_ZN2at6native39vectorized_templated_elementwise_kernelILi4EN12_GLOBAL__N_110CalcIgammaIfEESt5arrayIPcLm3EE23TrivialOffsetCalculatorILi2EjES8_ILi1EjENS0_6memory12LoadWithCastILi2EEENSB_13StoreWithCastILi1EEEfJN3c108BFloat16EfEEEviT0_T1_T2_T3_T4_T5_ ; -- Begin function _ZN2at6native39vectorized_templated_elementwise_kernelILi4EN12_GLOBAL__N_110CalcIgammaIfEESt5arrayIPcLm3EE23TrivialOffsetCalculatorILi2EjES8_ILi1EjENS0_6memory12LoadWithCastILi2EEENSB_13StoreWithCastILi1EEEfJN3c108BFloat16EfEEEviT0_T1_T2_T3_T4_T5_
	.p2align	8
	.type	_ZN2at6native39vectorized_templated_elementwise_kernelILi4EN12_GLOBAL__N_110CalcIgammaIfEESt5arrayIPcLm3EE23TrivialOffsetCalculatorILi2EjES8_ILi1EjENS0_6memory12LoadWithCastILi2EEENSB_13StoreWithCastILi1EEEfJN3c108BFloat16EfEEEviT0_T1_T2_T3_T4_T5_,@function
_ZN2at6native39vectorized_templated_elementwise_kernelILi4EN12_GLOBAL__N_110CalcIgammaIfEESt5arrayIPcLm3EE23TrivialOffsetCalculatorILi2EjES8_ILi1EjENS0_6memory12LoadWithCastILi2EEENSB_13StoreWithCastILi1EEEfJN3c108BFloat16EfEEEviT0_T1_T2_T3_T4_T5_: ; @_ZN2at6native39vectorized_templated_elementwise_kernelILi4EN12_GLOBAL__N_110CalcIgammaIfEESt5arrayIPcLm3EE23TrivialOffsetCalculatorILi2EjES8_ILi1EjENS0_6memory12LoadWithCastILi2EEENSB_13StoreWithCastILi1EEEfJN3c108BFloat16EfEEEviT0_T1_T2_T3_T4_T5_
; %bb.0:
	s_mov_b64 s[34:35], s[2:3]
	s_load_b64 s[2:3], s[0:1], 0x4
	s_clause 0x2
	s_load_b64 s[4:5], s[34:35], 0x0
	s_load_b64 s[46:47], s[34:35], 0x18
	s_load_b32 s6, s[34:35], 0x38
	s_wait_xcnt 0x0
	s_bfe_u32 s1, ttmp6, 0x4000c
	s_and_b32 s0, ttmp6, 15
	s_add_co_i32 s1, s1, 1
	s_load_b128 s[36:39], s[34:35], 0x8
	s_mul_i32 s1, ttmp9, s1
	s_getreg_b32 s7, hwreg(HW_REG_IB_STS2, 6, 4)
	s_add_co_i32 s0, s0, s1
	s_mov_b32 s32, 0
	s_wait_kmcnt 0x0
	s_lshr_b32 s2, s2, 16
	s_and_b32 s1, s5, 1
	v_mov_b32_e32 v100, v0
	s_mul_i32 s2, s2, s3
	s_cmp_eq_u32 s7, 0
	s_cselect_b32 s0, ttmp9, s0
	s_delay_alu instid0(VALU_DEP_1) | instskip(SKIP_3) | instid1(VALU_DEP_3)
	v_and_b32_e32 v114, 0x3ff, v100
	v_bfe_u32 v0, v100, 10, 10
	v_bfe_u32 v2, v100, 20, 10
	s_not_b32 s0, s0
	v_mul_lo_u32 v1, s2, v114
	s_delay_alu instid0(VALU_DEP_3) | instskip(SKIP_1) | instid1(SALU_CYCLE_1)
	v_mul_u32_u24_e32 v0, s3, v0
	s_add_co_i32 s6, s6, s0
	s_lshl_b32 s0, s6, 14
	s_delay_alu instid0(SALU_CYCLE_1) | instskip(NEXT) | instid1(SALU_CYCLE_1)
	s_sub_co_i32 s54, s4, s0
	s_cmp_gt_i32 s54, 0x3fff
	s_delay_alu instid0(VALU_DEP_2)
	v_add3_u32 v101, v1, v0, v2
	v_mov_b32_e32 v0, s1
	s_mov_b32 s1, -1
	ds_store_b8 v101, v0
	s_cbranch_scc1 .LBB30_3
; %bb.1:
	s_and_b32 vcc_lo, exec_lo, s1
	s_cbranch_vccnz .LBB30_132
.LBB30_2:
	s_endpgm
.LBB30_3:
	s_ashr_i32 s1, s0, 31
	s_get_pc_i64 s[50:51]
	s_add_nc_u64 s[50:51], s[50:51], _ZN12_GLOBAL__N_111calc_igammaIfEET_S1_S1_@rel64+4
	s_lshl_b64 s[2:3], s[0:1], 1
	s_lshl_b64 s[48:49], s[0:1], 2
	s_add_nc_u64 s[2:3], s[38:39], s[2:3]
	s_add_nc_u64 s[0:1], s[46:47], s[48:49]
	s_clause 0xf
	global_load_b64 v[60:61], v114, s[2:3] scale_offset
	global_load_b64 v[62:63], v114, s[2:3] offset:4096 scale_offset
	global_load_b64 v[112:113], v114, s[2:3] offset:8192 scale_offset
	;; [unrolled: 1-line block ×7, first 2 shown]
	global_load_b128 v[44:47], v114, s[0:1] scale_offset
	global_load_b128 v[76:79], v114, s[0:1] offset:8192 scale_offset
	global_load_b128 v[88:91], v114, s[0:1] offset:16384 scale_offset
	global_load_b128 v[96:99], v114, s[0:1] offset:24576 scale_offset
	global_load_b128 v[92:95], v114, s[0:1] offset:32768 scale_offset
	global_load_b128 v[84:87], v114, s[0:1] offset:40960 scale_offset
	global_load_b128 v[72:75], v114, s[0:1] offset:49152 scale_offset
	global_load_b128 v[56:59], v114, s[0:1] offset:57344 scale_offset
	ds_load_u8 v0, v101
                                        ; implicit-def: $vgpr42
	s_wait_dscnt 0x0
	v_and_b32_e32 v1, 1, v0
	s_delay_alu instid0(VALU_DEP_1)
	v_cmp_eq_u32_e32 vcc_lo, 1, v1
	ds_store_b8 v101, v1 offset:512
	s_xor_b32 s55, vcc_lo, -1
	s_wait_loadcnt 0xf
	v_lshlrev_b32_e32 v0, 16, v60
	s_wait_xcnt 0x0
	s_and_saveexec_b32 s0, s55
	s_delay_alu instid0(SALU_CYCLE_1)
	s_xor_b32 s52, exec_lo, s0
	s_cbranch_execz .LBB30_5
; %bb.4:
	s_wait_loadcnt 0x7
	v_mov_b32_e32 v1, v44
	s_swap_pc_i64 s[30:31], s[50:51]
	v_mov_b32_e32 v42, v0
                                        ; implicit-def: $vgpr0
.LBB30_5:
	s_or_saveexec_b32 s26, s52
	s_get_pc_i64 s[52:53]
	s_add_nc_u64 s[52:53], s[52:53], _ZN12_GLOBAL__N_112calc_igammacIfEET_S1_S1_@rel64+4
	s_xor_b32 exec_lo, exec_lo, s26
	s_cbranch_execz .LBB30_7
; %bb.6:
	s_wait_loadcnt 0x7
	v_mov_b32_e32 v1, v44
	s_swap_pc_i64 s[30:31], s[52:53]
	v_mov_b32_e32 v42, v0
.LBB30_7:
	s_or_b32 exec_lo, exec_lo, s26
	v_and_b32_e32 v0, 0xffff0000, v60
	s_and_saveexec_b32 s0, s55
	s_delay_alu instid0(SALU_CYCLE_1)
	s_xor_b32 s56, exec_lo, s0
	s_cbranch_execz .LBB30_9
; %bb.8:
	s_wait_loadcnt 0x7
	v_mov_b32_e32 v1, v45
	s_swap_pc_i64 s[30:31], s[50:51]
	v_mov_b32_e32 v43, v0
                                        ; implicit-def: $vgpr0
.LBB30_9:
	s_and_not1_saveexec_b32 s26, s56
	s_cbranch_execz .LBB30_11
; %bb.10:
	s_wait_loadcnt 0x7
	v_mov_b32_e32 v1, v45
	s_swap_pc_i64 s[30:31], s[52:53]
	v_mov_b32_e32 v43, v0
.LBB30_11:
	s_or_b32 exec_lo, exec_lo, s26
	v_lshlrev_b32_e32 v0, 16, v61
	s_and_saveexec_b32 s0, s55
	s_delay_alu instid0(SALU_CYCLE_1)
	s_xor_b32 s56, exec_lo, s0
	s_cbranch_execz .LBB30_13
; %bb.12:
	s_wait_loadcnt 0x7
	v_mov_b32_e32 v1, v46
	s_swap_pc_i64 s[30:31], s[50:51]
	v_mov_b32_e32 v44, v0
                                        ; implicit-def: $vgpr0
.LBB30_13:
	s_and_not1_saveexec_b32 s26, s56
	s_cbranch_execz .LBB30_15
; %bb.14:
	s_wait_loadcnt 0x7
	v_mov_b32_e32 v1, v46
	s_swap_pc_i64 s[30:31], s[52:53]
	v_mov_b32_e32 v44, v0
.LBB30_15:
	s_or_b32 exec_lo, exec_lo, s26
	v_and_b32_e32 v0, 0xffff0000, v61
	s_and_saveexec_b32 s0, s55
	s_delay_alu instid0(SALU_CYCLE_1)
	s_xor_b32 s56, exec_lo, s0
	s_cbranch_execz .LBB30_17
; %bb.16:
	s_wait_loadcnt 0x7
	v_mov_b32_e32 v1, v47
	s_swap_pc_i64 s[30:31], s[50:51]
	v_mov_b32_e32 v45, v0
                                        ; implicit-def: $vgpr0
                                        ; implicit-def: $vgpr47
.LBB30_17:
	s_and_not1_saveexec_b32 s26, s56
	s_cbranch_execz .LBB30_19
; %bb.18:
	s_wait_loadcnt 0x7
	v_mov_b32_e32 v1, v47
	s_swap_pc_i64 s[30:31], s[52:53]
	v_mov_b32_e32 v45, v0
.LBB30_19:
	s_or_b32 exec_lo, exec_lo, s26
	s_wait_loadcnt 0xe
	v_lshlrev_b32_e32 v0, 16, v62
                                        ; implicit-def: $vgpr60
	s_and_saveexec_b32 s0, s55
	s_delay_alu instid0(SALU_CYCLE_1)
	s_xor_b32 s56, exec_lo, s0
	s_cbranch_execz .LBB30_21
; %bb.20:
	s_wait_loadcnt 0x6
	v_mov_b32_e32 v1, v76
	s_swap_pc_i64 s[30:31], s[50:51]
	v_mov_b32_e32 v60, v0
                                        ; implicit-def: $vgpr0
.LBB30_21:
	s_and_not1_saveexec_b32 s26, s56
	s_cbranch_execz .LBB30_23
; %bb.22:
	s_wait_loadcnt 0x6
	v_mov_b32_e32 v1, v76
	s_swap_pc_i64 s[30:31], s[52:53]
	v_mov_b32_e32 v60, v0
.LBB30_23:
	s_or_b32 exec_lo, exec_lo, s26
	v_and_b32_e32 v0, 0xffff0000, v62
	s_and_saveexec_b32 s0, s55
	s_delay_alu instid0(SALU_CYCLE_1)
	s_xor_b32 s56, exec_lo, s0
	s_cbranch_execz .LBB30_25
; %bb.24:
	s_wait_loadcnt 0x6
	v_mov_b32_e32 v1, v77
	s_swap_pc_i64 s[30:31], s[50:51]
	v_mov_b32_e32 v61, v0
                                        ; implicit-def: $vgpr0
.LBB30_25:
	s_and_not1_saveexec_b32 s26, s56
	s_cbranch_execz .LBB30_27
; %bb.26:
	s_wait_loadcnt 0x6
	v_mov_b32_e32 v1, v77
	s_swap_pc_i64 s[30:31], s[52:53]
	v_mov_b32_e32 v61, v0
.LBB30_27:
	s_or_b32 exec_lo, exec_lo, s26
	v_lshlrev_b32_e32 v0, 16, v63
	s_and_saveexec_b32 s0, s55
	s_delay_alu instid0(SALU_CYCLE_1)
	s_xor_b32 s56, exec_lo, s0
	s_cbranch_execz .LBB30_29
; %bb.28:
	s_wait_loadcnt 0x6
	v_mov_b32_e32 v1, v78
	s_swap_pc_i64 s[30:31], s[50:51]
	v_mov_b32_e32 v62, v0
                                        ; implicit-def: $vgpr0
.LBB30_29:
	s_and_not1_saveexec_b32 s26, s56
	s_cbranch_execz .LBB30_31
; %bb.30:
	s_wait_loadcnt 0x6
	v_mov_b32_e32 v1, v78
	s_swap_pc_i64 s[30:31], s[52:53]
	v_mov_b32_e32 v62, v0
.LBB30_31:
	s_or_b32 exec_lo, exec_lo, s26
	v_and_b32_e32 v0, 0xffff0000, v63
	s_and_saveexec_b32 s0, s55
	s_delay_alu instid0(SALU_CYCLE_1)
	s_xor_b32 s56, exec_lo, s0
	s_cbranch_execz .LBB30_33
; %bb.32:
	s_wait_loadcnt 0x6
	v_mov_b32_e32 v1, v79
	s_swap_pc_i64 s[30:31], s[50:51]
	v_mov_b32_e32 v63, v0
                                        ; implicit-def: $vgpr0
                                        ; implicit-def: $vgpr79
.LBB30_33:
	s_and_not1_saveexec_b32 s26, s56
	s_cbranch_execz .LBB30_35
; %bb.34:
	s_wait_loadcnt 0x6
	v_mov_b32_e32 v1, v79
	s_swap_pc_i64 s[30:31], s[52:53]
	v_mov_b32_e32 v63, v0
.LBB30_35:
	s_or_b32 exec_lo, exec_lo, s26
	s_wait_loadcnt 0xd
	v_lshlrev_b32_e32 v0, 16, v112
                                        ; implicit-def: $vgpr76
	s_and_saveexec_b32 s0, s55
	s_delay_alu instid0(SALU_CYCLE_1)
	s_xor_b32 s56, exec_lo, s0
	s_cbranch_execz .LBB30_37
; %bb.36:
	s_wait_loadcnt 0x5
	v_mov_b32_e32 v1, v88
	s_swap_pc_i64 s[30:31], s[50:51]
	v_mov_b32_e32 v76, v0
                                        ; implicit-def: $vgpr0
.LBB30_37:
	s_and_not1_saveexec_b32 s26, s56
	s_cbranch_execz .LBB30_39
; %bb.38:
	s_wait_loadcnt 0x5
	v_mov_b32_e32 v1, v88
	s_swap_pc_i64 s[30:31], s[52:53]
	v_mov_b32_e32 v76, v0
.LBB30_39:
	s_or_b32 exec_lo, exec_lo, s26
	v_and_b32_e32 v0, 0xffff0000, v112
	s_and_saveexec_b32 s0, s55
	s_delay_alu instid0(SALU_CYCLE_1)
	s_xor_b32 s56, exec_lo, s0
	s_cbranch_execz .LBB30_41
; %bb.40:
	s_wait_loadcnt 0x5
	v_mov_b32_e32 v1, v89
	s_swap_pc_i64 s[30:31], s[50:51]
	v_mov_b32_e32 v77, v0
                                        ; implicit-def: $vgpr0
.LBB30_41:
	s_and_not1_saveexec_b32 s26, s56
	s_cbranch_execz .LBB30_43
; %bb.42:
	s_wait_loadcnt 0x5
	v_mov_b32_e32 v1, v89
	s_swap_pc_i64 s[30:31], s[52:53]
	v_mov_b32_e32 v77, v0
.LBB30_43:
	s_or_b32 exec_lo, exec_lo, s26
	v_lshlrev_b32_e32 v0, 16, v113
	s_and_saveexec_b32 s0, s55
	s_delay_alu instid0(SALU_CYCLE_1)
	s_xor_b32 s56, exec_lo, s0
	s_cbranch_execz .LBB30_45
; %bb.44:
	s_wait_loadcnt 0x5
	v_mov_b32_e32 v1, v90
	s_swap_pc_i64 s[30:31], s[50:51]
	v_mov_b32_e32 v78, v0
                                        ; implicit-def: $vgpr0
.LBB30_45:
	s_and_not1_saveexec_b32 s26, s56
	s_cbranch_execz .LBB30_47
; %bb.46:
	s_wait_loadcnt 0x5
	v_mov_b32_e32 v1, v90
	s_swap_pc_i64 s[30:31], s[52:53]
	v_mov_b32_e32 v78, v0
.LBB30_47:
	s_or_b32 exec_lo, exec_lo, s26
	v_and_b32_e32 v0, 0xffff0000, v113
	s_and_saveexec_b32 s0, s55
	s_delay_alu instid0(SALU_CYCLE_1)
	s_xor_b32 s56, exec_lo, s0
	s_cbranch_execz .LBB30_49
; %bb.48:
	s_wait_loadcnt 0x5
	v_mov_b32_e32 v1, v91
	s_swap_pc_i64 s[30:31], s[50:51]
	v_mov_b32_e32 v79, v0
                                        ; implicit-def: $vgpr0
                                        ; implicit-def: $vgpr91
.LBB30_49:
	s_and_not1_saveexec_b32 s26, s56
	s_cbranch_execz .LBB30_51
; %bb.50:
	s_wait_loadcnt 0x5
	v_mov_b32_e32 v1, v91
	s_swap_pc_i64 s[30:31], s[52:53]
	v_mov_b32_e32 v79, v0
.LBB30_51:
	s_or_b32 exec_lo, exec_lo, s26
	s_wait_loadcnt 0xc
	v_lshlrev_b32_e32 v0, 16, v110
                                        ; implicit-def: $vgpr88
	s_and_saveexec_b32 s0, s55
	s_delay_alu instid0(SALU_CYCLE_1)
	s_xor_b32 s56, exec_lo, s0
	s_cbranch_execz .LBB30_53
; %bb.52:
	s_wait_loadcnt 0x4
	v_mov_b32_e32 v1, v96
	s_swap_pc_i64 s[30:31], s[50:51]
	v_mov_b32_e32 v88, v0
                                        ; implicit-def: $vgpr0
.LBB30_53:
	s_and_not1_saveexec_b32 s26, s56
	s_cbranch_execz .LBB30_55
; %bb.54:
	s_wait_loadcnt 0x4
	v_mov_b32_e32 v1, v96
	s_swap_pc_i64 s[30:31], s[52:53]
	v_mov_b32_e32 v88, v0
.LBB30_55:
	s_or_b32 exec_lo, exec_lo, s26
	v_and_b32_e32 v0, 0xffff0000, v110
	s_and_saveexec_b32 s0, s55
	s_delay_alu instid0(SALU_CYCLE_1)
	s_xor_b32 s56, exec_lo, s0
	s_cbranch_execz .LBB30_57
; %bb.56:
	s_wait_loadcnt 0x4
	v_mov_b32_e32 v1, v97
	s_swap_pc_i64 s[30:31], s[50:51]
	v_mov_b32_e32 v89, v0
                                        ; implicit-def: $vgpr0
.LBB30_57:
	s_and_not1_saveexec_b32 s26, s56
	s_cbranch_execz .LBB30_59
; %bb.58:
	s_wait_loadcnt 0x4
	v_mov_b32_e32 v1, v97
	s_swap_pc_i64 s[30:31], s[52:53]
	v_mov_b32_e32 v89, v0
.LBB30_59:
	s_or_b32 exec_lo, exec_lo, s26
	v_lshlrev_b32_e32 v0, 16, v111
	s_and_saveexec_b32 s0, s55
	s_delay_alu instid0(SALU_CYCLE_1)
	s_xor_b32 s56, exec_lo, s0
	s_cbranch_execz .LBB30_61
; %bb.60:
	s_wait_loadcnt 0x4
	v_mov_b32_e32 v1, v98
	s_swap_pc_i64 s[30:31], s[50:51]
	v_mov_b32_e32 v90, v0
                                        ; implicit-def: $vgpr0
.LBB30_61:
	s_and_not1_saveexec_b32 s26, s56
	s_cbranch_execz .LBB30_63
; %bb.62:
	s_wait_loadcnt 0x4
	v_mov_b32_e32 v1, v98
	s_swap_pc_i64 s[30:31], s[52:53]
	v_mov_b32_e32 v90, v0
.LBB30_63:
	s_or_b32 exec_lo, exec_lo, s26
	v_and_b32_e32 v0, 0xffff0000, v111
	s_and_saveexec_b32 s0, s55
	s_delay_alu instid0(SALU_CYCLE_1)
	s_xor_b32 s56, exec_lo, s0
	s_cbranch_execz .LBB30_65
; %bb.64:
	s_wait_loadcnt 0x4
	v_mov_b32_e32 v1, v99
	s_swap_pc_i64 s[30:31], s[50:51]
	v_mov_b32_e32 v91, v0
                                        ; implicit-def: $vgpr0
                                        ; implicit-def: $vgpr99
.LBB30_65:
	s_and_not1_saveexec_b32 s26, s56
	s_cbranch_execz .LBB30_67
; %bb.66:
	s_wait_loadcnt 0x4
	v_mov_b32_e32 v1, v99
	s_swap_pc_i64 s[30:31], s[52:53]
	v_mov_b32_e32 v91, v0
.LBB30_67:
	s_or_b32 exec_lo, exec_lo, s26
	s_wait_loadcnt 0xb
	v_lshlrev_b32_e32 v0, 16, v108
                                        ; implicit-def: $vgpr96
	s_and_saveexec_b32 s0, s55
	s_delay_alu instid0(SALU_CYCLE_1)
	s_xor_b32 s56, exec_lo, s0
	s_cbranch_execz .LBB30_69
; %bb.68:
	s_wait_loadcnt 0x3
	v_mov_b32_e32 v1, v92
	s_swap_pc_i64 s[30:31], s[50:51]
	v_mov_b32_e32 v96, v0
                                        ; implicit-def: $vgpr0
.LBB30_69:
	s_and_not1_saveexec_b32 s26, s56
	s_cbranch_execz .LBB30_71
; %bb.70:
	s_wait_loadcnt 0x3
	v_mov_b32_e32 v1, v92
	s_swap_pc_i64 s[30:31], s[52:53]
	v_mov_b32_e32 v96, v0
.LBB30_71:
	s_or_b32 exec_lo, exec_lo, s26
	v_and_b32_e32 v0, 0xffff0000, v108
	s_and_saveexec_b32 s0, s55
	s_delay_alu instid0(SALU_CYCLE_1)
	s_xor_b32 s56, exec_lo, s0
	s_cbranch_execz .LBB30_73
; %bb.72:
	s_wait_loadcnt 0x3
	v_mov_b32_e32 v1, v93
	s_swap_pc_i64 s[30:31], s[50:51]
	v_mov_b32_e32 v97, v0
                                        ; implicit-def: $vgpr0
.LBB30_73:
	s_and_not1_saveexec_b32 s26, s56
	s_cbranch_execz .LBB30_75
; %bb.74:
	s_wait_loadcnt 0x3
	v_mov_b32_e32 v1, v93
	s_swap_pc_i64 s[30:31], s[52:53]
	v_mov_b32_e32 v97, v0
.LBB30_75:
	s_or_b32 exec_lo, exec_lo, s26
	v_lshlrev_b32_e32 v0, 16, v109
	s_and_saveexec_b32 s0, s55
	s_delay_alu instid0(SALU_CYCLE_1)
	s_xor_b32 s56, exec_lo, s0
	s_cbranch_execz .LBB30_77
; %bb.76:
	s_wait_loadcnt 0x3
	v_mov_b32_e32 v1, v94
	s_swap_pc_i64 s[30:31], s[50:51]
	v_mov_b32_e32 v98, v0
                                        ; implicit-def: $vgpr0
.LBB30_77:
	s_and_not1_saveexec_b32 s26, s56
	s_cbranch_execz .LBB30_79
; %bb.78:
	s_wait_loadcnt 0x3
	v_mov_b32_e32 v1, v94
	s_swap_pc_i64 s[30:31], s[52:53]
	v_mov_b32_e32 v98, v0
.LBB30_79:
	s_or_b32 exec_lo, exec_lo, s26
	v_and_b32_e32 v0, 0xffff0000, v109
	s_and_saveexec_b32 s0, s55
	s_delay_alu instid0(SALU_CYCLE_1)
	s_xor_b32 s56, exec_lo, s0
	s_cbranch_execz .LBB30_81
; %bb.80:
	s_wait_loadcnt 0x3
	v_mov_b32_e32 v1, v95
	s_swap_pc_i64 s[30:31], s[50:51]
	v_mov_b32_e32 v99, v0
                                        ; implicit-def: $vgpr0
                                        ; implicit-def: $vgpr95
.LBB30_81:
	s_and_not1_saveexec_b32 s26, s56
	s_cbranch_execz .LBB30_83
; %bb.82:
	s_wait_loadcnt 0x3
	v_mov_b32_e32 v1, v95
	s_swap_pc_i64 s[30:31], s[52:53]
	v_mov_b32_e32 v99, v0
.LBB30_83:
	s_or_b32 exec_lo, exec_lo, s26
	s_wait_loadcnt 0xa
	v_lshlrev_b32_e32 v0, 16, v106
                                        ; implicit-def: $vgpr92
	s_and_saveexec_b32 s0, s55
	s_delay_alu instid0(SALU_CYCLE_1)
	s_xor_b32 s56, exec_lo, s0
	s_cbranch_execz .LBB30_85
; %bb.84:
	s_wait_loadcnt 0x2
	v_mov_b32_e32 v1, v84
	s_swap_pc_i64 s[30:31], s[50:51]
	v_mov_b32_e32 v92, v0
                                        ; implicit-def: $vgpr0
.LBB30_85:
	s_and_not1_saveexec_b32 s26, s56
	s_cbranch_execz .LBB30_87
; %bb.86:
	s_wait_loadcnt 0x2
	v_mov_b32_e32 v1, v84
	s_swap_pc_i64 s[30:31], s[52:53]
	v_mov_b32_e32 v92, v0
.LBB30_87:
	s_or_b32 exec_lo, exec_lo, s26
	v_and_b32_e32 v0, 0xffff0000, v106
	s_and_saveexec_b32 s0, s55
	s_delay_alu instid0(SALU_CYCLE_1)
	s_xor_b32 s56, exec_lo, s0
	s_cbranch_execz .LBB30_89
; %bb.88:
	s_wait_loadcnt 0x2
	v_mov_b32_e32 v1, v85
	s_swap_pc_i64 s[30:31], s[50:51]
	v_mov_b32_e32 v93, v0
                                        ; implicit-def: $vgpr0
.LBB30_89:
	s_and_not1_saveexec_b32 s26, s56
	s_cbranch_execz .LBB30_91
; %bb.90:
	s_wait_loadcnt 0x2
	v_mov_b32_e32 v1, v85
	s_swap_pc_i64 s[30:31], s[52:53]
	v_mov_b32_e32 v93, v0
.LBB30_91:
	s_or_b32 exec_lo, exec_lo, s26
	v_lshlrev_b32_e32 v0, 16, v107
	s_and_saveexec_b32 s0, s55
	s_delay_alu instid0(SALU_CYCLE_1)
	s_xor_b32 s56, exec_lo, s0
	s_cbranch_execz .LBB30_93
; %bb.92:
	s_wait_loadcnt 0x2
	v_mov_b32_e32 v1, v86
	s_swap_pc_i64 s[30:31], s[50:51]
	v_mov_b32_e32 v94, v0
                                        ; implicit-def: $vgpr0
.LBB30_93:
	s_and_not1_saveexec_b32 s26, s56
	s_cbranch_execz .LBB30_95
; %bb.94:
	s_wait_loadcnt 0x2
	v_mov_b32_e32 v1, v86
	s_swap_pc_i64 s[30:31], s[52:53]
	v_mov_b32_e32 v94, v0
.LBB30_95:
	s_or_b32 exec_lo, exec_lo, s26
	v_and_b32_e32 v0, 0xffff0000, v107
	s_and_saveexec_b32 s0, s55
	s_delay_alu instid0(SALU_CYCLE_1)
	s_xor_b32 s56, exec_lo, s0
	s_cbranch_execz .LBB30_97
; %bb.96:
	s_wait_loadcnt 0x2
	v_mov_b32_e32 v1, v87
	s_swap_pc_i64 s[30:31], s[50:51]
	v_mov_b32_e32 v95, v0
                                        ; implicit-def: $vgpr0
                                        ; implicit-def: $vgpr87
.LBB30_97:
	s_and_not1_saveexec_b32 s26, s56
	s_cbranch_execz .LBB30_99
; %bb.98:
	s_wait_loadcnt 0x2
	v_mov_b32_e32 v1, v87
	s_swap_pc_i64 s[30:31], s[52:53]
	v_mov_b32_e32 v95, v0
.LBB30_99:
	s_or_b32 exec_lo, exec_lo, s26
	s_wait_loadcnt 0x9
	v_lshlrev_b32_e32 v0, 16, v104
                                        ; implicit-def: $vgpr84
	s_and_saveexec_b32 s0, s55
	s_delay_alu instid0(SALU_CYCLE_1)
	s_xor_b32 s56, exec_lo, s0
	s_cbranch_execz .LBB30_101
; %bb.100:
	s_wait_loadcnt 0x1
	v_mov_b32_e32 v1, v72
	s_swap_pc_i64 s[30:31], s[50:51]
	v_mov_b32_e32 v84, v0
                                        ; implicit-def: $vgpr0
.LBB30_101:
	s_and_not1_saveexec_b32 s26, s56
	s_cbranch_execz .LBB30_103
; %bb.102:
	s_wait_loadcnt 0x1
	v_mov_b32_e32 v1, v72
	s_swap_pc_i64 s[30:31], s[52:53]
	v_mov_b32_e32 v84, v0
.LBB30_103:
	s_or_b32 exec_lo, exec_lo, s26
	v_and_b32_e32 v0, 0xffff0000, v104
	s_and_saveexec_b32 s0, s55
	s_delay_alu instid0(SALU_CYCLE_1)
	s_xor_b32 s56, exec_lo, s0
	s_cbranch_execz .LBB30_105
; %bb.104:
	s_wait_loadcnt 0x1
	v_mov_b32_e32 v1, v73
	s_swap_pc_i64 s[30:31], s[50:51]
	v_mov_b32_e32 v85, v0
                                        ; implicit-def: $vgpr0
.LBB30_105:
	s_and_not1_saveexec_b32 s26, s56
	s_cbranch_execz .LBB30_107
; %bb.106:
	s_wait_loadcnt 0x1
	v_mov_b32_e32 v1, v73
	s_swap_pc_i64 s[30:31], s[52:53]
	v_mov_b32_e32 v85, v0
.LBB30_107:
	s_or_b32 exec_lo, exec_lo, s26
	v_lshlrev_b32_e32 v0, 16, v105
	s_and_saveexec_b32 s0, s55
	s_delay_alu instid0(SALU_CYCLE_1)
	s_xor_b32 s56, exec_lo, s0
	s_cbranch_execz .LBB30_109
; %bb.108:
	s_wait_loadcnt 0x1
	v_mov_b32_e32 v1, v74
	s_swap_pc_i64 s[30:31], s[50:51]
	v_mov_b32_e32 v86, v0
                                        ; implicit-def: $vgpr0
.LBB30_109:
	s_and_not1_saveexec_b32 s26, s56
	s_cbranch_execz .LBB30_111
; %bb.110:
	s_wait_loadcnt 0x1
	v_mov_b32_e32 v1, v74
	s_swap_pc_i64 s[30:31], s[52:53]
	v_mov_b32_e32 v86, v0
.LBB30_111:
	s_or_b32 exec_lo, exec_lo, s26
	v_and_b32_e32 v0, 0xffff0000, v105
	s_and_saveexec_b32 s0, s55
	s_delay_alu instid0(SALU_CYCLE_1)
	s_xor_b32 s56, exec_lo, s0
	s_cbranch_execz .LBB30_113
; %bb.112:
	s_wait_loadcnt 0x1
	v_mov_b32_e32 v1, v75
	s_swap_pc_i64 s[30:31], s[50:51]
	v_mov_b32_e32 v87, v0
                                        ; implicit-def: $vgpr0
                                        ; implicit-def: $vgpr75
.LBB30_113:
	s_and_not1_saveexec_b32 s26, s56
	s_cbranch_execz .LBB30_115
; %bb.114:
	s_wait_loadcnt 0x1
	v_mov_b32_e32 v1, v75
	s_swap_pc_i64 s[30:31], s[52:53]
	v_mov_b32_e32 v87, v0
.LBB30_115:
	s_or_b32 exec_lo, exec_lo, s26
	s_wait_loadcnt 0x8
	v_lshlrev_b32_e32 v0, 16, v102
                                        ; implicit-def: $vgpr72
	s_and_saveexec_b32 s0, s55
	s_delay_alu instid0(SALU_CYCLE_1)
	s_xor_b32 s56, exec_lo, s0
	s_cbranch_execz .LBB30_117
; %bb.116:
	s_wait_loadcnt 0x0
	v_mov_b32_e32 v1, v56
	s_swap_pc_i64 s[30:31], s[50:51]
	v_mov_b32_e32 v72, v0
                                        ; implicit-def: $vgpr0
.LBB30_117:
	s_and_not1_saveexec_b32 s26, s56
	s_cbranch_execz .LBB30_119
; %bb.118:
	s_wait_loadcnt 0x0
	v_mov_b32_e32 v1, v56
	s_swap_pc_i64 s[30:31], s[52:53]
	v_mov_b32_e32 v72, v0
.LBB30_119:
	s_or_b32 exec_lo, exec_lo, s26
	v_and_b32_e32 v0, 0xffff0000, v102
	s_and_saveexec_b32 s0, s55
	s_delay_alu instid0(SALU_CYCLE_1)
	s_xor_b32 s56, exec_lo, s0
	s_cbranch_execz .LBB30_121
; %bb.120:
	s_wait_loadcnt 0x0
	v_mov_b32_e32 v1, v57
	s_swap_pc_i64 s[30:31], s[50:51]
	v_mov_b32_e32 v73, v0
                                        ; implicit-def: $vgpr0
.LBB30_121:
	s_and_not1_saveexec_b32 s26, s56
	s_cbranch_execz .LBB30_123
; %bb.122:
	s_wait_loadcnt 0x0
	v_mov_b32_e32 v1, v57
	s_swap_pc_i64 s[30:31], s[52:53]
	v_mov_b32_e32 v73, v0
.LBB30_123:
	s_or_b32 exec_lo, exec_lo, s26
	v_lshlrev_b32_e32 v0, 16, v103
	s_and_saveexec_b32 s0, s55
	s_delay_alu instid0(SALU_CYCLE_1)
	s_xor_b32 s56, exec_lo, s0
	s_cbranch_execz .LBB30_125
; %bb.124:
	s_wait_loadcnt 0x0
	v_mov_b32_e32 v1, v58
	s_swap_pc_i64 s[30:31], s[50:51]
	v_mov_b32_e32 v74, v0
                                        ; implicit-def: $vgpr0
.LBB30_125:
	s_and_not1_saveexec_b32 s26, s56
	s_cbranch_execz .LBB30_127
; %bb.126:
	s_wait_loadcnt 0x0
	v_mov_b32_e32 v1, v58
	s_swap_pc_i64 s[30:31], s[52:53]
	v_mov_b32_e32 v74, v0
.LBB30_127:
	s_or_b32 exec_lo, exec_lo, s26
	v_and_b32_e32 v0, 0xffff0000, v103
	s_and_saveexec_b32 s0, s55
	s_delay_alu instid0(SALU_CYCLE_1)
	s_xor_b32 s55, exec_lo, s0
	s_cbranch_execz .LBB30_129
; %bb.128:
	s_wait_loadcnt 0x0
	v_mov_b32_e32 v1, v59
	s_swap_pc_i64 s[30:31], s[50:51]
	v_mov_b32_e32 v75, v0
                                        ; implicit-def: $vgpr0
                                        ; implicit-def: $vgpr59
.LBB30_129:
	s_and_not1_saveexec_b32 s26, s55
	s_cbranch_execz .LBB30_131
; %bb.130:
	s_wait_loadcnt 0x0
	v_mov_b32_e32 v1, v59
	s_swap_pc_i64 s[30:31], s[52:53]
	v_mov_b32_e32 v75, v0
.LBB30_131:
	s_or_b32 exec_lo, exec_lo, s26
	s_add_nc_u64 s[2:3], s[36:37], s[48:49]
	s_wait_loadcnt 0x7
	s_clause 0x1
	global_store_b128 v114, v[42:45], s[2:3] scale_offset
	global_store_b128 v114, v[60:63], s[2:3] offset:8192 scale_offset
	s_wait_loadcnt 0x6
	global_store_b128 v114, v[76:79], s[2:3] offset:16384 scale_offset
	s_wait_loadcnt 0x5
	;; [unrolled: 2-line block ×6, first 2 shown]
	global_store_b128 v114, v[72:75], s[2:3] offset:57344 scale_offset
	s_branch .LBB30_2
.LBB30_132:
	s_clause 0x1
	s_load_b32 s6, s[34:35], 0x24
	s_load_b128 s[0:3], s[34:35], 0x28
	ds_load_u8 v0, v101
	v_dual_mov_b32 v31, v100 :: v_dual_mov_b32 v1, s36
	v_dual_mov_b32 v2, s37 :: v_dual_mov_b32 v3, s38
	;; [unrolled: 1-line block ×4, first 2 shown]
	s_add_nc_u64 s[8:9], s[34:35], 56
	s_get_pc_i64 s[4:5]
	s_add_nc_u64 s[4:5], s[4:5], _ZN2at6native25elementwise_kernel_helperILb1EN12_GLOBAL__N_110CalcIgammaIfEENS0_6memory8policies11unroll_baseILi512ESt5arrayIPcLm3EE23TrivialOffsetCalculatorILi2EjESB_ILi1EjENS5_12LoadWithCastILi2EEENS5_13StoreWithCastILi1EEELi32ELi1EEEEEvT0_T1_@rel64+4
	s_wait_kmcnt 0x0
	s_bfe_u32 s7, s6, 0x80008
	v_dual_mov_b32 v8, s6 :: v_dual_mov_b32 v10, s0
	v_dual_mov_b32 v11, s1 :: v_dual_mov_b32 v12, s2
	;; [unrolled: 1-line block ×3, first 2 shown]
	s_swap_pc_i64 s[30:31], s[4:5]
	s_endpgm
	.section	.rodata,"a",@progbits
	.p2align	6, 0x0
	.amdhsa_kernel _ZN2at6native39vectorized_templated_elementwise_kernelILi4EN12_GLOBAL__N_110CalcIgammaIfEESt5arrayIPcLm3EE23TrivialOffsetCalculatorILi2EjES8_ILi1EjENS0_6memory12LoadWithCastILi2EEENSB_13StoreWithCastILi1EEEfJN3c108BFloat16EfEEEviT0_T1_T2_T3_T4_T5_
		.amdhsa_group_segment_fixed_size 1024
		.amdhsa_private_segment_fixed_size 448
		.amdhsa_kernarg_size 312
		.amdhsa_user_sgpr_count 4
		.amdhsa_user_sgpr_dispatch_ptr 1
		.amdhsa_user_sgpr_queue_ptr 0
		.amdhsa_user_sgpr_kernarg_segment_ptr 1
		.amdhsa_user_sgpr_dispatch_id 0
		.amdhsa_user_sgpr_kernarg_preload_length 0
		.amdhsa_user_sgpr_kernarg_preload_offset 0
		.amdhsa_user_sgpr_private_segment_size 0
		.amdhsa_wavefront_size32 1
		.amdhsa_uses_dynamic_stack 0
		.amdhsa_enable_private_segment 1
		.amdhsa_system_sgpr_workgroup_id_x 1
		.amdhsa_system_sgpr_workgroup_id_y 0
		.amdhsa_system_sgpr_workgroup_id_z 0
		.amdhsa_system_sgpr_workgroup_info 0
		.amdhsa_system_vgpr_workitem_id 2
		.amdhsa_next_free_vgpr 214
		.amdhsa_next_free_sgpr 96
		.amdhsa_named_barrier_count 0
		.amdhsa_reserve_vcc 1
		.amdhsa_float_round_mode_32 0
		.amdhsa_float_round_mode_16_64 0
		.amdhsa_float_denorm_mode_32 3
		.amdhsa_float_denorm_mode_16_64 3
		.amdhsa_fp16_overflow 0
		.amdhsa_memory_ordered 1
		.amdhsa_forward_progress 1
		.amdhsa_inst_pref_size 23
		.amdhsa_round_robin_scheduling 0
		.amdhsa_exception_fp_ieee_invalid_op 0
		.amdhsa_exception_fp_denorm_src 0
		.amdhsa_exception_fp_ieee_div_zero 0
		.amdhsa_exception_fp_ieee_overflow 0
		.amdhsa_exception_fp_ieee_underflow 0
		.amdhsa_exception_fp_ieee_inexact 0
		.amdhsa_exception_int_div_zero 0
	.end_amdhsa_kernel
	.section	.text._ZN2at6native39vectorized_templated_elementwise_kernelILi4EN12_GLOBAL__N_110CalcIgammaIfEESt5arrayIPcLm3EE23TrivialOffsetCalculatorILi2EjES8_ILi1EjENS0_6memory12LoadWithCastILi2EEENSB_13StoreWithCastILi1EEEfJN3c108BFloat16EfEEEviT0_T1_T2_T3_T4_T5_,"axG",@progbits,_ZN2at6native39vectorized_templated_elementwise_kernelILi4EN12_GLOBAL__N_110CalcIgammaIfEESt5arrayIPcLm3EE23TrivialOffsetCalculatorILi2EjES8_ILi1EjENS0_6memory12LoadWithCastILi2EEENSB_13StoreWithCastILi1EEEfJN3c108BFloat16EfEEEviT0_T1_T2_T3_T4_T5_,comdat
.Lfunc_end30:
	.size	_ZN2at6native39vectorized_templated_elementwise_kernelILi4EN12_GLOBAL__N_110CalcIgammaIfEESt5arrayIPcLm3EE23TrivialOffsetCalculatorILi2EjES8_ILi1EjENS0_6memory12LoadWithCastILi2EEENSB_13StoreWithCastILi1EEEfJN3c108BFloat16EfEEEviT0_T1_T2_T3_T4_T5_, .Lfunc_end30-_ZN2at6native39vectorized_templated_elementwise_kernelILi4EN12_GLOBAL__N_110CalcIgammaIfEESt5arrayIPcLm3EE23TrivialOffsetCalculatorILi2EjES8_ILi1EjENS0_6memory12LoadWithCastILi2EEENSB_13StoreWithCastILi1EEEfJN3c108BFloat16EfEEEviT0_T1_T2_T3_T4_T5_
                                        ; -- End function
	.set _ZN2at6native39vectorized_templated_elementwise_kernelILi4EN12_GLOBAL__N_110CalcIgammaIfEESt5arrayIPcLm3EE23TrivialOffsetCalculatorILi2EjES8_ILi1EjENS0_6memory12LoadWithCastILi2EEENSB_13StoreWithCastILi1EEEfJN3c108BFloat16EfEEEviT0_T1_T2_T3_T4_T5_.num_vgpr, max(115, .L_ZN12_GLOBAL__N_111calc_igammaIfEET_S1_S1_.num_vgpr, .L_ZN12_GLOBAL__N_112calc_igammacIfEET_S1_S1_.num_vgpr, .L_ZN2at6native25elementwise_kernel_helperILb1EN12_GLOBAL__N_110CalcIgammaIfEENS0_6memory8policies11unroll_baseILi512ESt5arrayIPcLm3EE23TrivialOffsetCalculatorILi2EjESB_ILi1EjENS5_12LoadWithCastILi2EEENS5_13StoreWithCastILi1EEELi32ELi1EEEEEvT0_T1_.num_vgpr)
	.set _ZN2at6native39vectorized_templated_elementwise_kernelILi4EN12_GLOBAL__N_110CalcIgammaIfEESt5arrayIPcLm3EE23TrivialOffsetCalculatorILi2EjES8_ILi1EjENS0_6memory12LoadWithCastILi2EEENSB_13StoreWithCastILi1EEEfJN3c108BFloat16EfEEEviT0_T1_T2_T3_T4_T5_.num_agpr, max(0, .L_ZN12_GLOBAL__N_111calc_igammaIfEET_S1_S1_.num_agpr, .L_ZN12_GLOBAL__N_112calc_igammacIfEET_S1_S1_.num_agpr, .L_ZN2at6native25elementwise_kernel_helperILb1EN12_GLOBAL__N_110CalcIgammaIfEENS0_6memory8policies11unroll_baseILi512ESt5arrayIPcLm3EE23TrivialOffsetCalculatorILi2EjESB_ILi1EjENS5_12LoadWithCastILi2EEENS5_13StoreWithCastILi1EEELi32ELi1EEEEEvT0_T1_.num_agpr)
	.set _ZN2at6native39vectorized_templated_elementwise_kernelILi4EN12_GLOBAL__N_110CalcIgammaIfEESt5arrayIPcLm3EE23TrivialOffsetCalculatorILi2EjES8_ILi1EjENS0_6memory12LoadWithCastILi2EEENSB_13StoreWithCastILi1EEEfJN3c108BFloat16EfEEEviT0_T1_T2_T3_T4_T5_.numbered_sgpr, max(57, .L_ZN12_GLOBAL__N_111calc_igammaIfEET_S1_S1_.numbered_sgpr, .L_ZN12_GLOBAL__N_112calc_igammacIfEET_S1_S1_.numbered_sgpr, .L_ZN2at6native25elementwise_kernel_helperILb1EN12_GLOBAL__N_110CalcIgammaIfEENS0_6memory8policies11unroll_baseILi512ESt5arrayIPcLm3EE23TrivialOffsetCalculatorILi2EjESB_ILi1EjENS5_12LoadWithCastILi2EEENS5_13StoreWithCastILi1EEELi32ELi1EEEEEvT0_T1_.numbered_sgpr)
	.set _ZN2at6native39vectorized_templated_elementwise_kernelILi4EN12_GLOBAL__N_110CalcIgammaIfEESt5arrayIPcLm3EE23TrivialOffsetCalculatorILi2EjES8_ILi1EjENS0_6memory12LoadWithCastILi2EEENSB_13StoreWithCastILi1EEEfJN3c108BFloat16EfEEEviT0_T1_T2_T3_T4_T5_.num_named_barrier, max(0, .L_ZN12_GLOBAL__N_111calc_igammaIfEET_S1_S1_.num_named_barrier, .L_ZN12_GLOBAL__N_112calc_igammacIfEET_S1_S1_.num_named_barrier, .L_ZN2at6native25elementwise_kernel_helperILb1EN12_GLOBAL__N_110CalcIgammaIfEENS0_6memory8policies11unroll_baseILi512ESt5arrayIPcLm3EE23TrivialOffsetCalculatorILi2EjESB_ILi1EjENS5_12LoadWithCastILi2EEENS5_13StoreWithCastILi1EEELi32ELi1EEEEEvT0_T1_.num_named_barrier)
	.set _ZN2at6native39vectorized_templated_elementwise_kernelILi4EN12_GLOBAL__N_110CalcIgammaIfEESt5arrayIPcLm3EE23TrivialOffsetCalculatorILi2EjES8_ILi1EjENS0_6memory12LoadWithCastILi2EEENSB_13StoreWithCastILi1EEEfJN3c108BFloat16EfEEEviT0_T1_T2_T3_T4_T5_.private_seg_size, 0+max(.L_ZN12_GLOBAL__N_111calc_igammaIfEET_S1_S1_.private_seg_size, .L_ZN12_GLOBAL__N_112calc_igammacIfEET_S1_S1_.private_seg_size, .L_ZN2at6native25elementwise_kernel_helperILb1EN12_GLOBAL__N_110CalcIgammaIfEENS0_6memory8policies11unroll_baseILi512ESt5arrayIPcLm3EE23TrivialOffsetCalculatorILi2EjESB_ILi1EjENS5_12LoadWithCastILi2EEENS5_13StoreWithCastILi1EEELi32ELi1EEEEEvT0_T1_.private_seg_size)
	.set _ZN2at6native39vectorized_templated_elementwise_kernelILi4EN12_GLOBAL__N_110CalcIgammaIfEESt5arrayIPcLm3EE23TrivialOffsetCalculatorILi2EjES8_ILi1EjENS0_6memory12LoadWithCastILi2EEENSB_13StoreWithCastILi1EEEfJN3c108BFloat16EfEEEviT0_T1_T2_T3_T4_T5_.uses_vcc, or(1, .L_ZN12_GLOBAL__N_111calc_igammaIfEET_S1_S1_.uses_vcc, .L_ZN12_GLOBAL__N_112calc_igammacIfEET_S1_S1_.uses_vcc, .L_ZN2at6native25elementwise_kernel_helperILb1EN12_GLOBAL__N_110CalcIgammaIfEENS0_6memory8policies11unroll_baseILi512ESt5arrayIPcLm3EE23TrivialOffsetCalculatorILi2EjESB_ILi1EjENS5_12LoadWithCastILi2EEENS5_13StoreWithCastILi1EEELi32ELi1EEEEEvT0_T1_.uses_vcc)
	.set _ZN2at6native39vectorized_templated_elementwise_kernelILi4EN12_GLOBAL__N_110CalcIgammaIfEESt5arrayIPcLm3EE23TrivialOffsetCalculatorILi2EjES8_ILi1EjENS0_6memory12LoadWithCastILi2EEENSB_13StoreWithCastILi1EEEfJN3c108BFloat16EfEEEviT0_T1_T2_T3_T4_T5_.uses_flat_scratch, or(0, .L_ZN12_GLOBAL__N_111calc_igammaIfEET_S1_S1_.uses_flat_scratch, .L_ZN12_GLOBAL__N_112calc_igammacIfEET_S1_S1_.uses_flat_scratch, .L_ZN2at6native25elementwise_kernel_helperILb1EN12_GLOBAL__N_110CalcIgammaIfEENS0_6memory8policies11unroll_baseILi512ESt5arrayIPcLm3EE23TrivialOffsetCalculatorILi2EjESB_ILi1EjENS5_12LoadWithCastILi2EEENS5_13StoreWithCastILi1EEELi32ELi1EEEEEvT0_T1_.uses_flat_scratch)
	.set _ZN2at6native39vectorized_templated_elementwise_kernelILi4EN12_GLOBAL__N_110CalcIgammaIfEESt5arrayIPcLm3EE23TrivialOffsetCalculatorILi2EjES8_ILi1EjENS0_6memory12LoadWithCastILi2EEENSB_13StoreWithCastILi1EEEfJN3c108BFloat16EfEEEviT0_T1_T2_T3_T4_T5_.has_dyn_sized_stack, or(0, .L_ZN12_GLOBAL__N_111calc_igammaIfEET_S1_S1_.has_dyn_sized_stack, .L_ZN12_GLOBAL__N_112calc_igammacIfEET_S1_S1_.has_dyn_sized_stack, .L_ZN2at6native25elementwise_kernel_helperILb1EN12_GLOBAL__N_110CalcIgammaIfEENS0_6memory8policies11unroll_baseILi512ESt5arrayIPcLm3EE23TrivialOffsetCalculatorILi2EjESB_ILi1EjENS5_12LoadWithCastILi2EEENS5_13StoreWithCastILi1EEELi32ELi1EEEEEvT0_T1_.has_dyn_sized_stack)
	.set _ZN2at6native39vectorized_templated_elementwise_kernelILi4EN12_GLOBAL__N_110CalcIgammaIfEESt5arrayIPcLm3EE23TrivialOffsetCalculatorILi2EjES8_ILi1EjENS0_6memory12LoadWithCastILi2EEENSB_13StoreWithCastILi1EEEfJN3c108BFloat16EfEEEviT0_T1_T2_T3_T4_T5_.has_recursion, or(0, .L_ZN12_GLOBAL__N_111calc_igammaIfEET_S1_S1_.has_recursion, .L_ZN12_GLOBAL__N_112calc_igammacIfEET_S1_S1_.has_recursion, .L_ZN2at6native25elementwise_kernel_helperILb1EN12_GLOBAL__N_110CalcIgammaIfEENS0_6memory8policies11unroll_baseILi512ESt5arrayIPcLm3EE23TrivialOffsetCalculatorILi2EjESB_ILi1EjENS5_12LoadWithCastILi2EEENS5_13StoreWithCastILi1EEELi32ELi1EEEEEvT0_T1_.has_recursion)
	.set _ZN2at6native39vectorized_templated_elementwise_kernelILi4EN12_GLOBAL__N_110CalcIgammaIfEESt5arrayIPcLm3EE23TrivialOffsetCalculatorILi2EjES8_ILi1EjENS0_6memory12LoadWithCastILi2EEENSB_13StoreWithCastILi1EEEfJN3c108BFloat16EfEEEviT0_T1_T2_T3_T4_T5_.has_indirect_call, or(0, .L_ZN12_GLOBAL__N_111calc_igammaIfEET_S1_S1_.has_indirect_call, .L_ZN12_GLOBAL__N_112calc_igammacIfEET_S1_S1_.has_indirect_call, .L_ZN2at6native25elementwise_kernel_helperILb1EN12_GLOBAL__N_110CalcIgammaIfEENS0_6memory8policies11unroll_baseILi512ESt5arrayIPcLm3EE23TrivialOffsetCalculatorILi2EjESB_ILi1EjENS5_12LoadWithCastILi2EEENS5_13StoreWithCastILi1EEELi32ELi1EEEEEvT0_T1_.has_indirect_call)
	.section	.AMDGPU.csdata,"",@progbits
; Kernel info:
; codeLenInByte = 2936
; TotalNumSgprs: 98
; NumVgprs: 214
; ScratchSize: 448
; MemoryBound: 0
; FloatMode: 240
; IeeeMode: 1
; LDSByteSize: 1024 bytes/workgroup (compile time only)
; SGPRBlocks: 0
; VGPRBlocks: 13
; NumSGPRsForWavesPerEU: 98
; NumVGPRsForWavesPerEU: 214
; NamedBarCnt: 0
; Occupancy: 4
; WaveLimiterHint : 0
; COMPUTE_PGM_RSRC2:SCRATCH_EN: 1
; COMPUTE_PGM_RSRC2:USER_SGPR: 4
; COMPUTE_PGM_RSRC2:TRAP_HANDLER: 0
; COMPUTE_PGM_RSRC2:TGID_X_EN: 1
; COMPUTE_PGM_RSRC2:TGID_Y_EN: 0
; COMPUTE_PGM_RSRC2:TGID_Z_EN: 0
; COMPUTE_PGM_RSRC2:TIDIG_COMP_CNT: 2
	.section	.text._ZN2at6native39vectorized_templated_elementwise_kernelILi2EN12_GLOBAL__N_110CalcIgammaIfEESt5arrayIPcLm3EE23TrivialOffsetCalculatorILi2EjES8_ILi1EjENS0_6memory12LoadWithCastILi2EEENSB_13StoreWithCastILi1EEEfJN3c108BFloat16EfEEEviT0_T1_T2_T3_T4_T5_,"axG",@progbits,_ZN2at6native39vectorized_templated_elementwise_kernelILi2EN12_GLOBAL__N_110CalcIgammaIfEESt5arrayIPcLm3EE23TrivialOffsetCalculatorILi2EjES8_ILi1EjENS0_6memory12LoadWithCastILi2EEENSB_13StoreWithCastILi1EEEfJN3c108BFloat16EfEEEviT0_T1_T2_T3_T4_T5_,comdat
	.globl	_ZN2at6native39vectorized_templated_elementwise_kernelILi2EN12_GLOBAL__N_110CalcIgammaIfEESt5arrayIPcLm3EE23TrivialOffsetCalculatorILi2EjES8_ILi1EjENS0_6memory12LoadWithCastILi2EEENSB_13StoreWithCastILi1EEEfJN3c108BFloat16EfEEEviT0_T1_T2_T3_T4_T5_ ; -- Begin function _ZN2at6native39vectorized_templated_elementwise_kernelILi2EN12_GLOBAL__N_110CalcIgammaIfEESt5arrayIPcLm3EE23TrivialOffsetCalculatorILi2EjES8_ILi1EjENS0_6memory12LoadWithCastILi2EEENSB_13StoreWithCastILi1EEEfJN3c108BFloat16EfEEEviT0_T1_T2_T3_T4_T5_
	.p2align	8
	.type	_ZN2at6native39vectorized_templated_elementwise_kernelILi2EN12_GLOBAL__N_110CalcIgammaIfEESt5arrayIPcLm3EE23TrivialOffsetCalculatorILi2EjES8_ILi1EjENS0_6memory12LoadWithCastILi2EEENSB_13StoreWithCastILi1EEEfJN3c108BFloat16EfEEEviT0_T1_T2_T3_T4_T5_,@function
_ZN2at6native39vectorized_templated_elementwise_kernelILi2EN12_GLOBAL__N_110CalcIgammaIfEESt5arrayIPcLm3EE23TrivialOffsetCalculatorILi2EjES8_ILi1EjENS0_6memory12LoadWithCastILi2EEENSB_13StoreWithCastILi1EEEfJN3c108BFloat16EfEEEviT0_T1_T2_T3_T4_T5_: ; @_ZN2at6native39vectorized_templated_elementwise_kernelILi2EN12_GLOBAL__N_110CalcIgammaIfEESt5arrayIPcLm3EE23TrivialOffsetCalculatorILi2EjES8_ILi1EjENS0_6memory12LoadWithCastILi2EEENSB_13StoreWithCastILi1EEEfJN3c108BFloat16EfEEEviT0_T1_T2_T3_T4_T5_
; %bb.0:
	s_mov_b64 s[34:35], s[2:3]
	s_load_b64 s[2:3], s[0:1], 0x4
	s_clause 0x2
	s_load_b64 s[4:5], s[34:35], 0x0
	s_load_b64 s[46:47], s[34:35], 0x18
	s_load_b32 s6, s[34:35], 0x38
	s_wait_xcnt 0x0
	s_bfe_u32 s1, ttmp6, 0x4000c
	s_and_b32 s0, ttmp6, 15
	s_add_co_i32 s1, s1, 1
	s_load_b128 s[36:39], s[34:35], 0x8
	s_mul_i32 s1, ttmp9, s1
	s_getreg_b32 s7, hwreg(HW_REG_IB_STS2, 6, 4)
	s_add_co_i32 s0, s0, s1
	s_mov_b32 s32, 0
	s_wait_kmcnt 0x0
	s_lshr_b32 s2, s2, 16
	s_and_b32 s1, s5, 1
	v_mov_b32_e32 v96, v0
	s_mul_i32 s2, s2, s3
	s_cmp_eq_u32 s7, 0
	s_cselect_b32 s0, ttmp9, s0
	s_delay_alu instid0(VALU_DEP_1) | instskip(SKIP_3) | instid1(VALU_DEP_3)
	v_and_b32_e32 v98, 0x3ff, v96
	v_bfe_u32 v0, v96, 10, 10
	v_bfe_u32 v2, v96, 20, 10
	s_not_b32 s0, s0
	v_mul_lo_u32 v1, s2, v98
	s_delay_alu instid0(VALU_DEP_3) | instskip(SKIP_1) | instid1(SALU_CYCLE_1)
	v_mul_u32_u24_e32 v0, s3, v0
	s_add_co_i32 s6, s6, s0
	s_lshl_b32 s0, s6, 14
	s_delay_alu instid0(SALU_CYCLE_1) | instskip(NEXT) | instid1(SALU_CYCLE_1)
	s_sub_co_i32 s54, s4, s0
	s_cmp_gt_i32 s54, 0x3fff
	s_delay_alu instid0(VALU_DEP_2)
	v_add3_u32 v97, v1, v0, v2
	v_mov_b32_e32 v0, s1
	s_mov_b32 s1, -1
	ds_store_b8 v97, v0
	s_cbranch_scc1 .LBB31_3
; %bb.1:
	s_and_b32 vcc_lo, exec_lo, s1
	s_cbranch_vccnz .LBB31_132
.LBB31_2:
	s_endpgm
.LBB31_3:
	s_ashr_i32 s1, s0, 31
	s_get_pc_i64 s[50:51]
	s_add_nc_u64 s[50:51], s[50:51], _ZN12_GLOBAL__N_111calc_igammaIfEET_S1_S1_@rel64+4
	s_lshl_b64 s[2:3], s[0:1], 1
	s_lshl_b64 s[48:49], s[0:1], 2
	s_add_nc_u64 s[2:3], s[38:39], s[2:3]
	s_add_nc_u64 s[0:1], s[46:47], s[48:49]
	s_clause 0x1f
	global_load_b32 v43, v98, s[2:3] scale_offset
	global_load_b32 v113, v98, s[2:3] offset:2048 scale_offset
	global_load_b32 v112, v98, s[2:3] offset:4096 scale_offset
	;; [unrolled: 1-line block ×15, first 2 shown]
	global_load_b64 v[56:57], v98, s[0:1] scale_offset
	global_load_b64 v[58:59], v98, s[0:1] offset:4096 scale_offset
	global_load_b64 v[62:63], v98, s[0:1] offset:8192 scale_offset
	;; [unrolled: 1-line block ×6, first 2 shown]
	; meta instruction
	global_load_b64 v[94:95], v98, s[0:1] offset:28672 scale_offset
	global_load_b64 v[92:93], v98, s[0:1] offset:32768 scale_offset
	;; [unrolled: 1-line block ×9, first 2 shown]
	ds_load_u8 v0, v97
                                        ; implicit-def: $vgpr42
	s_wait_loadcnt_dscnt 0x1f00
	v_dual_lshlrev_b32 v0, 16, v43 :: v_dual_bitop2_b32 v1, 1, v0 bitop3:0x40
	s_delay_alu instid0(VALU_DEP_1) | instskip(SKIP_4) | instid1(SALU_CYCLE_1)
	v_cmp_eq_u32_e32 vcc_lo, 1, v1
	ds_store_b8 v97, v1 offset:512
	s_xor_b32 s55, vcc_lo, -1
	s_wait_xcnt 0x0
	s_and_saveexec_b32 s0, s55
	s_xor_b32 s52, exec_lo, s0
	s_cbranch_execz .LBB31_5
; %bb.4:
	s_wait_loadcnt 0xf
	v_mov_b32_e32 v1, v56
	s_swap_pc_i64 s[30:31], s[50:51]
	v_mov_b32_e32 v42, v0
                                        ; implicit-def: $vgpr0
.LBB31_5:
	s_or_saveexec_b32 s26, s52
	s_get_pc_i64 s[52:53]
	s_add_nc_u64 s[52:53], s[52:53], _ZN12_GLOBAL__N_112calc_igammacIfEET_S1_S1_@rel64+4
	s_xor_b32 exec_lo, exec_lo, s26
	s_cbranch_execz .LBB31_7
; %bb.6:
	s_wait_loadcnt 0xf
	v_mov_b32_e32 v1, v56
	s_swap_pc_i64 s[30:31], s[52:53]
	v_mov_b32_e32 v42, v0
.LBB31_7:
	s_or_b32 exec_lo, exec_lo, s26
	v_and_b32_e32 v0, 0xffff0000, v43
	s_and_saveexec_b32 s0, s55
	s_delay_alu instid0(SALU_CYCLE_1)
	s_xor_b32 s56, exec_lo, s0
	s_cbranch_execz .LBB31_9
; %bb.8:
	s_wait_loadcnt 0xf
	v_mov_b32_e32 v1, v57
	s_swap_pc_i64 s[30:31], s[50:51]
	v_mov_b32_e32 v43, v0
                                        ; implicit-def: $vgpr0
                                        ; implicit-def: $vgpr57
.LBB31_9:
	s_and_not1_saveexec_b32 s26, s56
	s_cbranch_execz .LBB31_11
; %bb.10:
	s_wait_loadcnt 0xf
	v_mov_b32_e32 v1, v57
	s_swap_pc_i64 s[30:31], s[52:53]
	v_mov_b32_e32 v43, v0
.LBB31_11:
	s_or_b32 exec_lo, exec_lo, s26
	s_wait_loadcnt 0x1e
	v_lshlrev_b32_e32 v0, 16, v113
                                        ; implicit-def: $vgpr56
	s_and_saveexec_b32 s0, s55
	s_delay_alu instid0(SALU_CYCLE_1)
	s_xor_b32 s56, exec_lo, s0
	s_cbranch_execz .LBB31_13
; %bb.12:
	s_wait_loadcnt 0xe
	v_mov_b32_e32 v1, v58
	s_swap_pc_i64 s[30:31], s[50:51]
	v_mov_b32_e32 v56, v0
                                        ; implicit-def: $vgpr0
.LBB31_13:
	s_and_not1_saveexec_b32 s26, s56
	s_cbranch_execz .LBB31_15
; %bb.14:
	s_wait_loadcnt 0xe
	v_mov_b32_e32 v1, v58
	s_swap_pc_i64 s[30:31], s[52:53]
	v_mov_b32_e32 v56, v0
.LBB31_15:
	s_or_b32 exec_lo, exec_lo, s26
	v_and_b32_e32 v0, 0xffff0000, v113
	s_and_saveexec_b32 s0, s55
	s_delay_alu instid0(SALU_CYCLE_1)
	s_xor_b32 s56, exec_lo, s0
	s_cbranch_execz .LBB31_17
; %bb.16:
	s_wait_loadcnt 0xe
	v_mov_b32_e32 v1, v59
	s_swap_pc_i64 s[30:31], s[50:51]
	v_mov_b32_e32 v57, v0
                                        ; implicit-def: $vgpr0
                                        ; implicit-def: $vgpr59
.LBB31_17:
	s_and_not1_saveexec_b32 s26, s56
	s_cbranch_execz .LBB31_19
; %bb.18:
	s_wait_loadcnt 0xe
	v_mov_b32_e32 v1, v59
	s_swap_pc_i64 s[30:31], s[52:53]
	v_mov_b32_e32 v57, v0
.LBB31_19:
	s_or_b32 exec_lo, exec_lo, s26
	s_wait_loadcnt 0x1d
	v_lshlrev_b32_e32 v0, 16, v112
                                        ; implicit-def: $vgpr58
	s_and_saveexec_b32 s0, s55
	s_delay_alu instid0(SALU_CYCLE_1)
	s_xor_b32 s56, exec_lo, s0
	s_cbranch_execz .LBB31_21
; %bb.20:
	s_wait_loadcnt 0xd
	v_mov_b32_e32 v1, v62
	s_swap_pc_i64 s[30:31], s[50:51]
	v_mov_b32_e32 v58, v0
                                        ; implicit-def: $vgpr0
.LBB31_21:
	s_and_not1_saveexec_b32 s26, s56
	s_cbranch_execz .LBB31_23
; %bb.22:
	s_wait_loadcnt 0xd
	v_mov_b32_e32 v1, v62
	s_swap_pc_i64 s[30:31], s[52:53]
	v_mov_b32_e32 v58, v0
.LBB31_23:
	s_or_b32 exec_lo, exec_lo, s26
	v_and_b32_e32 v0, 0xffff0000, v112
	s_and_saveexec_b32 s0, s55
	s_delay_alu instid0(SALU_CYCLE_1)
	s_xor_b32 s56, exec_lo, s0
	s_cbranch_execz .LBB31_25
; %bb.24:
	s_wait_loadcnt 0xd
	v_mov_b32_e32 v1, v63
	s_swap_pc_i64 s[30:31], s[50:51]
	v_mov_b32_e32 v59, v0
                                        ; implicit-def: $vgpr0
                                        ; implicit-def: $vgpr63
.LBB31_25:
	s_and_not1_saveexec_b32 s26, s56
	s_cbranch_execz .LBB31_27
; %bb.26:
	s_wait_loadcnt 0xd
	v_mov_b32_e32 v1, v63
	s_swap_pc_i64 s[30:31], s[52:53]
	v_mov_b32_e32 v59, v0
.LBB31_27:
	s_or_b32 exec_lo, exec_lo, s26
	s_wait_loadcnt 0x1c
	v_lshlrev_b32_e32 v0, 16, v111
                                        ; implicit-def: $vgpr62
	s_and_saveexec_b32 s0, s55
	s_delay_alu instid0(SALU_CYCLE_1)
	s_xor_b32 s56, exec_lo, s0
	s_cbranch_execz .LBB31_29
; %bb.28:
	s_wait_loadcnt 0xc
	v_mov_b32_e32 v1, v74
	s_swap_pc_i64 s[30:31], s[50:51]
	v_mov_b32_e32 v62, v0
                                        ; implicit-def: $vgpr0
.LBB31_29:
	s_and_not1_saveexec_b32 s26, s56
	s_cbranch_execz .LBB31_31
; %bb.30:
	s_wait_loadcnt 0xc
	v_mov_b32_e32 v1, v74
	s_swap_pc_i64 s[30:31], s[52:53]
	v_mov_b32_e32 v62, v0
.LBB31_31:
	s_or_b32 exec_lo, exec_lo, s26
	v_and_b32_e32 v0, 0xffff0000, v111
	s_and_saveexec_b32 s0, s55
	s_delay_alu instid0(SALU_CYCLE_1)
	s_xor_b32 s56, exec_lo, s0
	s_cbranch_execz .LBB31_33
; %bb.32:
	s_wait_loadcnt 0xc
	v_mov_b32_e32 v1, v75
	s_swap_pc_i64 s[30:31], s[50:51]
	v_mov_b32_e32 v63, v0
                                        ; implicit-def: $vgpr0
                                        ; implicit-def: $vgpr75
.LBB31_33:
	s_and_not1_saveexec_b32 s26, s56
	s_cbranch_execz .LBB31_35
; %bb.34:
	s_wait_loadcnt 0xc
	v_mov_b32_e32 v1, v75
	s_swap_pc_i64 s[30:31], s[52:53]
	v_mov_b32_e32 v63, v0
.LBB31_35:
	s_or_b32 exec_lo, exec_lo, s26
	s_wait_loadcnt 0x1b
	v_lshlrev_b32_e32 v0, 16, v110
                                        ; implicit-def: $vgpr74
	s_and_saveexec_b32 s0, s55
	s_delay_alu instid0(SALU_CYCLE_1)
	s_xor_b32 s56, exec_lo, s0
	s_cbranch_execz .LBB31_37
; %bb.36:
	s_wait_loadcnt 0xb
	v_mov_b32_e32 v1, v78
	s_swap_pc_i64 s[30:31], s[50:51]
	v_mov_b32_e32 v74, v0
                                        ; implicit-def: $vgpr0
.LBB31_37:
	s_and_not1_saveexec_b32 s26, s56
	s_cbranch_execz .LBB31_39
; %bb.38:
	s_wait_loadcnt 0xb
	v_mov_b32_e32 v1, v78
	s_swap_pc_i64 s[30:31], s[52:53]
	v_mov_b32_e32 v74, v0
.LBB31_39:
	s_or_b32 exec_lo, exec_lo, s26
	v_and_b32_e32 v0, 0xffff0000, v110
	s_and_saveexec_b32 s0, s55
	s_delay_alu instid0(SALU_CYCLE_1)
	s_xor_b32 s56, exec_lo, s0
	s_cbranch_execz .LBB31_41
; %bb.40:
	s_wait_loadcnt 0xb
	v_mov_b32_e32 v1, v79
	s_swap_pc_i64 s[30:31], s[50:51]
	v_mov_b32_e32 v75, v0
                                        ; implicit-def: $vgpr0
                                        ; implicit-def: $vgpr79
.LBB31_41:
	s_and_not1_saveexec_b32 s26, s56
	s_cbranch_execz .LBB31_43
; %bb.42:
	s_wait_loadcnt 0xb
	v_mov_b32_e32 v1, v79
	s_swap_pc_i64 s[30:31], s[52:53]
	v_mov_b32_e32 v75, v0
.LBB31_43:
	s_or_b32 exec_lo, exec_lo, s26
	s_wait_loadcnt 0x1a
	v_lshlrev_b32_e32 v0, 16, v109
                                        ; implicit-def: $vgpr78
	s_and_saveexec_b32 s0, s55
	s_delay_alu instid0(SALU_CYCLE_1)
	s_xor_b32 s56, exec_lo, s0
	s_cbranch_execz .LBB31_45
; %bb.44:
	s_wait_loadcnt 0xa
	v_mov_b32_e32 v1, v86
	s_swap_pc_i64 s[30:31], s[50:51]
	v_mov_b32_e32 v78, v0
                                        ; implicit-def: $vgpr0
.LBB31_45:
	s_and_not1_saveexec_b32 s26, s56
	s_cbranch_execz .LBB31_47
; %bb.46:
	s_wait_loadcnt 0xa
	v_mov_b32_e32 v1, v86
	s_swap_pc_i64 s[30:31], s[52:53]
	v_mov_b32_e32 v78, v0
.LBB31_47:
	s_or_b32 exec_lo, exec_lo, s26
	v_and_b32_e32 v0, 0xffff0000, v109
	s_and_saveexec_b32 s0, s55
	s_delay_alu instid0(SALU_CYCLE_1)
	s_xor_b32 s56, exec_lo, s0
	s_cbranch_execz .LBB31_49
; %bb.48:
	s_wait_loadcnt 0xa
	v_mov_b32_e32 v1, v87
	s_swap_pc_i64 s[30:31], s[50:51]
	v_mov_b32_e32 v79, v0
                                        ; implicit-def: $vgpr0
                                        ; implicit-def: $vgpr87
.LBB31_49:
	s_and_not1_saveexec_b32 s26, s56
	s_cbranch_execz .LBB31_51
; %bb.50:
	s_wait_loadcnt 0xa
	v_mov_b32_e32 v1, v87
	s_swap_pc_i64 s[30:31], s[52:53]
	v_mov_b32_e32 v79, v0
.LBB31_51:
	s_or_b32 exec_lo, exec_lo, s26
	s_wait_loadcnt 0x19
	v_lshlrev_b32_e32 v0, 16, v108
                                        ; implicit-def: $vgpr86
	s_and_saveexec_b32 s0, s55
	s_delay_alu instid0(SALU_CYCLE_1)
	s_xor_b32 s56, exec_lo, s0
	s_cbranch_execz .LBB31_53
; %bb.52:
	s_wait_loadcnt 0x9
	v_mov_b32_e32 v1, v90
	s_swap_pc_i64 s[30:31], s[50:51]
	v_mov_b32_e32 v86, v0
                                        ; implicit-def: $vgpr0
.LBB31_53:
	s_and_not1_saveexec_b32 s26, s56
	s_cbranch_execz .LBB31_55
; %bb.54:
	s_wait_loadcnt 0x9
	v_mov_b32_e32 v1, v90
	s_swap_pc_i64 s[30:31], s[52:53]
	v_mov_b32_e32 v86, v0
.LBB31_55:
	s_or_b32 exec_lo, exec_lo, s26
	v_and_b32_e32 v0, 0xffff0000, v108
	s_and_saveexec_b32 s0, s55
	s_delay_alu instid0(SALU_CYCLE_1)
	s_xor_b32 s56, exec_lo, s0
	s_cbranch_execz .LBB31_57
; %bb.56:
	s_wait_loadcnt 0x9
	v_mov_b32_e32 v1, v91
	s_swap_pc_i64 s[30:31], s[50:51]
	v_mov_b32_e32 v87, v0
                                        ; implicit-def: $vgpr0
                                        ; implicit-def: $vgpr91
.LBB31_57:
	s_and_not1_saveexec_b32 s26, s56
	s_cbranch_execz .LBB31_59
; %bb.58:
	s_wait_loadcnt 0x9
	v_mov_b32_e32 v1, v91
	s_swap_pc_i64 s[30:31], s[52:53]
	v_mov_b32_e32 v87, v0
.LBB31_59:
	s_or_b32 exec_lo, exec_lo, s26
	s_wait_loadcnt 0x18
	v_lshlrev_b32_e32 v0, 16, v107
                                        ; implicit-def: $vgpr90
	s_and_saveexec_b32 s0, s55
	s_delay_alu instid0(SALU_CYCLE_1)
	s_xor_b32 s56, exec_lo, s0
	s_cbranch_execz .LBB31_61
; %bb.60:
	s_wait_loadcnt 0x8
	v_mov_b32_e32 v1, v94
	s_swap_pc_i64 s[30:31], s[50:51]
	v_mov_b32_e32 v90, v0
                                        ; implicit-def: $vgpr0
.LBB31_61:
	s_and_not1_saveexec_b32 s26, s56
	s_cbranch_execz .LBB31_63
; %bb.62:
	s_wait_loadcnt 0x8
	v_mov_b32_e32 v1, v94
	s_swap_pc_i64 s[30:31], s[52:53]
	v_mov_b32_e32 v90, v0
.LBB31_63:
	s_or_b32 exec_lo, exec_lo, s26
	v_and_b32_e32 v0, 0xffff0000, v107
	s_and_saveexec_b32 s0, s55
	s_delay_alu instid0(SALU_CYCLE_1)
	s_xor_b32 s56, exec_lo, s0
	s_cbranch_execz .LBB31_65
; %bb.64:
	s_wait_loadcnt 0x8
	v_mov_b32_e32 v1, v95
	s_swap_pc_i64 s[30:31], s[50:51]
	v_mov_b32_e32 v91, v0
                                        ; implicit-def: $vgpr0
                                        ; implicit-def: $vgpr95
.LBB31_65:
	s_and_not1_saveexec_b32 s26, s56
	s_cbranch_execz .LBB31_67
; %bb.66:
	s_wait_loadcnt 0x8
	v_mov_b32_e32 v1, v95
	s_swap_pc_i64 s[30:31], s[52:53]
	v_mov_b32_e32 v91, v0
.LBB31_67:
	s_or_b32 exec_lo, exec_lo, s26
	s_wait_loadcnt 0x17
	v_lshlrev_b32_e32 v0, 16, v106
                                        ; implicit-def: $vgpr94
	s_and_saveexec_b32 s0, s55
	s_delay_alu instid0(SALU_CYCLE_1)
	s_xor_b32 s56, exec_lo, s0
	s_cbranch_execz .LBB31_69
; %bb.68:
	s_wait_loadcnt 0x7
	v_mov_b32_e32 v1, v92
	s_swap_pc_i64 s[30:31], s[50:51]
	v_mov_b32_e32 v94, v0
                                        ; implicit-def: $vgpr0
.LBB31_69:
	s_and_not1_saveexec_b32 s26, s56
	s_cbranch_execz .LBB31_71
; %bb.70:
	s_wait_loadcnt 0x7
	v_mov_b32_e32 v1, v92
	s_swap_pc_i64 s[30:31], s[52:53]
	v_mov_b32_e32 v94, v0
.LBB31_71:
	s_or_b32 exec_lo, exec_lo, s26
	v_and_b32_e32 v0, 0xffff0000, v106
	s_and_saveexec_b32 s0, s55
	s_delay_alu instid0(SALU_CYCLE_1)
	s_xor_b32 s56, exec_lo, s0
	s_cbranch_execz .LBB31_73
; %bb.72:
	s_wait_loadcnt 0x7
	v_mov_b32_e32 v1, v93
	s_swap_pc_i64 s[30:31], s[50:51]
	v_mov_b32_e32 v95, v0
                                        ; implicit-def: $vgpr0
                                        ; implicit-def: $vgpr93
.LBB31_73:
	s_and_not1_saveexec_b32 s26, s56
	s_cbranch_execz .LBB31_75
; %bb.74:
	s_wait_loadcnt 0x7
	v_mov_b32_e32 v1, v93
	s_swap_pc_i64 s[30:31], s[52:53]
	v_mov_b32_e32 v95, v0
.LBB31_75:
	s_or_b32 exec_lo, exec_lo, s26
	s_wait_loadcnt 0x16
	v_lshlrev_b32_e32 v0, 16, v105
                                        ; implicit-def: $vgpr92
	s_and_saveexec_b32 s0, s55
	s_delay_alu instid0(SALU_CYCLE_1)
	s_xor_b32 s56, exec_lo, s0
	s_cbranch_execz .LBB31_77
; %bb.76:
	s_wait_loadcnt 0x6
	v_mov_b32_e32 v1, v88
	s_swap_pc_i64 s[30:31], s[50:51]
	v_mov_b32_e32 v92, v0
                                        ; implicit-def: $vgpr0
.LBB31_77:
	s_and_not1_saveexec_b32 s26, s56
	s_cbranch_execz .LBB31_79
; %bb.78:
	s_wait_loadcnt 0x6
	v_mov_b32_e32 v1, v88
	s_swap_pc_i64 s[30:31], s[52:53]
	v_mov_b32_e32 v92, v0
.LBB31_79:
	s_or_b32 exec_lo, exec_lo, s26
	v_and_b32_e32 v0, 0xffff0000, v105
	s_and_saveexec_b32 s0, s55
	s_delay_alu instid0(SALU_CYCLE_1)
	s_xor_b32 s56, exec_lo, s0
	s_cbranch_execz .LBB31_81
; %bb.80:
	s_wait_loadcnt 0x6
	v_mov_b32_e32 v1, v89
	s_swap_pc_i64 s[30:31], s[50:51]
	v_mov_b32_e32 v93, v0
                                        ; implicit-def: $vgpr0
                                        ; implicit-def: $vgpr89
.LBB31_81:
	s_and_not1_saveexec_b32 s26, s56
	s_cbranch_execz .LBB31_83
; %bb.82:
	s_wait_loadcnt 0x6
	v_mov_b32_e32 v1, v89
	s_swap_pc_i64 s[30:31], s[52:53]
	v_mov_b32_e32 v93, v0
.LBB31_83:
	s_or_b32 exec_lo, exec_lo, s26
	s_wait_loadcnt 0x15
	v_lshlrev_b32_e32 v0, 16, v104
                                        ; implicit-def: $vgpr88
	s_and_saveexec_b32 s0, s55
	s_delay_alu instid0(SALU_CYCLE_1)
	s_xor_b32 s56, exec_lo, s0
	s_cbranch_execz .LBB31_85
; %bb.84:
	s_wait_loadcnt 0x5
	v_mov_b32_e32 v1, v84
	s_swap_pc_i64 s[30:31], s[50:51]
	v_mov_b32_e32 v88, v0
                                        ; implicit-def: $vgpr0
.LBB31_85:
	s_and_not1_saveexec_b32 s26, s56
	s_cbranch_execz .LBB31_87
; %bb.86:
	s_wait_loadcnt 0x5
	v_mov_b32_e32 v1, v84
	s_swap_pc_i64 s[30:31], s[52:53]
	v_mov_b32_e32 v88, v0
.LBB31_87:
	s_or_b32 exec_lo, exec_lo, s26
	v_and_b32_e32 v0, 0xffff0000, v104
	s_and_saveexec_b32 s0, s55
	s_delay_alu instid0(SALU_CYCLE_1)
	s_xor_b32 s56, exec_lo, s0
	s_cbranch_execz .LBB31_89
; %bb.88:
	s_wait_loadcnt 0x5
	v_mov_b32_e32 v1, v85
	s_swap_pc_i64 s[30:31], s[50:51]
	v_mov_b32_e32 v89, v0
                                        ; implicit-def: $vgpr0
                                        ; implicit-def: $vgpr85
.LBB31_89:
	s_and_not1_saveexec_b32 s26, s56
	s_cbranch_execz .LBB31_91
; %bb.90:
	s_wait_loadcnt 0x5
	v_mov_b32_e32 v1, v85
	s_swap_pc_i64 s[30:31], s[52:53]
	v_mov_b32_e32 v89, v0
.LBB31_91:
	s_or_b32 exec_lo, exec_lo, s26
	s_wait_loadcnt 0x14
	v_lshlrev_b32_e32 v0, 16, v103
                                        ; implicit-def: $vgpr84
	s_and_saveexec_b32 s0, s55
	s_delay_alu instid0(SALU_CYCLE_1)
	s_xor_b32 s56, exec_lo, s0
	s_cbranch_execz .LBB31_93
; %bb.92:
	s_wait_loadcnt 0x4
	v_mov_b32_e32 v1, v76
	s_swap_pc_i64 s[30:31], s[50:51]
	v_mov_b32_e32 v84, v0
                                        ; implicit-def: $vgpr0
.LBB31_93:
	s_and_not1_saveexec_b32 s26, s56
	s_cbranch_execz .LBB31_95
; %bb.94:
	s_wait_loadcnt 0x4
	v_mov_b32_e32 v1, v76
	s_swap_pc_i64 s[30:31], s[52:53]
	v_mov_b32_e32 v84, v0
.LBB31_95:
	s_or_b32 exec_lo, exec_lo, s26
	v_and_b32_e32 v0, 0xffff0000, v103
	s_and_saveexec_b32 s0, s55
	s_delay_alu instid0(SALU_CYCLE_1)
	s_xor_b32 s56, exec_lo, s0
	s_cbranch_execz .LBB31_97
; %bb.96:
	s_wait_loadcnt 0x4
	v_mov_b32_e32 v1, v77
	s_swap_pc_i64 s[30:31], s[50:51]
	v_mov_b32_e32 v85, v0
                                        ; implicit-def: $vgpr0
                                        ; implicit-def: $vgpr77
.LBB31_97:
	s_and_not1_saveexec_b32 s26, s56
	s_cbranch_execz .LBB31_99
; %bb.98:
	s_wait_loadcnt 0x4
	v_mov_b32_e32 v1, v77
	s_swap_pc_i64 s[30:31], s[52:53]
	v_mov_b32_e32 v85, v0
.LBB31_99:
	s_or_b32 exec_lo, exec_lo, s26
	s_wait_loadcnt 0x13
	v_lshlrev_b32_e32 v0, 16, v102
                                        ; implicit-def: $vgpr76
	s_and_saveexec_b32 s0, s55
	s_delay_alu instid0(SALU_CYCLE_1)
	s_xor_b32 s56, exec_lo, s0
	s_cbranch_execz .LBB31_101
; %bb.100:
	s_wait_loadcnt 0x3
	v_mov_b32_e32 v1, v72
	s_swap_pc_i64 s[30:31], s[50:51]
	v_mov_b32_e32 v76, v0
                                        ; implicit-def: $vgpr0
.LBB31_101:
	s_and_not1_saveexec_b32 s26, s56
	s_cbranch_execz .LBB31_103
; %bb.102:
	s_wait_loadcnt 0x3
	v_mov_b32_e32 v1, v72
	s_swap_pc_i64 s[30:31], s[52:53]
	v_mov_b32_e32 v76, v0
.LBB31_103:
	s_or_b32 exec_lo, exec_lo, s26
	v_and_b32_e32 v0, 0xffff0000, v102
	s_and_saveexec_b32 s0, s55
	s_delay_alu instid0(SALU_CYCLE_1)
	s_xor_b32 s56, exec_lo, s0
	s_cbranch_execz .LBB31_105
; %bb.104:
	s_wait_loadcnt 0x3
	v_mov_b32_e32 v1, v73
	s_swap_pc_i64 s[30:31], s[50:51]
	v_mov_b32_e32 v77, v0
                                        ; implicit-def: $vgpr0
                                        ; implicit-def: $vgpr73
.LBB31_105:
	s_and_not1_saveexec_b32 s26, s56
	s_cbranch_execz .LBB31_107
; %bb.106:
	s_wait_loadcnt 0x3
	v_mov_b32_e32 v1, v73
	s_swap_pc_i64 s[30:31], s[52:53]
	v_mov_b32_e32 v77, v0
.LBB31_107:
	s_or_b32 exec_lo, exec_lo, s26
	s_wait_loadcnt 0x12
	v_lshlrev_b32_e32 v0, 16, v101
                                        ; implicit-def: $vgpr72
	s_and_saveexec_b32 s0, s55
	s_delay_alu instid0(SALU_CYCLE_1)
	s_xor_b32 s56, exec_lo, s0
	s_cbranch_execz .LBB31_109
; %bb.108:
	s_wait_loadcnt 0x2
	v_mov_b32_e32 v1, v60
	s_swap_pc_i64 s[30:31], s[50:51]
	v_mov_b32_e32 v72, v0
                                        ; implicit-def: $vgpr0
.LBB31_109:
	s_and_not1_saveexec_b32 s26, s56
	s_cbranch_execz .LBB31_111
; %bb.110:
	s_wait_loadcnt 0x2
	v_mov_b32_e32 v1, v60
	s_swap_pc_i64 s[30:31], s[52:53]
	v_mov_b32_e32 v72, v0
.LBB31_111:
	s_or_b32 exec_lo, exec_lo, s26
	v_and_b32_e32 v0, 0xffff0000, v101
	s_and_saveexec_b32 s0, s55
	s_delay_alu instid0(SALU_CYCLE_1)
	s_xor_b32 s56, exec_lo, s0
	s_cbranch_execz .LBB31_113
; %bb.112:
	s_wait_loadcnt 0x2
	v_mov_b32_e32 v1, v61
	s_swap_pc_i64 s[30:31], s[50:51]
	v_mov_b32_e32 v73, v0
                                        ; implicit-def: $vgpr0
                                        ; implicit-def: $vgpr61
.LBB31_113:
	s_and_not1_saveexec_b32 s26, s56
	s_cbranch_execz .LBB31_115
; %bb.114:
	s_wait_loadcnt 0x2
	v_mov_b32_e32 v1, v61
	s_swap_pc_i64 s[30:31], s[52:53]
	v_mov_b32_e32 v73, v0
.LBB31_115:
	s_or_b32 exec_lo, exec_lo, s26
	s_wait_loadcnt 0x11
	v_lshlrev_b32_e32 v0, 16, v100
                                        ; implicit-def: $vgpr60
	s_and_saveexec_b32 s0, s55
	s_delay_alu instid0(SALU_CYCLE_1)
	s_xor_b32 s56, exec_lo, s0
	s_cbranch_execz .LBB31_117
; %bb.116:
	s_wait_loadcnt 0x1
	v_mov_b32_e32 v1, v46
	s_swap_pc_i64 s[30:31], s[50:51]
	v_mov_b32_e32 v60, v0
                                        ; implicit-def: $vgpr0
.LBB31_117:
	s_and_not1_saveexec_b32 s26, s56
	s_cbranch_execz .LBB31_119
; %bb.118:
	s_wait_loadcnt 0x1
	v_mov_b32_e32 v1, v46
	s_swap_pc_i64 s[30:31], s[52:53]
	v_mov_b32_e32 v60, v0
.LBB31_119:
	s_or_b32 exec_lo, exec_lo, s26
	v_and_b32_e32 v0, 0xffff0000, v100
	s_and_saveexec_b32 s0, s55
	s_delay_alu instid0(SALU_CYCLE_1)
	s_xor_b32 s56, exec_lo, s0
	s_cbranch_execz .LBB31_121
; %bb.120:
	s_wait_loadcnt 0x1
	v_mov_b32_e32 v1, v47
	s_swap_pc_i64 s[30:31], s[50:51]
	v_mov_b32_e32 v61, v0
                                        ; implicit-def: $vgpr0
                                        ; implicit-def: $vgpr47
.LBB31_121:
	s_and_not1_saveexec_b32 s26, s56
	s_cbranch_execz .LBB31_123
; %bb.122:
	s_wait_loadcnt 0x1
	v_mov_b32_e32 v1, v47
	s_swap_pc_i64 s[30:31], s[52:53]
	v_mov_b32_e32 v61, v0
.LBB31_123:
	s_or_b32 exec_lo, exec_lo, s26
	s_wait_loadcnt 0x10
	v_lshlrev_b32_e32 v0, 16, v99
                                        ; implicit-def: $vgpr46
	s_and_saveexec_b32 s0, s55
	s_delay_alu instid0(SALU_CYCLE_1)
	s_xor_b32 s56, exec_lo, s0
	s_cbranch_execz .LBB31_125
; %bb.124:
	s_wait_loadcnt 0x0
	v_mov_b32_e32 v1, v44
	s_swap_pc_i64 s[30:31], s[50:51]
	v_mov_b32_e32 v46, v0
                                        ; implicit-def: $vgpr0
.LBB31_125:
	s_and_not1_saveexec_b32 s26, s56
	s_cbranch_execz .LBB31_127
; %bb.126:
	s_wait_loadcnt 0x0
	v_mov_b32_e32 v1, v44
	s_swap_pc_i64 s[30:31], s[52:53]
	v_mov_b32_e32 v46, v0
.LBB31_127:
	s_or_b32 exec_lo, exec_lo, s26
	v_and_b32_e32 v0, 0xffff0000, v99
	s_and_saveexec_b32 s0, s55
	s_delay_alu instid0(SALU_CYCLE_1)
	s_xor_b32 s55, exec_lo, s0
	s_cbranch_execz .LBB31_129
; %bb.128:
	s_wait_loadcnt 0x0
	v_mov_b32_e32 v1, v45
	s_swap_pc_i64 s[30:31], s[50:51]
	v_mov_b32_e32 v47, v0
                                        ; implicit-def: $vgpr0
                                        ; implicit-def: $vgpr45
.LBB31_129:
	s_and_not1_saveexec_b32 s26, s55
	s_cbranch_execz .LBB31_131
; %bb.130:
	s_wait_loadcnt 0x0
	v_mov_b32_e32 v1, v45
	s_swap_pc_i64 s[30:31], s[52:53]
	v_mov_b32_e32 v47, v0
.LBB31_131:
	s_or_b32 exec_lo, exec_lo, s26
	s_add_nc_u64 s[2:3], s[36:37], s[48:49]
	global_store_b64 v98, v[42:43], s[2:3] scale_offset
	s_wait_loadcnt 0xf
	global_store_b64 v98, v[56:57], s[2:3] offset:4096 scale_offset
	s_wait_loadcnt 0xe
	global_store_b64 v98, v[58:59], s[2:3] offset:8192 scale_offset
	s_wait_loadcnt 0xd
	global_store_b64 v98, v[62:63], s[2:3] offset:12288 scale_offset
	s_wait_loadcnt 0xc
	global_store_b64 v98, v[74:75], s[2:3] offset:16384 scale_offset
	s_wait_loadcnt 0xb
	global_store_b64 v98, v[78:79], s[2:3] offset:20480 scale_offset
	s_wait_loadcnt 0xa
	global_store_b64 v98, v[86:87], s[2:3] offset:24576 scale_offset
	s_wait_loadcnt 0x9
	global_store_b64 v98, v[90:91], s[2:3] offset:28672 scale_offset
	s_wait_loadcnt 0x8
	global_store_b64 v98, v[94:95], s[2:3] offset:32768 scale_offset
	s_wait_loadcnt 0x7
	global_store_b64 v98, v[92:93], s[2:3] offset:36864 scale_offset
	s_wait_loadcnt 0x6
	global_store_b64 v98, v[88:89], s[2:3] offset:40960 scale_offset
	s_wait_loadcnt 0x5
	global_store_b64 v98, v[84:85], s[2:3] offset:45056 scale_offset
	s_wait_loadcnt 0x4
	global_store_b64 v98, v[76:77], s[2:3] offset:49152 scale_offset
	s_wait_loadcnt 0x3
	global_store_b64 v98, v[72:73], s[2:3] offset:53248 scale_offset
	s_wait_loadcnt 0x2
	global_store_b64 v98, v[60:61], s[2:3] offset:57344 scale_offset
	s_wait_loadcnt 0x1
	global_store_b64 v98, v[46:47], s[2:3] offset:61440 scale_offset
	s_branch .LBB31_2
.LBB31_132:
	s_clause 0x1
	s_load_b32 s6, s[34:35], 0x24
	s_load_b128 s[0:3], s[34:35], 0x28
	ds_load_u8 v0, v97
	v_dual_mov_b32 v31, v96 :: v_dual_mov_b32 v1, s36
	v_dual_mov_b32 v2, s37 :: v_dual_mov_b32 v3, s38
	;; [unrolled: 1-line block ×4, first 2 shown]
	s_add_nc_u64 s[8:9], s[34:35], 56
	s_get_pc_i64 s[4:5]
	s_add_nc_u64 s[4:5], s[4:5], _ZN2at6native25elementwise_kernel_helperILb1EN12_GLOBAL__N_110CalcIgammaIfEENS0_6memory8policies11unroll_baseILi512ESt5arrayIPcLm3EE23TrivialOffsetCalculatorILi2EjESB_ILi1EjENS5_12LoadWithCastILi2EEENS5_13StoreWithCastILi1EEELi32ELi1EEEEEvT0_T1_@rel64+4
	s_wait_kmcnt 0x0
	s_bfe_u32 s7, s6, 0x80008
	v_dual_mov_b32 v8, s6 :: v_dual_mov_b32 v10, s0
	v_dual_mov_b32 v11, s1 :: v_dual_mov_b32 v12, s2
	;; [unrolled: 1-line block ×3, first 2 shown]
	s_swap_pc_i64 s[30:31], s[4:5]
	s_endpgm
	.section	.rodata,"a",@progbits
	.p2align	6, 0x0
	.amdhsa_kernel _ZN2at6native39vectorized_templated_elementwise_kernelILi2EN12_GLOBAL__N_110CalcIgammaIfEESt5arrayIPcLm3EE23TrivialOffsetCalculatorILi2EjES8_ILi1EjENS0_6memory12LoadWithCastILi2EEENSB_13StoreWithCastILi1EEEfJN3c108BFloat16EfEEEviT0_T1_T2_T3_T4_T5_
		.amdhsa_group_segment_fixed_size 1024
		.amdhsa_private_segment_fixed_size 448
		.amdhsa_kernarg_size 312
		.amdhsa_user_sgpr_count 4
		.amdhsa_user_sgpr_dispatch_ptr 1
		.amdhsa_user_sgpr_queue_ptr 0
		.amdhsa_user_sgpr_kernarg_segment_ptr 1
		.amdhsa_user_sgpr_dispatch_id 0
		.amdhsa_user_sgpr_kernarg_preload_length 0
		.amdhsa_user_sgpr_kernarg_preload_offset 0
		.amdhsa_user_sgpr_private_segment_size 0
		.amdhsa_wavefront_size32 1
		.amdhsa_uses_dynamic_stack 0
		.amdhsa_enable_private_segment 1
		.amdhsa_system_sgpr_workgroup_id_x 1
		.amdhsa_system_sgpr_workgroup_id_y 0
		.amdhsa_system_sgpr_workgroup_id_z 0
		.amdhsa_system_sgpr_workgroup_info 0
		.amdhsa_system_vgpr_workitem_id 2
		.amdhsa_next_free_vgpr 214
		.amdhsa_next_free_sgpr 96
		.amdhsa_named_barrier_count 0
		.amdhsa_reserve_vcc 1
		.amdhsa_float_round_mode_32 0
		.amdhsa_float_round_mode_16_64 0
		.amdhsa_float_denorm_mode_32 3
		.amdhsa_float_denorm_mode_16_64 3
		.amdhsa_fp16_overflow 0
		.amdhsa_memory_ordered 1
		.amdhsa_forward_progress 1
		.amdhsa_inst_pref_size 26
		.amdhsa_round_robin_scheduling 0
		.amdhsa_exception_fp_ieee_invalid_op 0
		.amdhsa_exception_fp_denorm_src 0
		.amdhsa_exception_fp_ieee_div_zero 0
		.amdhsa_exception_fp_ieee_overflow 0
		.amdhsa_exception_fp_ieee_underflow 0
		.amdhsa_exception_fp_ieee_inexact 0
		.amdhsa_exception_int_div_zero 0
	.end_amdhsa_kernel
	.section	.text._ZN2at6native39vectorized_templated_elementwise_kernelILi2EN12_GLOBAL__N_110CalcIgammaIfEESt5arrayIPcLm3EE23TrivialOffsetCalculatorILi2EjES8_ILi1EjENS0_6memory12LoadWithCastILi2EEENSB_13StoreWithCastILi1EEEfJN3c108BFloat16EfEEEviT0_T1_T2_T3_T4_T5_,"axG",@progbits,_ZN2at6native39vectorized_templated_elementwise_kernelILi2EN12_GLOBAL__N_110CalcIgammaIfEESt5arrayIPcLm3EE23TrivialOffsetCalculatorILi2EjES8_ILi1EjENS0_6memory12LoadWithCastILi2EEENSB_13StoreWithCastILi1EEEfJN3c108BFloat16EfEEEviT0_T1_T2_T3_T4_T5_,comdat
.Lfunc_end31:
	.size	_ZN2at6native39vectorized_templated_elementwise_kernelILi2EN12_GLOBAL__N_110CalcIgammaIfEESt5arrayIPcLm3EE23TrivialOffsetCalculatorILi2EjES8_ILi1EjENS0_6memory12LoadWithCastILi2EEENSB_13StoreWithCastILi1EEEfJN3c108BFloat16EfEEEviT0_T1_T2_T3_T4_T5_, .Lfunc_end31-_ZN2at6native39vectorized_templated_elementwise_kernelILi2EN12_GLOBAL__N_110CalcIgammaIfEESt5arrayIPcLm3EE23TrivialOffsetCalculatorILi2EjES8_ILi1EjENS0_6memory12LoadWithCastILi2EEENSB_13StoreWithCastILi1EEEfJN3c108BFloat16EfEEEviT0_T1_T2_T3_T4_T5_
                                        ; -- End function
	.set _ZN2at6native39vectorized_templated_elementwise_kernelILi2EN12_GLOBAL__N_110CalcIgammaIfEESt5arrayIPcLm3EE23TrivialOffsetCalculatorILi2EjES8_ILi1EjENS0_6memory12LoadWithCastILi2EEENSB_13StoreWithCastILi1EEEfJN3c108BFloat16EfEEEviT0_T1_T2_T3_T4_T5_.num_vgpr, max(114, .L_ZN12_GLOBAL__N_111calc_igammaIfEET_S1_S1_.num_vgpr, .L_ZN12_GLOBAL__N_112calc_igammacIfEET_S1_S1_.num_vgpr, .L_ZN2at6native25elementwise_kernel_helperILb1EN12_GLOBAL__N_110CalcIgammaIfEENS0_6memory8policies11unroll_baseILi512ESt5arrayIPcLm3EE23TrivialOffsetCalculatorILi2EjESB_ILi1EjENS5_12LoadWithCastILi2EEENS5_13StoreWithCastILi1EEELi32ELi1EEEEEvT0_T1_.num_vgpr)
	.set _ZN2at6native39vectorized_templated_elementwise_kernelILi2EN12_GLOBAL__N_110CalcIgammaIfEESt5arrayIPcLm3EE23TrivialOffsetCalculatorILi2EjES8_ILi1EjENS0_6memory12LoadWithCastILi2EEENSB_13StoreWithCastILi1EEEfJN3c108BFloat16EfEEEviT0_T1_T2_T3_T4_T5_.num_agpr, max(0, .L_ZN12_GLOBAL__N_111calc_igammaIfEET_S1_S1_.num_agpr, .L_ZN12_GLOBAL__N_112calc_igammacIfEET_S1_S1_.num_agpr, .L_ZN2at6native25elementwise_kernel_helperILb1EN12_GLOBAL__N_110CalcIgammaIfEENS0_6memory8policies11unroll_baseILi512ESt5arrayIPcLm3EE23TrivialOffsetCalculatorILi2EjESB_ILi1EjENS5_12LoadWithCastILi2EEENS5_13StoreWithCastILi1EEELi32ELi1EEEEEvT0_T1_.num_agpr)
	.set _ZN2at6native39vectorized_templated_elementwise_kernelILi2EN12_GLOBAL__N_110CalcIgammaIfEESt5arrayIPcLm3EE23TrivialOffsetCalculatorILi2EjES8_ILi1EjENS0_6memory12LoadWithCastILi2EEENSB_13StoreWithCastILi1EEEfJN3c108BFloat16EfEEEviT0_T1_T2_T3_T4_T5_.numbered_sgpr, max(57, .L_ZN12_GLOBAL__N_111calc_igammaIfEET_S1_S1_.numbered_sgpr, .L_ZN12_GLOBAL__N_112calc_igammacIfEET_S1_S1_.numbered_sgpr, .L_ZN2at6native25elementwise_kernel_helperILb1EN12_GLOBAL__N_110CalcIgammaIfEENS0_6memory8policies11unroll_baseILi512ESt5arrayIPcLm3EE23TrivialOffsetCalculatorILi2EjESB_ILi1EjENS5_12LoadWithCastILi2EEENS5_13StoreWithCastILi1EEELi32ELi1EEEEEvT0_T1_.numbered_sgpr)
	.set _ZN2at6native39vectorized_templated_elementwise_kernelILi2EN12_GLOBAL__N_110CalcIgammaIfEESt5arrayIPcLm3EE23TrivialOffsetCalculatorILi2EjES8_ILi1EjENS0_6memory12LoadWithCastILi2EEENSB_13StoreWithCastILi1EEEfJN3c108BFloat16EfEEEviT0_T1_T2_T3_T4_T5_.num_named_barrier, max(0, .L_ZN12_GLOBAL__N_111calc_igammaIfEET_S1_S1_.num_named_barrier, .L_ZN12_GLOBAL__N_112calc_igammacIfEET_S1_S1_.num_named_barrier, .L_ZN2at6native25elementwise_kernel_helperILb1EN12_GLOBAL__N_110CalcIgammaIfEENS0_6memory8policies11unroll_baseILi512ESt5arrayIPcLm3EE23TrivialOffsetCalculatorILi2EjESB_ILi1EjENS5_12LoadWithCastILi2EEENS5_13StoreWithCastILi1EEELi32ELi1EEEEEvT0_T1_.num_named_barrier)
	.set _ZN2at6native39vectorized_templated_elementwise_kernelILi2EN12_GLOBAL__N_110CalcIgammaIfEESt5arrayIPcLm3EE23TrivialOffsetCalculatorILi2EjES8_ILi1EjENS0_6memory12LoadWithCastILi2EEENSB_13StoreWithCastILi1EEEfJN3c108BFloat16EfEEEviT0_T1_T2_T3_T4_T5_.private_seg_size, 0+max(.L_ZN12_GLOBAL__N_111calc_igammaIfEET_S1_S1_.private_seg_size, .L_ZN12_GLOBAL__N_112calc_igammacIfEET_S1_S1_.private_seg_size, .L_ZN2at6native25elementwise_kernel_helperILb1EN12_GLOBAL__N_110CalcIgammaIfEENS0_6memory8policies11unroll_baseILi512ESt5arrayIPcLm3EE23TrivialOffsetCalculatorILi2EjESB_ILi1EjENS5_12LoadWithCastILi2EEENS5_13StoreWithCastILi1EEELi32ELi1EEEEEvT0_T1_.private_seg_size)
	.set _ZN2at6native39vectorized_templated_elementwise_kernelILi2EN12_GLOBAL__N_110CalcIgammaIfEESt5arrayIPcLm3EE23TrivialOffsetCalculatorILi2EjES8_ILi1EjENS0_6memory12LoadWithCastILi2EEENSB_13StoreWithCastILi1EEEfJN3c108BFloat16EfEEEviT0_T1_T2_T3_T4_T5_.uses_vcc, or(1, .L_ZN12_GLOBAL__N_111calc_igammaIfEET_S1_S1_.uses_vcc, .L_ZN12_GLOBAL__N_112calc_igammacIfEET_S1_S1_.uses_vcc, .L_ZN2at6native25elementwise_kernel_helperILb1EN12_GLOBAL__N_110CalcIgammaIfEENS0_6memory8policies11unroll_baseILi512ESt5arrayIPcLm3EE23TrivialOffsetCalculatorILi2EjESB_ILi1EjENS5_12LoadWithCastILi2EEENS5_13StoreWithCastILi1EEELi32ELi1EEEEEvT0_T1_.uses_vcc)
	.set _ZN2at6native39vectorized_templated_elementwise_kernelILi2EN12_GLOBAL__N_110CalcIgammaIfEESt5arrayIPcLm3EE23TrivialOffsetCalculatorILi2EjES8_ILi1EjENS0_6memory12LoadWithCastILi2EEENSB_13StoreWithCastILi1EEEfJN3c108BFloat16EfEEEviT0_T1_T2_T3_T4_T5_.uses_flat_scratch, or(0, .L_ZN12_GLOBAL__N_111calc_igammaIfEET_S1_S1_.uses_flat_scratch, .L_ZN12_GLOBAL__N_112calc_igammacIfEET_S1_S1_.uses_flat_scratch, .L_ZN2at6native25elementwise_kernel_helperILb1EN12_GLOBAL__N_110CalcIgammaIfEENS0_6memory8policies11unroll_baseILi512ESt5arrayIPcLm3EE23TrivialOffsetCalculatorILi2EjESB_ILi1EjENS5_12LoadWithCastILi2EEENS5_13StoreWithCastILi1EEELi32ELi1EEEEEvT0_T1_.uses_flat_scratch)
	.set _ZN2at6native39vectorized_templated_elementwise_kernelILi2EN12_GLOBAL__N_110CalcIgammaIfEESt5arrayIPcLm3EE23TrivialOffsetCalculatorILi2EjES8_ILi1EjENS0_6memory12LoadWithCastILi2EEENSB_13StoreWithCastILi1EEEfJN3c108BFloat16EfEEEviT0_T1_T2_T3_T4_T5_.has_dyn_sized_stack, or(0, .L_ZN12_GLOBAL__N_111calc_igammaIfEET_S1_S1_.has_dyn_sized_stack, .L_ZN12_GLOBAL__N_112calc_igammacIfEET_S1_S1_.has_dyn_sized_stack, .L_ZN2at6native25elementwise_kernel_helperILb1EN12_GLOBAL__N_110CalcIgammaIfEENS0_6memory8policies11unroll_baseILi512ESt5arrayIPcLm3EE23TrivialOffsetCalculatorILi2EjESB_ILi1EjENS5_12LoadWithCastILi2EEENS5_13StoreWithCastILi1EEELi32ELi1EEEEEvT0_T1_.has_dyn_sized_stack)
	.set _ZN2at6native39vectorized_templated_elementwise_kernelILi2EN12_GLOBAL__N_110CalcIgammaIfEESt5arrayIPcLm3EE23TrivialOffsetCalculatorILi2EjES8_ILi1EjENS0_6memory12LoadWithCastILi2EEENSB_13StoreWithCastILi1EEEfJN3c108BFloat16EfEEEviT0_T1_T2_T3_T4_T5_.has_recursion, or(0, .L_ZN12_GLOBAL__N_111calc_igammaIfEET_S1_S1_.has_recursion, .L_ZN12_GLOBAL__N_112calc_igammacIfEET_S1_S1_.has_recursion, .L_ZN2at6native25elementwise_kernel_helperILb1EN12_GLOBAL__N_110CalcIgammaIfEENS0_6memory8policies11unroll_baseILi512ESt5arrayIPcLm3EE23TrivialOffsetCalculatorILi2EjESB_ILi1EjENS5_12LoadWithCastILi2EEENS5_13StoreWithCastILi1EEELi32ELi1EEEEEvT0_T1_.has_recursion)
	.set _ZN2at6native39vectorized_templated_elementwise_kernelILi2EN12_GLOBAL__N_110CalcIgammaIfEESt5arrayIPcLm3EE23TrivialOffsetCalculatorILi2EjES8_ILi1EjENS0_6memory12LoadWithCastILi2EEENSB_13StoreWithCastILi1EEEfJN3c108BFloat16EfEEEviT0_T1_T2_T3_T4_T5_.has_indirect_call, or(0, .L_ZN12_GLOBAL__N_111calc_igammaIfEET_S1_S1_.has_indirect_call, .L_ZN12_GLOBAL__N_112calc_igammacIfEET_S1_S1_.has_indirect_call, .L_ZN2at6native25elementwise_kernel_helperILb1EN12_GLOBAL__N_110CalcIgammaIfEENS0_6memory8policies11unroll_baseILi512ESt5arrayIPcLm3EE23TrivialOffsetCalculatorILi2EjESB_ILi1EjENS5_12LoadWithCastILi2EEENS5_13StoreWithCastILi1EEELi32ELi1EEEEEvT0_T1_.has_indirect_call)
	.section	.AMDGPU.csdata,"",@progbits
; Kernel info:
; codeLenInByte = 3280
; TotalNumSgprs: 98
; NumVgprs: 214
; ScratchSize: 448
; MemoryBound: 0
; FloatMode: 240
; IeeeMode: 1
; LDSByteSize: 1024 bytes/workgroup (compile time only)
; SGPRBlocks: 0
; VGPRBlocks: 13
; NumSGPRsForWavesPerEU: 98
; NumVGPRsForWavesPerEU: 214
; NamedBarCnt: 0
; Occupancy: 4
; WaveLimiterHint : 0
; COMPUTE_PGM_RSRC2:SCRATCH_EN: 1
; COMPUTE_PGM_RSRC2:USER_SGPR: 4
; COMPUTE_PGM_RSRC2:TRAP_HANDLER: 0
; COMPUTE_PGM_RSRC2:TGID_X_EN: 1
; COMPUTE_PGM_RSRC2:TGID_Y_EN: 0
; COMPUTE_PGM_RSRC2:TGID_Z_EN: 0
; COMPUTE_PGM_RSRC2:TIDIG_COMP_CNT: 2
	.section	.text._ZN2at6native39vectorized_templated_elementwise_kernelILi8EN12_GLOBAL__N_110CalcIgammaIfEESt5arrayIPcLm3EE23TrivialOffsetCalculatorILi2EjES8_ILi1EjENS0_6memory12LoadWithCastILi2EEENSB_13StoreWithCastILi1EEEN3c108BFloat16EJSH_fEEEviT0_T1_T2_T3_T4_T5_,"axG",@progbits,_ZN2at6native39vectorized_templated_elementwise_kernelILi8EN12_GLOBAL__N_110CalcIgammaIfEESt5arrayIPcLm3EE23TrivialOffsetCalculatorILi2EjES8_ILi1EjENS0_6memory12LoadWithCastILi2EEENSB_13StoreWithCastILi1EEEN3c108BFloat16EJSH_fEEEviT0_T1_T2_T3_T4_T5_,comdat
	.globl	_ZN2at6native39vectorized_templated_elementwise_kernelILi8EN12_GLOBAL__N_110CalcIgammaIfEESt5arrayIPcLm3EE23TrivialOffsetCalculatorILi2EjES8_ILi1EjENS0_6memory12LoadWithCastILi2EEENSB_13StoreWithCastILi1EEEN3c108BFloat16EJSH_fEEEviT0_T1_T2_T3_T4_T5_ ; -- Begin function _ZN2at6native39vectorized_templated_elementwise_kernelILi8EN12_GLOBAL__N_110CalcIgammaIfEESt5arrayIPcLm3EE23TrivialOffsetCalculatorILi2EjES8_ILi1EjENS0_6memory12LoadWithCastILi2EEENSB_13StoreWithCastILi1EEEN3c108BFloat16EJSH_fEEEviT0_T1_T2_T3_T4_T5_
	.p2align	8
	.type	_ZN2at6native39vectorized_templated_elementwise_kernelILi8EN12_GLOBAL__N_110CalcIgammaIfEESt5arrayIPcLm3EE23TrivialOffsetCalculatorILi2EjES8_ILi1EjENS0_6memory12LoadWithCastILi2EEENSB_13StoreWithCastILi1EEEN3c108BFloat16EJSH_fEEEviT0_T1_T2_T3_T4_T5_,@function
_ZN2at6native39vectorized_templated_elementwise_kernelILi8EN12_GLOBAL__N_110CalcIgammaIfEESt5arrayIPcLm3EE23TrivialOffsetCalculatorILi2EjES8_ILi1EjENS0_6memory12LoadWithCastILi2EEENSB_13StoreWithCastILi1EEEN3c108BFloat16EJSH_fEEEviT0_T1_T2_T3_T4_T5_: ; @_ZN2at6native39vectorized_templated_elementwise_kernelILi8EN12_GLOBAL__N_110CalcIgammaIfEESt5arrayIPcLm3EE23TrivialOffsetCalculatorILi2EjES8_ILi1EjENS0_6memory12LoadWithCastILi2EEENSB_13StoreWithCastILi1EEEN3c108BFloat16EJSH_fEEEviT0_T1_T2_T3_T4_T5_
; %bb.0:
	s_mov_b64 s[34:35], s[2:3]
	s_load_b64 s[2:3], s[0:1], 0x4
	s_clause 0x2
	s_load_b64 s[4:5], s[34:35], 0x0
	s_load_b64 s[46:47], s[34:35], 0x18
	s_load_b32 s6, s[34:35], 0x38
	s_wait_xcnt 0x0
	s_bfe_u32 s1, ttmp6, 0x4000c
	s_and_b32 s0, ttmp6, 15
	s_add_co_i32 s1, s1, 1
	s_load_b128 s[36:39], s[34:35], 0x8
	s_mul_i32 s1, ttmp9, s1
	s_getreg_b32 s7, hwreg(HW_REG_IB_STS2, 6, 4)
	s_add_co_i32 s0, s0, s1
	s_mov_b32 s32, 0
	s_wait_kmcnt 0x0
	s_lshr_b32 s2, s2, 16
	s_and_b32 s1, s5, 1
	v_mov_b32_e32 v42, v0
	s_mul_i32 s2, s2, s3
	s_cmp_eq_u32 s7, 0
	s_cselect_b32 s0, ttmp9, s0
	s_delay_alu instid0(VALU_DEP_1) | instskip(SKIP_3) | instid1(VALU_DEP_3)
	v_and_b32_e32 v113, 0x3ff, v42
	v_bfe_u32 v0, v42, 10, 10
	v_bfe_u32 v2, v42, 20, 10
	s_not_b32 s0, s0
	v_mul_lo_u32 v1, s2, v113
	s_delay_alu instid0(VALU_DEP_3) | instskip(SKIP_3) | instid1(SALU_CYCLE_1)
	v_mul_u32_u24_e32 v0, s3, v0
	s_add_co_i32 s6, s6, s0
	s_mov_b32 s2, -1
	s_lshl_b32 s0, s6, 14
	s_sub_co_i32 s54, s4, s0
	s_delay_alu instid0(SALU_CYCLE_1) | instskip(NEXT) | instid1(VALU_DEP_2)
	s_cmp_gt_i32 s54, 0x3fff
	v_add3_u32 v112, v1, v0, v2
	v_mov_b32_e32 v0, s1
	ds_store_b8 v112, v0
	s_cbranch_scc1 .LBB32_3
; %bb.1:
	s_and_b32 vcc_lo, exec_lo, s2
	s_cbranch_vccnz .LBB32_132
.LBB32_2:
	s_endpgm
.LBB32_3:
	s_ashr_i32 s1, s0, 31
	v_lshlrev_b32_e32 v0, 5, v113
	s_lshl_b64 s[2:3], s[0:1], 2
	s_lshl_b64 s[48:49], s[0:1], 1
	s_add_nc_u64 s[2:3], s[46:47], s[2:3]
	s_add_nc_u64 s[0:1], s[38:39], s[48:49]
	s_clause 0x1
	global_load_b128 v[44:47], v0, s[2:3]
	global_load_b128 v[56:59], v0, s[2:3] offset:16
	s_clause 0x3
	global_load_b128 v[108:111], v113, s[0:1] scale_offset
	global_load_b128 v[72:75], v113, s[0:1] offset:8192 scale_offset
	global_load_b128 v[84:87], v113, s[0:1] offset:16384 scale_offset
	global_load_b128 v[92:95], v113, s[0:1] offset:24576 scale_offset
	s_clause 0x5
	global_load_b128 v[104:107], v0, s[2:3] offset:16400
	global_load_b128 v[60:63], v0, s[2:3] offset:16384
	;; [unrolled: 1-line block ×6, first 2 shown]
	s_wait_xcnt 0x0
	ds_load_u8 v0, v112
	s_get_pc_i64 s[50:51]
	s_add_nc_u64 s[50:51], s[50:51], _ZN12_GLOBAL__N_111calc_igammaIfEET_S1_S1_@rel64+4
                                        ; implicit-def: $vgpr43
	s_wait_dscnt 0x0
	v_and_b32_e32 v2, 1, v0
	s_delay_alu instid0(VALU_DEP_1)
	v_cmp_eq_u32_e32 vcc_lo, 1, v2
	ds_store_b8 v112, v2 offset:512
	s_xor_b32 s55, vcc_lo, -1
	s_wait_loadcnt 0x9
	v_lshlrev_b32_e32 v0, 16, v108
	v_bfe_u32 v1, v44, 16, 1
	v_cmp_o_f32_e64 s0, v44, v44
	s_delay_alu instid0(VALU_DEP_2) | instskip(NEXT) | instid1(VALU_DEP_1)
	v_add3_u32 v1, v44, v1, 0x7fff
	v_and_b32_e32 v1, 0xffff0000, v1
	s_delay_alu instid0(VALU_DEP_1) | instskip(SKIP_1) | instid1(SALU_CYCLE_1)
	v_cndmask_b32_e64 v1, 0x7fc00000, v1, s0
	s_and_saveexec_b32 s0, s55
	s_xor_b32 s52, exec_lo, s0
	s_cbranch_execz .LBB32_5
; %bb.4:
	s_swap_pc_i64 s[30:31], s[50:51]
	v_mov_b32_e32 v43, v0
                                        ; implicit-def: $vgpr0
                                        ; implicit-def: $vgpr1
.LBB32_5:
	s_or_saveexec_b32 s26, s52
	s_get_pc_i64 s[52:53]
	s_add_nc_u64 s[52:53], s[52:53], _ZN12_GLOBAL__N_112calc_igammacIfEET_S1_S1_@rel64+4
	s_xor_b32 exec_lo, exec_lo, s26
	s_cbranch_execz .LBB32_7
; %bb.6:
	s_swap_pc_i64 s[30:31], s[52:53]
	v_mov_b32_e32 v43, v0
.LBB32_7:
	s_or_b32 exec_lo, exec_lo, s26
	v_bfe_u32 v0, v45, 16, 1
	v_cmp_o_f32_e32 vcc_lo, v45, v45
                                        ; implicit-def: $vgpr44
	s_delay_alu instid0(VALU_DEP_2) | instskip(NEXT) | instid1(VALU_DEP_1)
	v_add3_u32 v0, v45, v0, 0x7fff
	v_and_b32_e32 v1, 0xffff0000, v0
	v_and_b32_e32 v0, 0xffff0000, v108
	s_delay_alu instid0(VALU_DEP_2) | instskip(SKIP_1) | instid1(SALU_CYCLE_1)
	v_cndmask_b32_e32 v1, 0x7fc00000, v1, vcc_lo
	s_and_saveexec_b32 s0, s55
	s_xor_b32 s56, exec_lo, s0
	s_cbranch_execz .LBB32_9
; %bb.8:
	s_swap_pc_i64 s[30:31], s[50:51]
	v_mov_b32_e32 v44, v0
                                        ; implicit-def: $vgpr0
                                        ; implicit-def: $vgpr1
.LBB32_9:
	s_and_not1_saveexec_b32 s26, s56
	s_cbranch_execz .LBB32_11
; %bb.10:
	s_swap_pc_i64 s[30:31], s[52:53]
	v_mov_b32_e32 v44, v0
.LBB32_11:
	s_or_b32 exec_lo, exec_lo, s26
	v_bfe_u32 v0, v46, 16, 1
	v_cmp_o_f32_e32 vcc_lo, v46, v46
                                        ; implicit-def: $vgpr45
	s_delay_alu instid0(VALU_DEP_2) | instskip(NEXT) | instid1(VALU_DEP_1)
	v_add3_u32 v0, v46, v0, 0x7fff
	v_and_b32_e32 v1, 0xffff0000, v0
	v_lshlrev_b32_e32 v0, 16, v109
	s_delay_alu instid0(VALU_DEP_2) | instskip(SKIP_1) | instid1(SALU_CYCLE_1)
	v_cndmask_b32_e32 v1, 0x7fc00000, v1, vcc_lo
	s_and_saveexec_b32 s0, s55
	s_xor_b32 s56, exec_lo, s0
	s_cbranch_execz .LBB32_13
; %bb.12:
	s_swap_pc_i64 s[30:31], s[50:51]
	v_mov_b32_e32 v45, v0
                                        ; implicit-def: $vgpr0
                                        ; implicit-def: $vgpr1
.LBB32_13:
	s_and_not1_saveexec_b32 s26, s56
	s_cbranch_execz .LBB32_15
; %bb.14:
	s_swap_pc_i64 s[30:31], s[52:53]
	v_mov_b32_e32 v45, v0
.LBB32_15:
	s_or_b32 exec_lo, exec_lo, s26
	v_bfe_u32 v0, v47, 16, 1
	v_cmp_o_f32_e32 vcc_lo, v47, v47
                                        ; implicit-def: $vgpr46
	s_delay_alu instid0(VALU_DEP_2) | instskip(NEXT) | instid1(VALU_DEP_1)
	v_add3_u32 v0, v47, v0, 0x7fff
	v_and_b32_e32 v1, 0xffff0000, v0
	v_and_b32_e32 v0, 0xffff0000, v109
	s_delay_alu instid0(VALU_DEP_2) | instskip(SKIP_1) | instid1(SALU_CYCLE_1)
	v_cndmask_b32_e32 v1, 0x7fc00000, v1, vcc_lo
	s_and_saveexec_b32 s0, s55
	s_xor_b32 s56, exec_lo, s0
	s_cbranch_execz .LBB32_17
; %bb.16:
	s_swap_pc_i64 s[30:31], s[50:51]
	v_mov_b32_e32 v46, v0
                                        ; implicit-def: $vgpr0
                                        ; implicit-def: $vgpr1
.LBB32_17:
	s_and_not1_saveexec_b32 s26, s56
	s_cbranch_execz .LBB32_19
; %bb.18:
	s_swap_pc_i64 s[30:31], s[52:53]
	v_mov_b32_e32 v46, v0
.LBB32_19:
	s_or_b32 exec_lo, exec_lo, s26
	v_bfe_u32 v0, v56, 16, 1
	v_cmp_o_f32_e32 vcc_lo, v56, v56
                                        ; implicit-def: $vgpr47
	s_delay_alu instid0(VALU_DEP_2) | instskip(NEXT) | instid1(VALU_DEP_1)
	v_add3_u32 v0, v56, v0, 0x7fff
	v_and_b32_e32 v1, 0xffff0000, v0
	s_delay_alu instid0(VALU_DEP_1) | instskip(SKIP_1) | instid1(SALU_CYCLE_1)
	v_dual_cndmask_b32 v1, 0x7fc00000, v1 :: v_dual_lshlrev_b32 v0, 16, v110
	s_and_saveexec_b32 s0, s55
	s_xor_b32 s56, exec_lo, s0
	s_cbranch_execz .LBB32_21
; %bb.20:
	s_swap_pc_i64 s[30:31], s[50:51]
	v_mov_b32_e32 v47, v0
                                        ; implicit-def: $vgpr0
                                        ; implicit-def: $vgpr1
.LBB32_21:
	s_and_not1_saveexec_b32 s26, s56
	s_cbranch_execz .LBB32_23
; %bb.22:
	s_swap_pc_i64 s[30:31], s[52:53]
	v_mov_b32_e32 v47, v0
.LBB32_23:
	s_or_b32 exec_lo, exec_lo, s26
	v_bfe_u32 v0, v57, 16, 1
	v_cmp_o_f32_e32 vcc_lo, v57, v57
                                        ; implicit-def: $vgpr56
	s_delay_alu instid0(VALU_DEP_2) | instskip(NEXT) | instid1(VALU_DEP_1)
	v_add3_u32 v0, v57, v0, 0x7fff
	v_and_b32_e32 v1, 0xffff0000, v0
	v_and_b32_e32 v0, 0xffff0000, v110
	s_delay_alu instid0(VALU_DEP_2) | instskip(SKIP_1) | instid1(SALU_CYCLE_1)
	v_cndmask_b32_e32 v1, 0x7fc00000, v1, vcc_lo
	s_and_saveexec_b32 s0, s55
	s_xor_b32 s56, exec_lo, s0
	s_cbranch_execz .LBB32_25
; %bb.24:
	s_swap_pc_i64 s[30:31], s[50:51]
	v_mov_b32_e32 v56, v0
                                        ; implicit-def: $vgpr0
                                        ; implicit-def: $vgpr1
.LBB32_25:
	s_and_not1_saveexec_b32 s26, s56
	s_cbranch_execz .LBB32_27
; %bb.26:
	s_swap_pc_i64 s[30:31], s[52:53]
	v_mov_b32_e32 v56, v0
.LBB32_27:
	s_or_b32 exec_lo, exec_lo, s26
	v_bfe_u32 v0, v58, 16, 1
	v_cmp_o_f32_e32 vcc_lo, v58, v58
                                        ; implicit-def: $vgpr57
	s_delay_alu instid0(VALU_DEP_2) | instskip(NEXT) | instid1(VALU_DEP_1)
	v_add3_u32 v0, v58, v0, 0x7fff
	v_and_b32_e32 v1, 0xffff0000, v0
	s_delay_alu instid0(VALU_DEP_1) | instskip(SKIP_1) | instid1(SALU_CYCLE_1)
	v_dual_cndmask_b32 v1, 0x7fc00000, v1 :: v_dual_lshlrev_b32 v0, 16, v111
	s_and_saveexec_b32 s0, s55
	s_xor_b32 s56, exec_lo, s0
	s_cbranch_execz .LBB32_29
; %bb.28:
	s_swap_pc_i64 s[30:31], s[50:51]
	v_mov_b32_e32 v57, v0
                                        ; implicit-def: $vgpr0
                                        ; implicit-def: $vgpr1
.LBB32_29:
	s_and_not1_saveexec_b32 s26, s56
	s_cbranch_execz .LBB32_31
; %bb.30:
	s_swap_pc_i64 s[30:31], s[52:53]
	v_mov_b32_e32 v57, v0
.LBB32_31:
	s_or_b32 exec_lo, exec_lo, s26
	v_bfe_u32 v0, v59, 16, 1
	v_cmp_o_f32_e32 vcc_lo, v59, v59
                                        ; implicit-def: $vgpr58
	s_delay_alu instid0(VALU_DEP_2) | instskip(NEXT) | instid1(VALU_DEP_1)
	v_add3_u32 v0, v59, v0, 0x7fff
	v_and_b32_e32 v1, 0xffff0000, v0
	v_and_b32_e32 v0, 0xffff0000, v111
	s_delay_alu instid0(VALU_DEP_2) | instskip(SKIP_1) | instid1(SALU_CYCLE_1)
	v_cndmask_b32_e32 v1, 0x7fc00000, v1, vcc_lo
	s_and_saveexec_b32 s0, s55
	s_xor_b32 s56, exec_lo, s0
	s_cbranch_execz .LBB32_33
; %bb.32:
	s_swap_pc_i64 s[30:31], s[50:51]
	v_mov_b32_e32 v58, v0
                                        ; implicit-def: $vgpr0
                                        ; implicit-def: $vgpr1
.LBB32_33:
	s_and_not1_saveexec_b32 s26, s56
	s_cbranch_execz .LBB32_35
; %bb.34:
	s_swap_pc_i64 s[30:31], s[52:53]
	v_mov_b32_e32 v58, v0
.LBB32_35:
	s_or_b32 exec_lo, exec_lo, s26
	s_wait_loadcnt 0x4
	v_bfe_u32 v0, v60, 16, 1
	v_cmp_o_f32_e32 vcc_lo, v60, v60
                                        ; implicit-def: $vgpr59
	s_delay_alu instid0(VALU_DEP_2) | instskip(NEXT) | instid1(VALU_DEP_1)
	v_add3_u32 v0, v60, v0, 0x7fff
	v_and_b32_e32 v1, 0xffff0000, v0
	s_delay_alu instid0(VALU_DEP_1) | instskip(SKIP_1) | instid1(SALU_CYCLE_1)
	v_dual_cndmask_b32 v1, 0x7fc00000, v1 :: v_dual_lshlrev_b32 v0, 16, v72
	s_and_saveexec_b32 s0, s55
	s_xor_b32 s56, exec_lo, s0
	s_cbranch_execz .LBB32_37
; %bb.36:
	s_swap_pc_i64 s[30:31], s[50:51]
	v_mov_b32_e32 v59, v0
                                        ; implicit-def: $vgpr0
                                        ; implicit-def: $vgpr1
.LBB32_37:
	s_and_not1_saveexec_b32 s26, s56
	s_cbranch_execz .LBB32_39
; %bb.38:
	s_swap_pc_i64 s[30:31], s[52:53]
	v_mov_b32_e32 v59, v0
.LBB32_39:
	s_or_b32 exec_lo, exec_lo, s26
	v_bfe_u32 v0, v61, 16, 1
	v_cmp_o_f32_e32 vcc_lo, v61, v61
                                        ; implicit-def: $vgpr60
	s_delay_alu instid0(VALU_DEP_2) | instskip(NEXT) | instid1(VALU_DEP_1)
	v_add3_u32 v0, v61, v0, 0x7fff
	v_and_b32_e32 v1, 0xffff0000, v0
	v_and_b32_e32 v0, 0xffff0000, v72
	s_delay_alu instid0(VALU_DEP_2) | instskip(SKIP_1) | instid1(SALU_CYCLE_1)
	v_cndmask_b32_e32 v1, 0x7fc00000, v1, vcc_lo
	s_and_saveexec_b32 s0, s55
	s_xor_b32 s56, exec_lo, s0
	s_cbranch_execz .LBB32_41
; %bb.40:
	s_swap_pc_i64 s[30:31], s[50:51]
	v_mov_b32_e32 v60, v0
                                        ; implicit-def: $vgpr0
                                        ; implicit-def: $vgpr1
.LBB32_41:
	s_and_not1_saveexec_b32 s26, s56
	s_cbranch_execz .LBB32_43
; %bb.42:
	s_swap_pc_i64 s[30:31], s[52:53]
	v_mov_b32_e32 v60, v0
.LBB32_43:
	s_or_b32 exec_lo, exec_lo, s26
	v_bfe_u32 v0, v62, 16, 1
	v_cmp_o_f32_e32 vcc_lo, v62, v62
                                        ; implicit-def: $vgpr61
	s_delay_alu instid0(VALU_DEP_2) | instskip(NEXT) | instid1(VALU_DEP_1)
	v_add3_u32 v0, v62, v0, 0x7fff
	v_and_b32_e32 v1, 0xffff0000, v0
	v_lshlrev_b32_e32 v0, 16, v73
	s_delay_alu instid0(VALU_DEP_2) | instskip(SKIP_1) | instid1(SALU_CYCLE_1)
	v_cndmask_b32_e32 v1, 0x7fc00000, v1, vcc_lo
	s_and_saveexec_b32 s0, s55
	s_xor_b32 s56, exec_lo, s0
	s_cbranch_execz .LBB32_45
; %bb.44:
	s_swap_pc_i64 s[30:31], s[50:51]
	v_mov_b32_e32 v61, v0
                                        ; implicit-def: $vgpr0
                                        ; implicit-def: $vgpr1
.LBB32_45:
	s_and_not1_saveexec_b32 s26, s56
	s_cbranch_execz .LBB32_47
; %bb.46:
	s_swap_pc_i64 s[30:31], s[52:53]
	v_mov_b32_e32 v61, v0
.LBB32_47:
	s_or_b32 exec_lo, exec_lo, s26
	v_bfe_u32 v0, v63, 16, 1
	v_cmp_o_f32_e32 vcc_lo, v63, v63
                                        ; implicit-def: $vgpr62
	s_delay_alu instid0(VALU_DEP_2) | instskip(NEXT) | instid1(VALU_DEP_1)
	v_add3_u32 v0, v63, v0, 0x7fff
	v_and_b32_e32 v1, 0xffff0000, v0
	v_and_b32_e32 v0, 0xffff0000, v73
	s_delay_alu instid0(VALU_DEP_2) | instskip(SKIP_1) | instid1(SALU_CYCLE_1)
	v_cndmask_b32_e32 v1, 0x7fc00000, v1, vcc_lo
	s_and_saveexec_b32 s0, s55
	s_xor_b32 s56, exec_lo, s0
	s_cbranch_execz .LBB32_49
; %bb.48:
	s_swap_pc_i64 s[30:31], s[50:51]
	v_mov_b32_e32 v62, v0
                                        ; implicit-def: $vgpr0
                                        ; implicit-def: $vgpr1
.LBB32_49:
	s_and_not1_saveexec_b32 s26, s56
	s_cbranch_execz .LBB32_51
; %bb.50:
	s_swap_pc_i64 s[30:31], s[52:53]
	v_mov_b32_e32 v62, v0
.LBB32_51:
	s_or_b32 exec_lo, exec_lo, s26
	v_bfe_u32 v0, v104, 16, 1
	v_cmp_o_f32_e32 vcc_lo, v104, v104
                                        ; implicit-def: $vgpr63
	s_delay_alu instid0(VALU_DEP_2) | instskip(NEXT) | instid1(VALU_DEP_1)
	v_add3_u32 v0, v104, v0, 0x7fff
	v_and_b32_e32 v1, 0xffff0000, v0
	s_delay_alu instid0(VALU_DEP_1) | instskip(SKIP_1) | instid1(SALU_CYCLE_1)
	v_dual_cndmask_b32 v1, 0x7fc00000, v1 :: v_dual_lshlrev_b32 v0, 16, v74
	s_and_saveexec_b32 s0, s55
	s_xor_b32 s56, exec_lo, s0
	s_cbranch_execz .LBB32_53
; %bb.52:
	s_swap_pc_i64 s[30:31], s[50:51]
	v_mov_b32_e32 v63, v0
                                        ; implicit-def: $vgpr0
                                        ; implicit-def: $vgpr1
.LBB32_53:
	s_and_not1_saveexec_b32 s26, s56
	s_cbranch_execz .LBB32_55
; %bb.54:
	s_swap_pc_i64 s[30:31], s[52:53]
	v_mov_b32_e32 v63, v0
.LBB32_55:
	s_or_b32 exec_lo, exec_lo, s26
	v_bfe_u32 v0, v105, 16, 1
	v_cmp_o_f32_e32 vcc_lo, v105, v105
                                        ; implicit-def: $vgpr72
	s_delay_alu instid0(VALU_DEP_2) | instskip(NEXT) | instid1(VALU_DEP_1)
	v_add3_u32 v0, v105, v0, 0x7fff
	v_and_b32_e32 v1, 0xffff0000, v0
	v_and_b32_e32 v0, 0xffff0000, v74
	s_delay_alu instid0(VALU_DEP_2) | instskip(SKIP_1) | instid1(SALU_CYCLE_1)
	v_cndmask_b32_e32 v1, 0x7fc00000, v1, vcc_lo
	s_and_saveexec_b32 s0, s55
	s_xor_b32 s56, exec_lo, s0
	s_cbranch_execz .LBB32_57
; %bb.56:
	s_swap_pc_i64 s[30:31], s[50:51]
	v_mov_b32_e32 v72, v0
                                        ; implicit-def: $vgpr0
                                        ; implicit-def: $vgpr1
.LBB32_57:
	s_and_not1_saveexec_b32 s26, s56
	s_cbranch_execz .LBB32_59
; %bb.58:
	s_swap_pc_i64 s[30:31], s[52:53]
	v_mov_b32_e32 v72, v0
.LBB32_59:
	s_or_b32 exec_lo, exec_lo, s26
	v_bfe_u32 v0, v106, 16, 1
	v_cmp_o_f32_e32 vcc_lo, v106, v106
                                        ; implicit-def: $vgpr73
	s_delay_alu instid0(VALU_DEP_2) | instskip(NEXT) | instid1(VALU_DEP_1)
	v_add3_u32 v0, v106, v0, 0x7fff
	v_and_b32_e32 v1, 0xffff0000, v0
	s_delay_alu instid0(VALU_DEP_1) | instskip(SKIP_1) | instid1(SALU_CYCLE_1)
	v_dual_cndmask_b32 v1, 0x7fc00000, v1 :: v_dual_lshlrev_b32 v0, 16, v75
	s_and_saveexec_b32 s0, s55
	s_xor_b32 s56, exec_lo, s0
	s_cbranch_execz .LBB32_61
; %bb.60:
	s_swap_pc_i64 s[30:31], s[50:51]
	v_mov_b32_e32 v73, v0
                                        ; implicit-def: $vgpr0
                                        ; implicit-def: $vgpr1
.LBB32_61:
	s_and_not1_saveexec_b32 s26, s56
	s_cbranch_execz .LBB32_63
; %bb.62:
	s_swap_pc_i64 s[30:31], s[52:53]
	v_mov_b32_e32 v73, v0
.LBB32_63:
	s_or_b32 exec_lo, exec_lo, s26
	v_bfe_u32 v0, v107, 16, 1
	v_cmp_o_f32_e32 vcc_lo, v107, v107
                                        ; implicit-def: $vgpr74
	s_delay_alu instid0(VALU_DEP_2) | instskip(NEXT) | instid1(VALU_DEP_1)
	v_add3_u32 v0, v107, v0, 0x7fff
	v_and_b32_e32 v1, 0xffff0000, v0
	v_and_b32_e32 v0, 0xffff0000, v75
	s_delay_alu instid0(VALU_DEP_2) | instskip(SKIP_1) | instid1(SALU_CYCLE_1)
	v_cndmask_b32_e32 v1, 0x7fc00000, v1, vcc_lo
	s_and_saveexec_b32 s0, s55
	s_xor_b32 s56, exec_lo, s0
	s_cbranch_execz .LBB32_65
; %bb.64:
	s_swap_pc_i64 s[30:31], s[50:51]
	v_mov_b32_e32 v74, v0
                                        ; implicit-def: $vgpr0
                                        ; implicit-def: $vgpr1
.LBB32_65:
	s_and_not1_saveexec_b32 s26, s56
	s_cbranch_execz .LBB32_67
; %bb.66:
	s_swap_pc_i64 s[30:31], s[52:53]
	v_mov_b32_e32 v74, v0
.LBB32_67:
	s_or_b32 exec_lo, exec_lo, s26
	s_wait_loadcnt 0x2
	v_bfe_u32 v0, v76, 16, 1
	v_cmp_o_f32_e32 vcc_lo, v76, v76
                                        ; implicit-def: $vgpr75
	s_delay_alu instid0(VALU_DEP_2) | instskip(NEXT) | instid1(VALU_DEP_1)
	v_add3_u32 v0, v76, v0, 0x7fff
	v_and_b32_e32 v1, 0xffff0000, v0
	s_delay_alu instid0(VALU_DEP_1) | instskip(SKIP_1) | instid1(SALU_CYCLE_1)
	v_dual_cndmask_b32 v1, 0x7fc00000, v1 :: v_dual_lshlrev_b32 v0, 16, v84
	s_and_saveexec_b32 s0, s55
	s_xor_b32 s56, exec_lo, s0
	s_cbranch_execz .LBB32_69
; %bb.68:
	s_swap_pc_i64 s[30:31], s[50:51]
	v_mov_b32_e32 v75, v0
                                        ; implicit-def: $vgpr0
                                        ; implicit-def: $vgpr1
.LBB32_69:
	s_and_not1_saveexec_b32 s26, s56
	s_cbranch_execz .LBB32_71
; %bb.70:
	s_swap_pc_i64 s[30:31], s[52:53]
	v_mov_b32_e32 v75, v0
.LBB32_71:
	s_or_b32 exec_lo, exec_lo, s26
	v_bfe_u32 v0, v77, 16, 1
	v_cmp_o_f32_e32 vcc_lo, v77, v77
                                        ; implicit-def: $vgpr76
	s_delay_alu instid0(VALU_DEP_2) | instskip(NEXT) | instid1(VALU_DEP_1)
	v_add3_u32 v0, v77, v0, 0x7fff
	v_and_b32_e32 v1, 0xffff0000, v0
	v_and_b32_e32 v0, 0xffff0000, v84
	s_delay_alu instid0(VALU_DEP_2) | instskip(SKIP_1) | instid1(SALU_CYCLE_1)
	v_cndmask_b32_e32 v1, 0x7fc00000, v1, vcc_lo
	s_and_saveexec_b32 s0, s55
	s_xor_b32 s56, exec_lo, s0
	s_cbranch_execz .LBB32_73
; %bb.72:
	s_swap_pc_i64 s[30:31], s[50:51]
	v_mov_b32_e32 v76, v0
                                        ; implicit-def: $vgpr0
                                        ; implicit-def: $vgpr1
.LBB32_73:
	s_and_not1_saveexec_b32 s26, s56
	s_cbranch_execz .LBB32_75
; %bb.74:
	s_swap_pc_i64 s[30:31], s[52:53]
	v_mov_b32_e32 v76, v0
.LBB32_75:
	s_or_b32 exec_lo, exec_lo, s26
	v_bfe_u32 v0, v78, 16, 1
	v_cmp_o_f32_e32 vcc_lo, v78, v78
                                        ; implicit-def: $vgpr77
	s_delay_alu instid0(VALU_DEP_2) | instskip(NEXT) | instid1(VALU_DEP_1)
	v_add3_u32 v0, v78, v0, 0x7fff
	v_and_b32_e32 v1, 0xffff0000, v0
	v_lshlrev_b32_e32 v0, 16, v85
	s_delay_alu instid0(VALU_DEP_2) | instskip(SKIP_1) | instid1(SALU_CYCLE_1)
	v_cndmask_b32_e32 v1, 0x7fc00000, v1, vcc_lo
	s_and_saveexec_b32 s0, s55
	s_xor_b32 s56, exec_lo, s0
	s_cbranch_execz .LBB32_77
; %bb.76:
	s_swap_pc_i64 s[30:31], s[50:51]
	v_mov_b32_e32 v77, v0
                                        ; implicit-def: $vgpr0
                                        ; implicit-def: $vgpr1
.LBB32_77:
	s_and_not1_saveexec_b32 s26, s56
	s_cbranch_execz .LBB32_79
; %bb.78:
	s_swap_pc_i64 s[30:31], s[52:53]
	v_mov_b32_e32 v77, v0
.LBB32_79:
	s_or_b32 exec_lo, exec_lo, s26
	v_bfe_u32 v0, v79, 16, 1
	v_cmp_o_f32_e32 vcc_lo, v79, v79
                                        ; implicit-def: $vgpr78
	s_delay_alu instid0(VALU_DEP_2) | instskip(NEXT) | instid1(VALU_DEP_1)
	v_add3_u32 v0, v79, v0, 0x7fff
	v_and_b32_e32 v1, 0xffff0000, v0
	v_and_b32_e32 v0, 0xffff0000, v85
	s_delay_alu instid0(VALU_DEP_2) | instskip(SKIP_1) | instid1(SALU_CYCLE_1)
	v_cndmask_b32_e32 v1, 0x7fc00000, v1, vcc_lo
	s_and_saveexec_b32 s0, s55
	s_xor_b32 s56, exec_lo, s0
	s_cbranch_execz .LBB32_81
; %bb.80:
	s_swap_pc_i64 s[30:31], s[50:51]
	v_mov_b32_e32 v78, v0
                                        ; implicit-def: $vgpr0
                                        ; implicit-def: $vgpr1
.LBB32_81:
	s_and_not1_saveexec_b32 s26, s56
	s_cbranch_execz .LBB32_83
; %bb.82:
	s_swap_pc_i64 s[30:31], s[52:53]
	v_mov_b32_e32 v78, v0
.LBB32_83:
	s_or_b32 exec_lo, exec_lo, s26
	v_bfe_u32 v0, v100, 16, 1
	v_cmp_o_f32_e32 vcc_lo, v100, v100
                                        ; implicit-def: $vgpr79
	s_delay_alu instid0(VALU_DEP_2) | instskip(NEXT) | instid1(VALU_DEP_1)
	v_add3_u32 v0, v100, v0, 0x7fff
	v_and_b32_e32 v1, 0xffff0000, v0
	s_delay_alu instid0(VALU_DEP_1) | instskip(SKIP_1) | instid1(SALU_CYCLE_1)
	v_dual_cndmask_b32 v1, 0x7fc00000, v1 :: v_dual_lshlrev_b32 v0, 16, v86
	s_and_saveexec_b32 s0, s55
	s_xor_b32 s56, exec_lo, s0
	s_cbranch_execz .LBB32_85
; %bb.84:
	s_swap_pc_i64 s[30:31], s[50:51]
	v_mov_b32_e32 v79, v0
                                        ; implicit-def: $vgpr0
                                        ; implicit-def: $vgpr1
.LBB32_85:
	s_and_not1_saveexec_b32 s26, s56
	s_cbranch_execz .LBB32_87
; %bb.86:
	s_swap_pc_i64 s[30:31], s[52:53]
	v_mov_b32_e32 v79, v0
.LBB32_87:
	s_or_b32 exec_lo, exec_lo, s26
	v_bfe_u32 v0, v101, 16, 1
	v_cmp_o_f32_e32 vcc_lo, v101, v101
                                        ; implicit-def: $vgpr84
	s_delay_alu instid0(VALU_DEP_2) | instskip(NEXT) | instid1(VALU_DEP_1)
	v_add3_u32 v0, v101, v0, 0x7fff
	v_and_b32_e32 v1, 0xffff0000, v0
	v_and_b32_e32 v0, 0xffff0000, v86
	s_delay_alu instid0(VALU_DEP_2) | instskip(SKIP_1) | instid1(SALU_CYCLE_1)
	v_cndmask_b32_e32 v1, 0x7fc00000, v1, vcc_lo
	s_and_saveexec_b32 s0, s55
	s_xor_b32 s56, exec_lo, s0
	s_cbranch_execz .LBB32_89
; %bb.88:
	s_swap_pc_i64 s[30:31], s[50:51]
	v_mov_b32_e32 v84, v0
                                        ; implicit-def: $vgpr0
                                        ; implicit-def: $vgpr1
.LBB32_89:
	s_and_not1_saveexec_b32 s26, s56
	s_cbranch_execz .LBB32_91
; %bb.90:
	s_swap_pc_i64 s[30:31], s[52:53]
	v_mov_b32_e32 v84, v0
.LBB32_91:
	s_or_b32 exec_lo, exec_lo, s26
	v_bfe_u32 v0, v102, 16, 1
	v_cmp_o_f32_e32 vcc_lo, v102, v102
                                        ; implicit-def: $vgpr85
	s_delay_alu instid0(VALU_DEP_2) | instskip(NEXT) | instid1(VALU_DEP_1)
	v_add3_u32 v0, v102, v0, 0x7fff
	v_and_b32_e32 v1, 0xffff0000, v0
	s_delay_alu instid0(VALU_DEP_1) | instskip(SKIP_1) | instid1(SALU_CYCLE_1)
	v_dual_cndmask_b32 v1, 0x7fc00000, v1 :: v_dual_lshlrev_b32 v0, 16, v87
	s_and_saveexec_b32 s0, s55
	s_xor_b32 s56, exec_lo, s0
	s_cbranch_execz .LBB32_93
; %bb.92:
	s_swap_pc_i64 s[30:31], s[50:51]
	v_mov_b32_e32 v85, v0
                                        ; implicit-def: $vgpr0
                                        ; implicit-def: $vgpr1
.LBB32_93:
	s_and_not1_saveexec_b32 s26, s56
	s_cbranch_execz .LBB32_95
; %bb.94:
	s_swap_pc_i64 s[30:31], s[52:53]
	v_mov_b32_e32 v85, v0
.LBB32_95:
	s_or_b32 exec_lo, exec_lo, s26
	v_bfe_u32 v0, v103, 16, 1
	v_cmp_o_f32_e32 vcc_lo, v103, v103
                                        ; implicit-def: $vgpr86
	s_delay_alu instid0(VALU_DEP_2) | instskip(NEXT) | instid1(VALU_DEP_1)
	v_add3_u32 v0, v103, v0, 0x7fff
	v_and_b32_e32 v1, 0xffff0000, v0
	v_and_b32_e32 v0, 0xffff0000, v87
	s_delay_alu instid0(VALU_DEP_2) | instskip(SKIP_1) | instid1(SALU_CYCLE_1)
	v_cndmask_b32_e32 v1, 0x7fc00000, v1, vcc_lo
	s_and_saveexec_b32 s0, s55
	s_xor_b32 s56, exec_lo, s0
	s_cbranch_execz .LBB32_97
; %bb.96:
	s_swap_pc_i64 s[30:31], s[50:51]
	v_mov_b32_e32 v86, v0
                                        ; implicit-def: $vgpr0
                                        ; implicit-def: $vgpr1
.LBB32_97:
	s_and_not1_saveexec_b32 s26, s56
	s_cbranch_execz .LBB32_99
; %bb.98:
	s_swap_pc_i64 s[30:31], s[52:53]
	v_mov_b32_e32 v86, v0
.LBB32_99:
	s_or_b32 exec_lo, exec_lo, s26
	s_wait_loadcnt 0x0
	v_bfe_u32 v0, v88, 16, 1
	v_cmp_o_f32_e32 vcc_lo, v88, v88
                                        ; implicit-def: $vgpr87
	s_delay_alu instid0(VALU_DEP_2) | instskip(NEXT) | instid1(VALU_DEP_1)
	v_add3_u32 v0, v88, v0, 0x7fff
	v_and_b32_e32 v1, 0xffff0000, v0
	s_delay_alu instid0(VALU_DEP_1) | instskip(SKIP_1) | instid1(SALU_CYCLE_1)
	v_dual_cndmask_b32 v1, 0x7fc00000, v1 :: v_dual_lshlrev_b32 v0, 16, v92
	s_and_saveexec_b32 s0, s55
	s_xor_b32 s56, exec_lo, s0
	s_cbranch_execz .LBB32_101
; %bb.100:
	s_swap_pc_i64 s[30:31], s[50:51]
	v_mov_b32_e32 v87, v0
                                        ; implicit-def: $vgpr0
                                        ; implicit-def: $vgpr1
.LBB32_101:
	s_and_not1_saveexec_b32 s26, s56
	s_cbranch_execz .LBB32_103
; %bb.102:
	s_swap_pc_i64 s[30:31], s[52:53]
	v_mov_b32_e32 v87, v0
.LBB32_103:
	s_or_b32 exec_lo, exec_lo, s26
	v_bfe_u32 v0, v89, 16, 1
	v_cmp_o_f32_e32 vcc_lo, v89, v89
                                        ; implicit-def: $vgpr88
	s_delay_alu instid0(VALU_DEP_2) | instskip(NEXT) | instid1(VALU_DEP_1)
	v_add3_u32 v0, v89, v0, 0x7fff
	v_and_b32_e32 v1, 0xffff0000, v0
	v_and_b32_e32 v0, 0xffff0000, v92
	s_delay_alu instid0(VALU_DEP_2) | instskip(SKIP_1) | instid1(SALU_CYCLE_1)
	v_cndmask_b32_e32 v1, 0x7fc00000, v1, vcc_lo
	s_and_saveexec_b32 s0, s55
	s_xor_b32 s56, exec_lo, s0
	s_cbranch_execz .LBB32_105
; %bb.104:
	s_swap_pc_i64 s[30:31], s[50:51]
	v_mov_b32_e32 v88, v0
                                        ; implicit-def: $vgpr0
                                        ; implicit-def: $vgpr1
.LBB32_105:
	s_and_not1_saveexec_b32 s26, s56
	s_cbranch_execz .LBB32_107
; %bb.106:
	s_swap_pc_i64 s[30:31], s[52:53]
	v_mov_b32_e32 v88, v0
.LBB32_107:
	s_or_b32 exec_lo, exec_lo, s26
	v_bfe_u32 v0, v90, 16, 1
	v_cmp_o_f32_e32 vcc_lo, v90, v90
                                        ; implicit-def: $vgpr89
	s_delay_alu instid0(VALU_DEP_2) | instskip(NEXT) | instid1(VALU_DEP_1)
	v_add3_u32 v0, v90, v0, 0x7fff
	v_and_b32_e32 v1, 0xffff0000, v0
	v_lshlrev_b32_e32 v0, 16, v93
	s_delay_alu instid0(VALU_DEP_2) | instskip(SKIP_1) | instid1(SALU_CYCLE_1)
	v_cndmask_b32_e32 v1, 0x7fc00000, v1, vcc_lo
	s_and_saveexec_b32 s0, s55
	s_xor_b32 s56, exec_lo, s0
	s_cbranch_execz .LBB32_109
; %bb.108:
	s_swap_pc_i64 s[30:31], s[50:51]
	v_mov_b32_e32 v89, v0
                                        ; implicit-def: $vgpr0
                                        ; implicit-def: $vgpr1
.LBB32_109:
	s_and_not1_saveexec_b32 s26, s56
	s_cbranch_execz .LBB32_111
; %bb.110:
	s_swap_pc_i64 s[30:31], s[52:53]
	v_mov_b32_e32 v89, v0
.LBB32_111:
	s_or_b32 exec_lo, exec_lo, s26
	v_bfe_u32 v0, v91, 16, 1
	v_cmp_o_f32_e32 vcc_lo, v91, v91
                                        ; implicit-def: $vgpr90
	s_delay_alu instid0(VALU_DEP_2) | instskip(NEXT) | instid1(VALU_DEP_1)
	v_add3_u32 v0, v91, v0, 0x7fff
	v_and_b32_e32 v1, 0xffff0000, v0
	v_and_b32_e32 v0, 0xffff0000, v93
	s_delay_alu instid0(VALU_DEP_2) | instskip(SKIP_1) | instid1(SALU_CYCLE_1)
	v_cndmask_b32_e32 v1, 0x7fc00000, v1, vcc_lo
	s_and_saveexec_b32 s0, s55
	s_xor_b32 s56, exec_lo, s0
	s_cbranch_execz .LBB32_113
; %bb.112:
	s_swap_pc_i64 s[30:31], s[50:51]
	v_mov_b32_e32 v90, v0
                                        ; implicit-def: $vgpr0
                                        ; implicit-def: $vgpr1
.LBB32_113:
	s_and_not1_saveexec_b32 s26, s56
	s_cbranch_execz .LBB32_115
; %bb.114:
	s_swap_pc_i64 s[30:31], s[52:53]
	v_mov_b32_e32 v90, v0
.LBB32_115:
	s_or_b32 exec_lo, exec_lo, s26
	v_bfe_u32 v0, v96, 16, 1
	v_cmp_o_f32_e32 vcc_lo, v96, v96
                                        ; implicit-def: $vgpr91
	s_delay_alu instid0(VALU_DEP_2) | instskip(NEXT) | instid1(VALU_DEP_1)
	v_add3_u32 v0, v96, v0, 0x7fff
	v_and_b32_e32 v1, 0xffff0000, v0
	s_delay_alu instid0(VALU_DEP_1) | instskip(SKIP_1) | instid1(SALU_CYCLE_1)
	v_dual_cndmask_b32 v1, 0x7fc00000, v1 :: v_dual_lshlrev_b32 v0, 16, v94
	s_and_saveexec_b32 s0, s55
	s_xor_b32 s56, exec_lo, s0
	s_cbranch_execz .LBB32_117
; %bb.116:
	s_swap_pc_i64 s[30:31], s[50:51]
	v_mov_b32_e32 v91, v0
                                        ; implicit-def: $vgpr0
                                        ; implicit-def: $vgpr1
.LBB32_117:
	s_and_not1_saveexec_b32 s26, s56
	s_cbranch_execz .LBB32_119
; %bb.118:
	s_swap_pc_i64 s[30:31], s[52:53]
	v_mov_b32_e32 v91, v0
.LBB32_119:
	s_or_b32 exec_lo, exec_lo, s26
	v_bfe_u32 v0, v97, 16, 1
	v_cmp_o_f32_e32 vcc_lo, v97, v97
                                        ; implicit-def: $vgpr92
	s_delay_alu instid0(VALU_DEP_2) | instskip(NEXT) | instid1(VALU_DEP_1)
	v_add3_u32 v0, v97, v0, 0x7fff
	v_and_b32_e32 v1, 0xffff0000, v0
	v_and_b32_e32 v0, 0xffff0000, v94
	s_delay_alu instid0(VALU_DEP_2) | instskip(SKIP_1) | instid1(SALU_CYCLE_1)
	v_cndmask_b32_e32 v1, 0x7fc00000, v1, vcc_lo
	s_and_saveexec_b32 s0, s55
	s_xor_b32 s56, exec_lo, s0
	s_cbranch_execz .LBB32_121
; %bb.120:
	s_swap_pc_i64 s[30:31], s[50:51]
	v_mov_b32_e32 v92, v0
                                        ; implicit-def: $vgpr0
                                        ; implicit-def: $vgpr1
.LBB32_121:
	s_and_not1_saveexec_b32 s26, s56
	s_cbranch_execz .LBB32_123
; %bb.122:
	s_swap_pc_i64 s[30:31], s[52:53]
	v_mov_b32_e32 v92, v0
.LBB32_123:
	s_or_b32 exec_lo, exec_lo, s26
	v_bfe_u32 v0, v98, 16, 1
	v_cmp_o_f32_e32 vcc_lo, v98, v98
                                        ; implicit-def: $vgpr93
	s_delay_alu instid0(VALU_DEP_2) | instskip(NEXT) | instid1(VALU_DEP_1)
	v_add3_u32 v0, v98, v0, 0x7fff
	v_and_b32_e32 v1, 0xffff0000, v0
	s_delay_alu instid0(VALU_DEP_1) | instskip(SKIP_1) | instid1(SALU_CYCLE_1)
	v_dual_cndmask_b32 v1, 0x7fc00000, v1 :: v_dual_lshlrev_b32 v0, 16, v95
	s_and_saveexec_b32 s0, s55
	s_xor_b32 s56, exec_lo, s0
	s_cbranch_execz .LBB32_125
; %bb.124:
	s_swap_pc_i64 s[30:31], s[50:51]
	v_mov_b32_e32 v93, v0
                                        ; implicit-def: $vgpr0
                                        ; implicit-def: $vgpr1
.LBB32_125:
	s_and_not1_saveexec_b32 s26, s56
	s_cbranch_execz .LBB32_127
; %bb.126:
	s_swap_pc_i64 s[30:31], s[52:53]
	v_mov_b32_e32 v93, v0
.LBB32_127:
	s_or_b32 exec_lo, exec_lo, s26
	v_bfe_u32 v0, v99, 16, 1
	v_cmp_o_f32_e32 vcc_lo, v99, v99
	v_and_b32_e32 v2, 0xffff0000, v95
	s_delay_alu instid0(VALU_DEP_3) | instskip(NEXT) | instid1(VALU_DEP_1)
	v_add3_u32 v0, v99, v0, 0x7fff
	v_and_b32_e32 v0, 0xffff0000, v0
	s_delay_alu instid0(VALU_DEP_1) | instskip(SKIP_1) | instid1(SALU_CYCLE_1)
	v_cndmask_b32_e32 v1, 0x7fc00000, v0, vcc_lo
                                        ; implicit-def: $vgpr0
	s_and_saveexec_b32 s0, s55
	s_xor_b32 s55, exec_lo, s0
	s_cbranch_execz .LBB32_129
; %bb.128:
	v_mov_b32_e32 v0, v2
	s_swap_pc_i64 s[30:31], s[50:51]
                                        ; implicit-def: $vgpr2
                                        ; implicit-def: $vgpr1
.LBB32_129:
	s_and_not1_saveexec_b32 s26, s55
	s_cbranch_execz .LBB32_131
; %bb.130:
	v_mov_b32_e32 v0, v2
	s_swap_pc_i64 s[30:31], s[52:53]
.LBB32_131:
	s_or_b32 exec_lo, exec_lo, s26
	v_bfe_u32 v1, v43, 16, 1
	v_bfe_u32 v2, v44, 16, 1
	v_bfe_u32 v5, v47, 16, 1
	v_bfe_u32 v8, v57, 16, 1
	v_cmp_o_f32_e32 vcc_lo, v43, v43
	v_add3_u32 v1, v43, v1, 0x7fff
	v_add3_u32 v2, v44, v2, 0x7fff
	v_bfe_u32 v7, v56, 16, 1
	v_add3_u32 v5, v47, v5, 0x7fff
	v_add3_u32 v8, v57, v8, 0x7fff
	s_delay_alu instid0(VALU_DEP_4) | instskip(SKIP_3) | instid1(VALU_DEP_4)
	v_dual_lshrrev_b32 v1, 16, v1 :: v_dual_lshrrev_b32 v2, 16, v2
	v_bfe_u32 v6, v58, 16, 1
	v_add3_u32 v7, v56, v7, 0x7fff
	v_bfe_u32 v3, v45, 16, 1
	v_dual_cndmask_b32 v1, 0x7fc0, v1 :: v_dual_lshrrev_b32 v8, 16, v8
	v_cmp_o_f32_e32 vcc_lo, v44, v44
	v_add3_u32 v6, v58, v6, 0x7fff
	v_dual_lshrrev_b32 v7, 16, v7 :: v_dual_lshrrev_b32 v5, 16, v5
	v_bfe_u32 v4, v46, 16, 1
	v_cndmask_b32_e32 v2, 0x7fc0, v2, vcc_lo
	v_cmp_o_f32_e32 vcc_lo, v47, v47
	v_lshrrev_b32_e32 v6, 16, v6
	v_add3_u32 v3, v45, v3, 0x7fff
	v_add3_u32 v4, v46, v4, 0x7fff
	v_bfe_u32 v12, v73, 16, 1
	v_cndmask_b32_e32 v9, 0x7fc0, v5, vcc_lo
	v_cmp_o_f32_e32 vcc_lo, v56, v56
	s_delay_alu instid0(VALU_DEP_4) | instskip(NEXT) | instid1(VALU_DEP_4)
	v_dual_lshrrev_b32 v3, 16, v3 :: v_dual_lshrrev_b32 v4, 16, v4
	v_add3_u32 v12, v73, v12, 0x7fff
	v_bfe_u32 v10, v62, 16, 1
	v_cndmask_b32_e32 v7, 0x7fc0, v7, vcc_lo
	v_cmp_o_f32_e32 vcc_lo, v57, v57
	v_perm_b32 v2, v2, v1, 0x5040100
	v_bfe_u32 v11, v72, 16, 1
	v_bfe_u32 v15, v85, 16, 1
	;; [unrolled: 1-line block ×3, first 2 shown]
	v_cndmask_b32_e32 v5, 0x7fc0, v8, vcc_lo
	v_cmp_o_f32_e32 vcc_lo, v58, v58
	v_add3_u32 v11, v72, v11, 0x7fff
	v_add3_u32 v15, v85, v15, 0x7fff
	v_bfe_u32 v16, v84, 16, 1
	v_lshrrev_b32_e32 v12, 16, v12
	v_cndmask_b32_e32 v6, 0x7fc0, v6, vcc_lo
	v_cmp_o_f32_e32 vcc_lo, v45, v45
	v_bfe_u32 v19, v89, 16, 1
	v_add3_u32 v16, v84, v16, 0x7fff
	v_bfe_u32 v18, v88, 16, 1
	v_bfe_u32 v20, v90, 16, 1
	v_cndmask_b32_e32 v3, 0x7fc0, v3, vcc_lo
	v_cmp_o_f32_e32 vcc_lo, v46, v46
	v_bfe_u32 v21, v93, 16, 1
	s_add_nc_u64 s[0:1], s[36:37], s[48:49]
	v_cndmask_b32_e32 v8, 0x7fc0, v4, vcc_lo
	v_perm_b32 v4, v7, v9, 0x5040100
	v_bfe_u32 v9, v61, 16, 1
	v_bfe_u32 v7, v60, 16, 1
	v_cmp_o_f32_e32 vcc_lo, v59, v59
	v_perm_b32 v3, v8, v3, 0x5040100
	s_delay_alu instid0(VALU_DEP_4) | instskip(SKIP_3) | instid1(VALU_DEP_2)
	v_add3_u32 v8, v61, v9, 0x7fff
	v_add3_u32 v9, v62, v10, 0x7fff
	v_bfe_u32 v10, v74, 16, 1
	v_add3_u32 v7, v60, v7, 0x7fff
	v_add3_u32 v10, v74, v10, 0x7fff
	s_delay_alu instid0(VALU_DEP_1) | instskip(SKIP_3) | instid1(VALU_DEP_2)
	v_lshrrev_b32_e32 v10, 16, v10
	v_perm_b32 v5, v6, v5, 0x5040100
	v_bfe_u32 v6, v59, 16, 1
	v_lshrrev_b32_e32 v11, 16, v11
	v_add3_u32 v6, v59, v6, 0x7fff
	s_delay_alu instid0(VALU_DEP_1) | instskip(SKIP_2) | instid1(VALU_DEP_3)
	v_dual_lshrrev_b32 v1, 16, v6 :: v_dual_lshrrev_b32 v6, 16, v7
	v_dual_lshrrev_b32 v7, 16, v8 :: v_dual_lshrrev_b32 v8, 16, v9
	v_bfe_u32 v9, v63, 16, 1
	v_cndmask_b32_e32 v1, 0x7fc0, v1, vcc_lo
	v_cmp_o_f32_e32 vcc_lo, v60, v60
	s_delay_alu instid0(VALU_DEP_3) | instskip(SKIP_2) | instid1(VALU_DEP_3)
	v_add3_u32 v9, v63, v9, 0x7fff
	v_cndmask_b32_e32 v6, 0x7fc0, v6, vcc_lo
	v_cmp_o_f32_e32 vcc_lo, v63, v63
	v_lshrrev_b32_e32 v9, 16, v9
	s_delay_alu instid0(VALU_DEP_3) | instskip(NEXT) | instid1(VALU_DEP_2)
	v_perm_b32 v6, v6, v1, 0x5040100
	v_cndmask_b32_e32 v13, 0x7fc0, v9, vcc_lo
	v_cmp_o_f32_e32 vcc_lo, v72, v72
	v_cndmask_b32_e32 v11, 0x7fc0, v11, vcc_lo
	v_cmp_o_f32_e32 vcc_lo, v73, v73
	;; [unrolled: 2-line block ×5, first 2 shown]
	v_cndmask_b32_e32 v12, 0x7fc0, v8, vcc_lo
	v_perm_b32 v8, v11, v13, 0x5040100
	v_bfe_u32 v13, v77, 16, 1
	v_bfe_u32 v11, v76, 16, 1
	v_cmp_o_f32_e32 vcc_lo, v75, v75
	v_perm_b32 v7, v12, v7, 0x5040100
	s_delay_alu instid0(VALU_DEP_4) | instskip(SKIP_3) | instid1(VALU_DEP_2)
	v_add3_u32 v12, v77, v13, 0x7fff
	v_add3_u32 v13, v78, v14, 0x7fff
	v_bfe_u32 v14, v86, 16, 1
	v_add3_u32 v11, v76, v11, 0x7fff
	v_add3_u32 v14, v86, v14, 0x7fff
	s_delay_alu instid0(VALU_DEP_1)
	v_lshrrev_b32_e32 v14, 16, v14
	v_perm_b32 v9, v10, v9, 0x5040100
	v_bfe_u32 v10, v75, 16, 1
	s_clause 0x1
	global_store_b128 v113, v[2:5], s[0:1] scale_offset
	global_store_b128 v113, v[6:9], s[0:1] offset:8192 scale_offset
	v_add3_u32 v10, v75, v10, 0x7fff
	s_delay_alu instid0(VALU_DEP_1) | instskip(NEXT) | instid1(VALU_DEP_1)
	v_dual_lshrrev_b32 v1, 16, v10 :: v_dual_lshrrev_b32 v10, 16, v11
	v_cndmask_b32_e32 v1, 0x7fc0, v1, vcc_lo
	v_cmp_o_f32_e32 vcc_lo, v76, v76
	v_dual_lshrrev_b32 v11, 16, v12 :: v_dual_lshrrev_b32 v12, 16, v13
	v_bfe_u32 v13, v79, 16, 1
	v_cndmask_b32_e32 v10, 0x7fc0, v10, vcc_lo
	v_cmp_o_f32_e32 vcc_lo, v77, v77
	s_delay_alu instid0(VALU_DEP_3) | instskip(SKIP_2) | instid1(VALU_DEP_3)
	v_add3_u32 v13, v79, v13, 0x7fff
	v_cndmask_b32_e32 v11, 0x7fc0, v11, vcc_lo
	v_cmp_o_f32_e32 vcc_lo, v78, v78
	v_lshrrev_b32_e32 v13, 16, v13
	v_dual_cndmask_b32 v17, 0x7fc0, v12 :: v_dual_lshrrev_b32 v12, 16, v15
	v_cmp_o_f32_e32 vcc_lo, v85, v85
	v_lshrrev_b32_e32 v15, 16, v16
	s_delay_alu instid0(VALU_DEP_3)
	v_cndmask_b32_e32 v12, 0x7fc0, v12, vcc_lo
	v_cmp_o_f32_e32 vcc_lo, v86, v86
	v_cndmask_b32_e32 v14, 0x7fc0, v14, vcc_lo
	v_cmp_o_f32_e32 vcc_lo, v79, v79
	;; [unrolled: 2-line block ×3, first 2 shown]
	s_delay_alu instid0(VALU_DEP_4) | instskip(SKIP_3) | instid1(VALU_DEP_3)
	v_perm_b32 v13, v14, v12, 0x5040100
	v_bfe_u32 v14, v87, 16, 1
	v_cndmask_b32_e32 v15, 0x7fc0, v15, vcc_lo
	v_cmp_o_f32_e32 vcc_lo, v87, v87
	v_add3_u32 v14, v87, v14, 0x7fff
	s_delay_alu instid0(VALU_DEP_3) | instskip(SKIP_1) | instid1(VALU_DEP_3)
	v_perm_b32 v12, v15, v16, 0x5040100
	v_add3_u32 v16, v89, v19, 0x7fff
	v_lshrrev_b32_e32 v14, 16, v14
	v_bfe_u32 v19, v0, 16, 1
	v_add3_u32 v15, v88, v18, 0x7fff
	v_add3_u32 v18, v90, v20, 0x7fff
	v_lshrrev_b32_e32 v16, 16, v16
	v_cndmask_b32_e32 v14, 0x7fc0, v14, vcc_lo
	v_cmp_o_f32_e32 vcc_lo, v89, v89
	v_bfe_u32 v20, v92, 16, 1
	v_lshrrev_b32_e32 v15, 16, v15
	v_perm_b32 v10, v10, v1, 0x5040100
	v_cndmask_b32_e32 v22, 0x7fc0, v16, vcc_lo
	v_add3_u32 v16, v0, v19, 0x7fff
	v_cmp_o_f32_e32 vcc_lo, v90, v90
	v_add3_u32 v19, v92, v20, 0x7fff
	v_add3_u32 v20, v93, v21, 0x7fff
	s_delay_alu instid0(VALU_DEP_4) | instskip(SKIP_3) | instid1(VALU_DEP_2)
	v_lshrrev_b32_e32 v16, 16, v16
	v_perm_b32 v11, v17, v11, 0x5040100
	v_lshrrev_b32_e32 v17, 16, v18
	v_bfe_u32 v18, v91, 16, 1
	v_cndmask_b32_e32 v21, 0x7fc0, v17, vcc_lo
	s_delay_alu instid0(VALU_DEP_2) | instskip(SKIP_1) | instid1(VALU_DEP_2)
	v_add3_u32 v18, v91, v18, 0x7fff
	v_cmp_o_f32_e32 vcc_lo, v91, v91
	v_dual_lshrrev_b32 v17, 16, v18 :: v_dual_lshrrev_b32 v18, 16, v19
	s_delay_alu instid0(VALU_DEP_1) | instskip(SKIP_1) | instid1(VALU_DEP_2)
	v_dual_cndmask_b32 v20, 0x7fc0, v17 :: v_dual_lshrrev_b32 v19, 16, v20
	v_cmp_o_f32_e32 vcc_lo, v93, v93
	v_cndmask_b32_e32 v17, 0x7fc0, v19, vcc_lo
	v_cmp_o_f32_e32 vcc_lo, v0, v0
	v_cndmask_b32_e32 v0, 0x7fc0, v16, vcc_lo
	v_cmp_o_f32_e32 vcc_lo, v92, v92
	s_delay_alu instid0(VALU_DEP_2) | instskip(SKIP_2) | instid1(VALU_DEP_2)
	v_perm_b32 v17, v0, v17, 0x5040100
	v_cndmask_b32_e32 v16, 0x7fc0, v18, vcc_lo
	v_cmp_o_f32_e32 vcc_lo, v88, v88
	v_perm_b32 v16, v16, v20, 0x5040100
	v_cndmask_b32_e32 v18, 0x7fc0, v15, vcc_lo
	v_perm_b32 v15, v21, v22, 0x5040100
	s_delay_alu instid0(VALU_DEP_2)
	v_perm_b32 v14, v18, v14, 0x5040100
	s_clause 0x1
	global_store_b128 v113, v[10:13], s[0:1] offset:16384 scale_offset
	global_store_b128 v113, v[14:17], s[0:1] offset:24576 scale_offset
	s_branch .LBB32_2
.LBB32_132:
	s_clause 0x1
	s_load_b32 s6, s[34:35], 0x24
	s_load_b128 s[0:3], s[34:35], 0x28
	ds_load_u8 v0, v112
	v_dual_mov_b32 v31, v42 :: v_dual_mov_b32 v1, s36
	v_dual_mov_b32 v2, s37 :: v_dual_mov_b32 v3, s38
	;; [unrolled: 1-line block ×4, first 2 shown]
	s_add_nc_u64 s[8:9], s[34:35], 56
	s_get_pc_i64 s[4:5]
	s_add_nc_u64 s[4:5], s[4:5], _ZN2at6native25elementwise_kernel_helperILb1EN12_GLOBAL__N_110CalcIgammaIfEENS0_6memory8policies11unroll_baseILi512ESt5arrayIPcLm3EE23TrivialOffsetCalculatorILi2EjESB_ILi1EjENS5_12LoadWithCastILi2EEENS5_13StoreWithCastILi1EEELi32ELi1EEEEEvT0_T1_@rel64+4
	s_wait_kmcnt 0x0
	s_bfe_u32 s7, s6, 0x80008
	v_dual_mov_b32 v8, s6 :: v_dual_mov_b32 v10, s0
	v_dual_mov_b32 v11, s1 :: v_dual_mov_b32 v12, s2
	;; [unrolled: 1-line block ×3, first 2 shown]
	s_swap_pc_i64 s[30:31], s[4:5]
	s_endpgm
	.section	.rodata,"a",@progbits
	.p2align	6, 0x0
	.amdhsa_kernel _ZN2at6native39vectorized_templated_elementwise_kernelILi8EN12_GLOBAL__N_110CalcIgammaIfEESt5arrayIPcLm3EE23TrivialOffsetCalculatorILi2EjES8_ILi1EjENS0_6memory12LoadWithCastILi2EEENSB_13StoreWithCastILi1EEEN3c108BFloat16EJSH_fEEEviT0_T1_T2_T3_T4_T5_
		.amdhsa_group_segment_fixed_size 1024
		.amdhsa_private_segment_fixed_size 448
		.amdhsa_kernarg_size 312
		.amdhsa_user_sgpr_count 4
		.amdhsa_user_sgpr_dispatch_ptr 1
		.amdhsa_user_sgpr_queue_ptr 0
		.amdhsa_user_sgpr_kernarg_segment_ptr 1
		.amdhsa_user_sgpr_dispatch_id 0
		.amdhsa_user_sgpr_kernarg_preload_length 0
		.amdhsa_user_sgpr_kernarg_preload_offset 0
		.amdhsa_user_sgpr_private_segment_size 0
		.amdhsa_wavefront_size32 1
		.amdhsa_uses_dynamic_stack 0
		.amdhsa_enable_private_segment 1
		.amdhsa_system_sgpr_workgroup_id_x 1
		.amdhsa_system_sgpr_workgroup_id_y 0
		.amdhsa_system_sgpr_workgroup_id_z 0
		.amdhsa_system_sgpr_workgroup_info 0
		.amdhsa_system_vgpr_workitem_id 2
		.amdhsa_next_free_vgpr 214
		.amdhsa_next_free_sgpr 96
		.amdhsa_named_barrier_count 0
		.amdhsa_reserve_vcc 1
		.amdhsa_float_round_mode_32 0
		.amdhsa_float_round_mode_16_64 0
		.amdhsa_float_denorm_mode_32 3
		.amdhsa_float_denorm_mode_16_64 3
		.amdhsa_fp16_overflow 0
		.amdhsa_memory_ordered 1
		.amdhsa_forward_progress 1
		.amdhsa_inst_pref_size 41
		.amdhsa_round_robin_scheduling 0
		.amdhsa_exception_fp_ieee_invalid_op 0
		.amdhsa_exception_fp_denorm_src 0
		.amdhsa_exception_fp_ieee_div_zero 0
		.amdhsa_exception_fp_ieee_overflow 0
		.amdhsa_exception_fp_ieee_underflow 0
		.amdhsa_exception_fp_ieee_inexact 0
		.amdhsa_exception_int_div_zero 0
	.end_amdhsa_kernel
	.section	.text._ZN2at6native39vectorized_templated_elementwise_kernelILi8EN12_GLOBAL__N_110CalcIgammaIfEESt5arrayIPcLm3EE23TrivialOffsetCalculatorILi2EjES8_ILi1EjENS0_6memory12LoadWithCastILi2EEENSB_13StoreWithCastILi1EEEN3c108BFloat16EJSH_fEEEviT0_T1_T2_T3_T4_T5_,"axG",@progbits,_ZN2at6native39vectorized_templated_elementwise_kernelILi8EN12_GLOBAL__N_110CalcIgammaIfEESt5arrayIPcLm3EE23TrivialOffsetCalculatorILi2EjES8_ILi1EjENS0_6memory12LoadWithCastILi2EEENSB_13StoreWithCastILi1EEEN3c108BFloat16EJSH_fEEEviT0_T1_T2_T3_T4_T5_,comdat
.Lfunc_end32:
	.size	_ZN2at6native39vectorized_templated_elementwise_kernelILi8EN12_GLOBAL__N_110CalcIgammaIfEESt5arrayIPcLm3EE23TrivialOffsetCalculatorILi2EjES8_ILi1EjENS0_6memory12LoadWithCastILi2EEENSB_13StoreWithCastILi1EEEN3c108BFloat16EJSH_fEEEviT0_T1_T2_T3_T4_T5_, .Lfunc_end32-_ZN2at6native39vectorized_templated_elementwise_kernelILi8EN12_GLOBAL__N_110CalcIgammaIfEESt5arrayIPcLm3EE23TrivialOffsetCalculatorILi2EjES8_ILi1EjENS0_6memory12LoadWithCastILi2EEENSB_13StoreWithCastILi1EEEN3c108BFloat16EJSH_fEEEviT0_T1_T2_T3_T4_T5_
                                        ; -- End function
	.set _ZN2at6native39vectorized_templated_elementwise_kernelILi8EN12_GLOBAL__N_110CalcIgammaIfEESt5arrayIPcLm3EE23TrivialOffsetCalculatorILi2EjES8_ILi1EjENS0_6memory12LoadWithCastILi2EEENSB_13StoreWithCastILi1EEEN3c108BFloat16EJSH_fEEEviT0_T1_T2_T3_T4_T5_.num_vgpr, max(114, .L_ZN12_GLOBAL__N_111calc_igammaIfEET_S1_S1_.num_vgpr, .L_ZN12_GLOBAL__N_112calc_igammacIfEET_S1_S1_.num_vgpr, .L_ZN2at6native25elementwise_kernel_helperILb1EN12_GLOBAL__N_110CalcIgammaIfEENS0_6memory8policies11unroll_baseILi512ESt5arrayIPcLm3EE23TrivialOffsetCalculatorILi2EjESB_ILi1EjENS5_12LoadWithCastILi2EEENS5_13StoreWithCastILi1EEELi32ELi1EEEEEvT0_T1_.num_vgpr)
	.set _ZN2at6native39vectorized_templated_elementwise_kernelILi8EN12_GLOBAL__N_110CalcIgammaIfEESt5arrayIPcLm3EE23TrivialOffsetCalculatorILi2EjES8_ILi1EjENS0_6memory12LoadWithCastILi2EEENSB_13StoreWithCastILi1EEEN3c108BFloat16EJSH_fEEEviT0_T1_T2_T3_T4_T5_.num_agpr, max(0, .L_ZN12_GLOBAL__N_111calc_igammaIfEET_S1_S1_.num_agpr, .L_ZN12_GLOBAL__N_112calc_igammacIfEET_S1_S1_.num_agpr, .L_ZN2at6native25elementwise_kernel_helperILb1EN12_GLOBAL__N_110CalcIgammaIfEENS0_6memory8policies11unroll_baseILi512ESt5arrayIPcLm3EE23TrivialOffsetCalculatorILi2EjESB_ILi1EjENS5_12LoadWithCastILi2EEENS5_13StoreWithCastILi1EEELi32ELi1EEEEEvT0_T1_.num_agpr)
	.set _ZN2at6native39vectorized_templated_elementwise_kernelILi8EN12_GLOBAL__N_110CalcIgammaIfEESt5arrayIPcLm3EE23TrivialOffsetCalculatorILi2EjES8_ILi1EjENS0_6memory12LoadWithCastILi2EEENSB_13StoreWithCastILi1EEEN3c108BFloat16EJSH_fEEEviT0_T1_T2_T3_T4_T5_.numbered_sgpr, max(57, .L_ZN12_GLOBAL__N_111calc_igammaIfEET_S1_S1_.numbered_sgpr, .L_ZN12_GLOBAL__N_112calc_igammacIfEET_S1_S1_.numbered_sgpr, .L_ZN2at6native25elementwise_kernel_helperILb1EN12_GLOBAL__N_110CalcIgammaIfEENS0_6memory8policies11unroll_baseILi512ESt5arrayIPcLm3EE23TrivialOffsetCalculatorILi2EjESB_ILi1EjENS5_12LoadWithCastILi2EEENS5_13StoreWithCastILi1EEELi32ELi1EEEEEvT0_T1_.numbered_sgpr)
	.set _ZN2at6native39vectorized_templated_elementwise_kernelILi8EN12_GLOBAL__N_110CalcIgammaIfEESt5arrayIPcLm3EE23TrivialOffsetCalculatorILi2EjES8_ILi1EjENS0_6memory12LoadWithCastILi2EEENSB_13StoreWithCastILi1EEEN3c108BFloat16EJSH_fEEEviT0_T1_T2_T3_T4_T5_.num_named_barrier, max(0, .L_ZN12_GLOBAL__N_111calc_igammaIfEET_S1_S1_.num_named_barrier, .L_ZN12_GLOBAL__N_112calc_igammacIfEET_S1_S1_.num_named_barrier, .L_ZN2at6native25elementwise_kernel_helperILb1EN12_GLOBAL__N_110CalcIgammaIfEENS0_6memory8policies11unroll_baseILi512ESt5arrayIPcLm3EE23TrivialOffsetCalculatorILi2EjESB_ILi1EjENS5_12LoadWithCastILi2EEENS5_13StoreWithCastILi1EEELi32ELi1EEEEEvT0_T1_.num_named_barrier)
	.set _ZN2at6native39vectorized_templated_elementwise_kernelILi8EN12_GLOBAL__N_110CalcIgammaIfEESt5arrayIPcLm3EE23TrivialOffsetCalculatorILi2EjES8_ILi1EjENS0_6memory12LoadWithCastILi2EEENSB_13StoreWithCastILi1EEEN3c108BFloat16EJSH_fEEEviT0_T1_T2_T3_T4_T5_.private_seg_size, 0+max(.L_ZN12_GLOBAL__N_111calc_igammaIfEET_S1_S1_.private_seg_size, .L_ZN12_GLOBAL__N_112calc_igammacIfEET_S1_S1_.private_seg_size, .L_ZN2at6native25elementwise_kernel_helperILb1EN12_GLOBAL__N_110CalcIgammaIfEENS0_6memory8policies11unroll_baseILi512ESt5arrayIPcLm3EE23TrivialOffsetCalculatorILi2EjESB_ILi1EjENS5_12LoadWithCastILi2EEENS5_13StoreWithCastILi1EEELi32ELi1EEEEEvT0_T1_.private_seg_size)
	.set _ZN2at6native39vectorized_templated_elementwise_kernelILi8EN12_GLOBAL__N_110CalcIgammaIfEESt5arrayIPcLm3EE23TrivialOffsetCalculatorILi2EjES8_ILi1EjENS0_6memory12LoadWithCastILi2EEENSB_13StoreWithCastILi1EEEN3c108BFloat16EJSH_fEEEviT0_T1_T2_T3_T4_T5_.uses_vcc, or(1, .L_ZN12_GLOBAL__N_111calc_igammaIfEET_S1_S1_.uses_vcc, .L_ZN12_GLOBAL__N_112calc_igammacIfEET_S1_S1_.uses_vcc, .L_ZN2at6native25elementwise_kernel_helperILb1EN12_GLOBAL__N_110CalcIgammaIfEENS0_6memory8policies11unroll_baseILi512ESt5arrayIPcLm3EE23TrivialOffsetCalculatorILi2EjESB_ILi1EjENS5_12LoadWithCastILi2EEENS5_13StoreWithCastILi1EEELi32ELi1EEEEEvT0_T1_.uses_vcc)
	.set _ZN2at6native39vectorized_templated_elementwise_kernelILi8EN12_GLOBAL__N_110CalcIgammaIfEESt5arrayIPcLm3EE23TrivialOffsetCalculatorILi2EjES8_ILi1EjENS0_6memory12LoadWithCastILi2EEENSB_13StoreWithCastILi1EEEN3c108BFloat16EJSH_fEEEviT0_T1_T2_T3_T4_T5_.uses_flat_scratch, or(0, .L_ZN12_GLOBAL__N_111calc_igammaIfEET_S1_S1_.uses_flat_scratch, .L_ZN12_GLOBAL__N_112calc_igammacIfEET_S1_S1_.uses_flat_scratch, .L_ZN2at6native25elementwise_kernel_helperILb1EN12_GLOBAL__N_110CalcIgammaIfEENS0_6memory8policies11unroll_baseILi512ESt5arrayIPcLm3EE23TrivialOffsetCalculatorILi2EjESB_ILi1EjENS5_12LoadWithCastILi2EEENS5_13StoreWithCastILi1EEELi32ELi1EEEEEvT0_T1_.uses_flat_scratch)
	.set _ZN2at6native39vectorized_templated_elementwise_kernelILi8EN12_GLOBAL__N_110CalcIgammaIfEESt5arrayIPcLm3EE23TrivialOffsetCalculatorILi2EjES8_ILi1EjENS0_6memory12LoadWithCastILi2EEENSB_13StoreWithCastILi1EEEN3c108BFloat16EJSH_fEEEviT0_T1_T2_T3_T4_T5_.has_dyn_sized_stack, or(0, .L_ZN12_GLOBAL__N_111calc_igammaIfEET_S1_S1_.has_dyn_sized_stack, .L_ZN12_GLOBAL__N_112calc_igammacIfEET_S1_S1_.has_dyn_sized_stack, .L_ZN2at6native25elementwise_kernel_helperILb1EN12_GLOBAL__N_110CalcIgammaIfEENS0_6memory8policies11unroll_baseILi512ESt5arrayIPcLm3EE23TrivialOffsetCalculatorILi2EjESB_ILi1EjENS5_12LoadWithCastILi2EEENS5_13StoreWithCastILi1EEELi32ELi1EEEEEvT0_T1_.has_dyn_sized_stack)
	.set _ZN2at6native39vectorized_templated_elementwise_kernelILi8EN12_GLOBAL__N_110CalcIgammaIfEESt5arrayIPcLm3EE23TrivialOffsetCalculatorILi2EjES8_ILi1EjENS0_6memory12LoadWithCastILi2EEENSB_13StoreWithCastILi1EEEN3c108BFloat16EJSH_fEEEviT0_T1_T2_T3_T4_T5_.has_recursion, or(0, .L_ZN12_GLOBAL__N_111calc_igammaIfEET_S1_S1_.has_recursion, .L_ZN12_GLOBAL__N_112calc_igammacIfEET_S1_S1_.has_recursion, .L_ZN2at6native25elementwise_kernel_helperILb1EN12_GLOBAL__N_110CalcIgammaIfEENS0_6memory8policies11unroll_baseILi512ESt5arrayIPcLm3EE23TrivialOffsetCalculatorILi2EjESB_ILi1EjENS5_12LoadWithCastILi2EEENS5_13StoreWithCastILi1EEELi32ELi1EEEEEvT0_T1_.has_recursion)
	.set _ZN2at6native39vectorized_templated_elementwise_kernelILi8EN12_GLOBAL__N_110CalcIgammaIfEESt5arrayIPcLm3EE23TrivialOffsetCalculatorILi2EjES8_ILi1EjENS0_6memory12LoadWithCastILi2EEENSB_13StoreWithCastILi1EEEN3c108BFloat16EJSH_fEEEviT0_T1_T2_T3_T4_T5_.has_indirect_call, or(0, .L_ZN12_GLOBAL__N_111calc_igammaIfEET_S1_S1_.has_indirect_call, .L_ZN12_GLOBAL__N_112calc_igammacIfEET_S1_S1_.has_indirect_call, .L_ZN2at6native25elementwise_kernel_helperILb1EN12_GLOBAL__N_110CalcIgammaIfEENS0_6memory8policies11unroll_baseILi512ESt5arrayIPcLm3EE23TrivialOffsetCalculatorILi2EjESB_ILi1EjENS5_12LoadWithCastILi2EEENS5_13StoreWithCastILi1EEELi32ELi1EEEEEvT0_T1_.has_indirect_call)
	.section	.AMDGPU.csdata,"",@progbits
; Kernel info:
; codeLenInByte = 5164
; TotalNumSgprs: 98
; NumVgprs: 214
; ScratchSize: 448
; MemoryBound: 0
; FloatMode: 240
; IeeeMode: 1
; LDSByteSize: 1024 bytes/workgroup (compile time only)
; SGPRBlocks: 0
; VGPRBlocks: 13
; NumSGPRsForWavesPerEU: 98
; NumVGPRsForWavesPerEU: 214
; NamedBarCnt: 0
; Occupancy: 4
; WaveLimiterHint : 0
; COMPUTE_PGM_RSRC2:SCRATCH_EN: 1
; COMPUTE_PGM_RSRC2:USER_SGPR: 4
; COMPUTE_PGM_RSRC2:TRAP_HANDLER: 0
; COMPUTE_PGM_RSRC2:TGID_X_EN: 1
; COMPUTE_PGM_RSRC2:TGID_Y_EN: 0
; COMPUTE_PGM_RSRC2:TGID_Z_EN: 0
; COMPUTE_PGM_RSRC2:TIDIG_COMP_CNT: 2
	.section	.text._ZN2at6native39vectorized_templated_elementwise_kernelILi4EN12_GLOBAL__N_110CalcIgammaIfEESt5arrayIPcLm3EE23TrivialOffsetCalculatorILi2EjES8_ILi1EjENS0_6memory12LoadWithCastILi2EEENSB_13StoreWithCastILi1EEEN3c108BFloat16EJSH_fEEEviT0_T1_T2_T3_T4_T5_,"axG",@progbits,_ZN2at6native39vectorized_templated_elementwise_kernelILi4EN12_GLOBAL__N_110CalcIgammaIfEESt5arrayIPcLm3EE23TrivialOffsetCalculatorILi2EjES8_ILi1EjENS0_6memory12LoadWithCastILi2EEENSB_13StoreWithCastILi1EEEN3c108BFloat16EJSH_fEEEviT0_T1_T2_T3_T4_T5_,comdat
	.globl	_ZN2at6native39vectorized_templated_elementwise_kernelILi4EN12_GLOBAL__N_110CalcIgammaIfEESt5arrayIPcLm3EE23TrivialOffsetCalculatorILi2EjES8_ILi1EjENS0_6memory12LoadWithCastILi2EEENSB_13StoreWithCastILi1EEEN3c108BFloat16EJSH_fEEEviT0_T1_T2_T3_T4_T5_ ; -- Begin function _ZN2at6native39vectorized_templated_elementwise_kernelILi4EN12_GLOBAL__N_110CalcIgammaIfEESt5arrayIPcLm3EE23TrivialOffsetCalculatorILi2EjES8_ILi1EjENS0_6memory12LoadWithCastILi2EEENSB_13StoreWithCastILi1EEEN3c108BFloat16EJSH_fEEEviT0_T1_T2_T3_T4_T5_
	.p2align	8
	.type	_ZN2at6native39vectorized_templated_elementwise_kernelILi4EN12_GLOBAL__N_110CalcIgammaIfEESt5arrayIPcLm3EE23TrivialOffsetCalculatorILi2EjES8_ILi1EjENS0_6memory12LoadWithCastILi2EEENSB_13StoreWithCastILi1EEEN3c108BFloat16EJSH_fEEEviT0_T1_T2_T3_T4_T5_,@function
_ZN2at6native39vectorized_templated_elementwise_kernelILi4EN12_GLOBAL__N_110CalcIgammaIfEESt5arrayIPcLm3EE23TrivialOffsetCalculatorILi2EjES8_ILi1EjENS0_6memory12LoadWithCastILi2EEENSB_13StoreWithCastILi1EEEN3c108BFloat16EJSH_fEEEviT0_T1_T2_T3_T4_T5_: ; @_ZN2at6native39vectorized_templated_elementwise_kernelILi4EN12_GLOBAL__N_110CalcIgammaIfEESt5arrayIPcLm3EE23TrivialOffsetCalculatorILi2EjES8_ILi1EjENS0_6memory12LoadWithCastILi2EEENSB_13StoreWithCastILi1EEEN3c108BFloat16EJSH_fEEEviT0_T1_T2_T3_T4_T5_
; %bb.0:
	s_mov_b64 s[34:35], s[2:3]
	s_load_b64 s[2:3], s[0:1], 0x4
	s_clause 0x2
	s_load_b64 s[4:5], s[34:35], 0x0
	s_load_b64 s[46:47], s[34:35], 0x18
	s_load_b32 s6, s[34:35], 0x38
	s_wait_xcnt 0x0
	s_bfe_u32 s1, ttmp6, 0x4000c
	s_and_b32 s0, ttmp6, 15
	s_add_co_i32 s1, s1, 1
	s_load_b128 s[36:39], s[34:35], 0x8
	s_mul_i32 s1, ttmp9, s1
	s_getreg_b32 s7, hwreg(HW_REG_IB_STS2, 6, 4)
	s_add_co_i32 s0, s0, s1
	s_mov_b32 s32, 0
	s_wait_kmcnt 0x0
	s_lshr_b32 s2, s2, 16
	s_and_b32 s1, s5, 1
	v_mov_b32_e32 v42, v0
	s_mul_i32 s2, s2, s3
	s_cmp_eq_u32 s7, 0
	s_cselect_b32 s0, ttmp9, s0
	s_delay_alu instid0(VALU_DEP_1) | instskip(SKIP_3) | instid1(VALU_DEP_3)
	v_and_b32_e32 v113, 0x3ff, v42
	v_bfe_u32 v0, v42, 10, 10
	v_bfe_u32 v2, v42, 20, 10
	s_not_b32 s0, s0
	v_mul_lo_u32 v1, s2, v113
	s_delay_alu instid0(VALU_DEP_3) | instskip(SKIP_3) | instid1(SALU_CYCLE_1)
	v_mul_u32_u24_e32 v0, s3, v0
	s_add_co_i32 s6, s6, s0
	s_mov_b32 s2, -1
	s_lshl_b32 s0, s6, 14
	s_sub_co_i32 s54, s4, s0
	s_delay_alu instid0(SALU_CYCLE_1) | instskip(NEXT) | instid1(VALU_DEP_2)
	s_cmp_gt_i32 s54, 0x3fff
	v_add3_u32 v112, v1, v0, v2
	v_mov_b32_e32 v0, s1
	ds_store_b8 v112, v0
	s_cbranch_scc1 .LBB33_3
; %bb.1:
	s_and_b32 vcc_lo, exec_lo, s2
	s_cbranch_vccnz .LBB33_132
.LBB33_2:
	s_endpgm
.LBB33_3:
	s_ashr_i32 s1, s0, 31
	s_get_pc_i64 s[50:51]
	s_add_nc_u64 s[50:51], s[50:51], _ZN12_GLOBAL__N_111calc_igammaIfEET_S1_S1_@rel64+4
	s_lshl_b64 s[2:3], s[0:1], 2
	s_lshl_b64 s[48:49], s[0:1], 1
	s_add_nc_u64 s[2:3], s[46:47], s[2:3]
	s_add_nc_u64 s[0:1], s[38:39], s[48:49]
	s_clause 0xf
	global_load_b128 v[44:47], v113, s[2:3] scale_offset
	global_load_b64 v[110:111], v113, s[0:1] scale_offset
	global_load_b64 v[108:109], v113, s[0:1] offset:4096 scale_offset
	global_load_b64 v[106:107], v113, s[0:1] offset:8192 scale_offset
	;; [unrolled: 1-line block ×7, first 2 shown]
	global_load_b128 v[56:59], v113, s[2:3] offset:8192 scale_offset
	global_load_b128 v[60:63], v113, s[2:3] offset:16384 scale_offset
	;; [unrolled: 1-line block ×7, first 2 shown]
	ds_load_u8 v0, v112
                                        ; implicit-def: $vgpr43
	s_wait_loadcnt_dscnt 0xe00
	v_dual_lshlrev_b32 v0, 16, v110 :: v_dual_bitop2_b32 v2, 1, v0 bitop3:0x40
	s_delay_alu instid0(VALU_DEP_1)
	v_cmp_eq_u32_e32 vcc_lo, 1, v2
	ds_store_b8 v112, v2 offset:512
	s_xor_b32 s55, vcc_lo, -1
	v_bfe_u32 v1, v44, 16, 1
	s_wait_xcnt 0x7
	v_cmp_o_f32_e64 s0, v44, v44
	s_delay_alu instid0(VALU_DEP_2) | instskip(NEXT) | instid1(VALU_DEP_1)
	v_add3_u32 v1, v44, v1, 0x7fff
	v_and_b32_e32 v1, 0xffff0000, v1
	s_delay_alu instid0(VALU_DEP_1) | instskip(SKIP_2) | instid1(SALU_CYCLE_1)
	v_cndmask_b32_e64 v1, 0x7fc00000, v1, s0
	s_wait_xcnt 0x0
	s_and_saveexec_b32 s0, s55
	s_xor_b32 s52, exec_lo, s0
	s_cbranch_execz .LBB33_5
; %bb.4:
	s_swap_pc_i64 s[30:31], s[50:51]
	v_mov_b32_e32 v43, v0
                                        ; implicit-def: $vgpr0
                                        ; implicit-def: $vgpr1
.LBB33_5:
	s_or_saveexec_b32 s26, s52
	s_get_pc_i64 s[52:53]
	s_add_nc_u64 s[52:53], s[52:53], _ZN12_GLOBAL__N_112calc_igammacIfEET_S1_S1_@rel64+4
	s_xor_b32 exec_lo, exec_lo, s26
	s_cbranch_execz .LBB33_7
; %bb.6:
	s_swap_pc_i64 s[30:31], s[52:53]
	v_mov_b32_e32 v43, v0
.LBB33_7:
	s_or_b32 exec_lo, exec_lo, s26
	v_bfe_u32 v0, v45, 16, 1
	v_cmp_o_f32_e32 vcc_lo, v45, v45
                                        ; implicit-def: $vgpr44
	s_delay_alu instid0(VALU_DEP_2) | instskip(NEXT) | instid1(VALU_DEP_1)
	v_add3_u32 v0, v45, v0, 0x7fff
	v_and_b32_e32 v1, 0xffff0000, v0
	v_and_b32_e32 v0, 0xffff0000, v110
	s_delay_alu instid0(VALU_DEP_2) | instskip(SKIP_1) | instid1(SALU_CYCLE_1)
	v_cndmask_b32_e32 v1, 0x7fc00000, v1, vcc_lo
	s_and_saveexec_b32 s0, s55
	s_xor_b32 s56, exec_lo, s0
	s_cbranch_execz .LBB33_9
; %bb.8:
	s_swap_pc_i64 s[30:31], s[50:51]
	v_mov_b32_e32 v44, v0
                                        ; implicit-def: $vgpr0
                                        ; implicit-def: $vgpr1
.LBB33_9:
	s_and_not1_saveexec_b32 s26, s56
	s_cbranch_execz .LBB33_11
; %bb.10:
	s_swap_pc_i64 s[30:31], s[52:53]
	v_mov_b32_e32 v44, v0
.LBB33_11:
	s_or_b32 exec_lo, exec_lo, s26
	v_bfe_u32 v0, v46, 16, 1
	v_cmp_o_f32_e32 vcc_lo, v46, v46
                                        ; implicit-def: $vgpr45
	s_delay_alu instid0(VALU_DEP_2) | instskip(NEXT) | instid1(VALU_DEP_1)
	v_add3_u32 v0, v46, v0, 0x7fff
	v_and_b32_e32 v1, 0xffff0000, v0
	s_delay_alu instid0(VALU_DEP_1) | instskip(SKIP_1) | instid1(SALU_CYCLE_1)
	v_dual_cndmask_b32 v1, 0x7fc00000, v1 :: v_dual_lshlrev_b32 v0, 16, v111
	s_and_saveexec_b32 s0, s55
	s_xor_b32 s56, exec_lo, s0
	s_cbranch_execz .LBB33_13
; %bb.12:
	s_swap_pc_i64 s[30:31], s[50:51]
	v_mov_b32_e32 v45, v0
                                        ; implicit-def: $vgpr0
                                        ; implicit-def: $vgpr1
.LBB33_13:
	s_and_not1_saveexec_b32 s26, s56
	s_cbranch_execz .LBB33_15
; %bb.14:
	s_swap_pc_i64 s[30:31], s[52:53]
	v_mov_b32_e32 v45, v0
.LBB33_15:
	s_or_b32 exec_lo, exec_lo, s26
	v_bfe_u32 v0, v47, 16, 1
	v_cmp_o_f32_e32 vcc_lo, v47, v47
                                        ; implicit-def: $vgpr46
	s_delay_alu instid0(VALU_DEP_2) | instskip(NEXT) | instid1(VALU_DEP_1)
	v_add3_u32 v0, v47, v0, 0x7fff
	v_and_b32_e32 v1, 0xffff0000, v0
	v_and_b32_e32 v0, 0xffff0000, v111
	s_delay_alu instid0(VALU_DEP_2) | instskip(SKIP_1) | instid1(SALU_CYCLE_1)
	v_cndmask_b32_e32 v1, 0x7fc00000, v1, vcc_lo
	s_and_saveexec_b32 s0, s55
	s_xor_b32 s56, exec_lo, s0
	s_cbranch_execz .LBB33_17
; %bb.16:
	s_swap_pc_i64 s[30:31], s[50:51]
	v_mov_b32_e32 v46, v0
                                        ; implicit-def: $vgpr0
                                        ; implicit-def: $vgpr1
.LBB33_17:
	s_and_not1_saveexec_b32 s26, s56
	s_cbranch_execz .LBB33_19
; %bb.18:
	s_swap_pc_i64 s[30:31], s[52:53]
	v_mov_b32_e32 v46, v0
.LBB33_19:
	s_or_b32 exec_lo, exec_lo, s26
	s_wait_loadcnt 0x6
	v_bfe_u32 v0, v56, 16, 1
	v_cmp_o_f32_e32 vcc_lo, v56, v56
                                        ; implicit-def: $vgpr47
	s_delay_alu instid0(VALU_DEP_2) | instskip(NEXT) | instid1(VALU_DEP_1)
	v_add3_u32 v0, v56, v0, 0x7fff
	v_and_b32_e32 v1, 0xffff0000, v0
	s_delay_alu instid0(VALU_DEP_1) | instskip(SKIP_1) | instid1(SALU_CYCLE_1)
	v_dual_cndmask_b32 v1, 0x7fc00000, v1 :: v_dual_lshlrev_b32 v0, 16, v108
	s_and_saveexec_b32 s0, s55
	s_xor_b32 s56, exec_lo, s0
	s_cbranch_execz .LBB33_21
; %bb.20:
	s_swap_pc_i64 s[30:31], s[50:51]
	v_mov_b32_e32 v47, v0
                                        ; implicit-def: $vgpr0
                                        ; implicit-def: $vgpr1
.LBB33_21:
	s_and_not1_saveexec_b32 s26, s56
	s_cbranch_execz .LBB33_23
; %bb.22:
	s_swap_pc_i64 s[30:31], s[52:53]
	v_mov_b32_e32 v47, v0
.LBB33_23:
	s_or_b32 exec_lo, exec_lo, s26
	v_bfe_u32 v0, v57, 16, 1
	v_cmp_o_f32_e32 vcc_lo, v57, v57
                                        ; implicit-def: $vgpr56
	s_delay_alu instid0(VALU_DEP_2) | instskip(NEXT) | instid1(VALU_DEP_1)
	v_add3_u32 v0, v57, v0, 0x7fff
	v_and_b32_e32 v1, 0xffff0000, v0
	v_and_b32_e32 v0, 0xffff0000, v108
	s_delay_alu instid0(VALU_DEP_2) | instskip(SKIP_1) | instid1(SALU_CYCLE_1)
	v_cndmask_b32_e32 v1, 0x7fc00000, v1, vcc_lo
	s_and_saveexec_b32 s0, s55
	s_xor_b32 s56, exec_lo, s0
	s_cbranch_execz .LBB33_25
; %bb.24:
	s_swap_pc_i64 s[30:31], s[50:51]
	v_mov_b32_e32 v56, v0
                                        ; implicit-def: $vgpr0
                                        ; implicit-def: $vgpr1
.LBB33_25:
	s_and_not1_saveexec_b32 s26, s56
	s_cbranch_execz .LBB33_27
; %bb.26:
	s_swap_pc_i64 s[30:31], s[52:53]
	v_mov_b32_e32 v56, v0
.LBB33_27:
	s_or_b32 exec_lo, exec_lo, s26
	v_bfe_u32 v0, v58, 16, 1
	v_cmp_o_f32_e32 vcc_lo, v58, v58
                                        ; implicit-def: $vgpr57
	s_delay_alu instid0(VALU_DEP_2) | instskip(NEXT) | instid1(VALU_DEP_1)
	v_add3_u32 v0, v58, v0, 0x7fff
	v_and_b32_e32 v1, 0xffff0000, v0
	v_lshlrev_b32_e32 v0, 16, v109
	s_delay_alu instid0(VALU_DEP_2) | instskip(SKIP_1) | instid1(SALU_CYCLE_1)
	v_cndmask_b32_e32 v1, 0x7fc00000, v1, vcc_lo
	s_and_saveexec_b32 s0, s55
	s_xor_b32 s56, exec_lo, s0
	s_cbranch_execz .LBB33_29
; %bb.28:
	s_swap_pc_i64 s[30:31], s[50:51]
	v_mov_b32_e32 v57, v0
                                        ; implicit-def: $vgpr0
                                        ; implicit-def: $vgpr1
.LBB33_29:
	s_and_not1_saveexec_b32 s26, s56
	s_cbranch_execz .LBB33_31
; %bb.30:
	s_swap_pc_i64 s[30:31], s[52:53]
	v_mov_b32_e32 v57, v0
.LBB33_31:
	s_or_b32 exec_lo, exec_lo, s26
	v_bfe_u32 v0, v59, 16, 1
	v_cmp_o_f32_e32 vcc_lo, v59, v59
                                        ; implicit-def: $vgpr58
	s_delay_alu instid0(VALU_DEP_2) | instskip(NEXT) | instid1(VALU_DEP_1)
	v_add3_u32 v0, v59, v0, 0x7fff
	v_and_b32_e32 v1, 0xffff0000, v0
	v_and_b32_e32 v0, 0xffff0000, v109
	s_delay_alu instid0(VALU_DEP_2) | instskip(SKIP_1) | instid1(SALU_CYCLE_1)
	v_cndmask_b32_e32 v1, 0x7fc00000, v1, vcc_lo
	s_and_saveexec_b32 s0, s55
	s_xor_b32 s56, exec_lo, s0
	s_cbranch_execz .LBB33_33
; %bb.32:
	s_swap_pc_i64 s[30:31], s[50:51]
	v_mov_b32_e32 v58, v0
                                        ; implicit-def: $vgpr0
                                        ; implicit-def: $vgpr1
.LBB33_33:
	s_and_not1_saveexec_b32 s26, s56
	s_cbranch_execz .LBB33_35
; %bb.34:
	s_swap_pc_i64 s[30:31], s[52:53]
	v_mov_b32_e32 v58, v0
.LBB33_35:
	s_or_b32 exec_lo, exec_lo, s26
	s_wait_loadcnt 0x5
	v_bfe_u32 v0, v60, 16, 1
	v_cmp_o_f32_e32 vcc_lo, v60, v60
                                        ; implicit-def: $vgpr59
	s_delay_alu instid0(VALU_DEP_2) | instskip(NEXT) | instid1(VALU_DEP_1)
	v_add3_u32 v0, v60, v0, 0x7fff
	v_and_b32_e32 v1, 0xffff0000, v0
	s_delay_alu instid0(VALU_DEP_1) | instskip(SKIP_1) | instid1(SALU_CYCLE_1)
	v_dual_cndmask_b32 v1, 0x7fc00000, v1 :: v_dual_lshlrev_b32 v0, 16, v106
	s_and_saveexec_b32 s0, s55
	s_xor_b32 s56, exec_lo, s0
	s_cbranch_execz .LBB33_37
; %bb.36:
	s_swap_pc_i64 s[30:31], s[50:51]
	v_mov_b32_e32 v59, v0
                                        ; implicit-def: $vgpr0
                                        ; implicit-def: $vgpr1
.LBB33_37:
	s_and_not1_saveexec_b32 s26, s56
	s_cbranch_execz .LBB33_39
; %bb.38:
	s_swap_pc_i64 s[30:31], s[52:53]
	v_mov_b32_e32 v59, v0
.LBB33_39:
	s_or_b32 exec_lo, exec_lo, s26
	v_bfe_u32 v0, v61, 16, 1
	v_cmp_o_f32_e32 vcc_lo, v61, v61
                                        ; implicit-def: $vgpr60
	s_delay_alu instid0(VALU_DEP_2) | instskip(NEXT) | instid1(VALU_DEP_1)
	v_add3_u32 v0, v61, v0, 0x7fff
	v_and_b32_e32 v1, 0xffff0000, v0
	v_and_b32_e32 v0, 0xffff0000, v106
	s_delay_alu instid0(VALU_DEP_2) | instskip(SKIP_1) | instid1(SALU_CYCLE_1)
	v_cndmask_b32_e32 v1, 0x7fc00000, v1, vcc_lo
	s_and_saveexec_b32 s0, s55
	s_xor_b32 s56, exec_lo, s0
	s_cbranch_execz .LBB33_41
; %bb.40:
	s_swap_pc_i64 s[30:31], s[50:51]
	v_mov_b32_e32 v60, v0
                                        ; implicit-def: $vgpr0
                                        ; implicit-def: $vgpr1
.LBB33_41:
	s_and_not1_saveexec_b32 s26, s56
	s_cbranch_execz .LBB33_43
; %bb.42:
	s_swap_pc_i64 s[30:31], s[52:53]
	v_mov_b32_e32 v60, v0
.LBB33_43:
	s_or_b32 exec_lo, exec_lo, s26
	v_bfe_u32 v0, v62, 16, 1
	v_cmp_o_f32_e32 vcc_lo, v62, v62
                                        ; implicit-def: $vgpr61
	s_delay_alu instid0(VALU_DEP_2) | instskip(NEXT) | instid1(VALU_DEP_1)
	v_add3_u32 v0, v62, v0, 0x7fff
	v_and_b32_e32 v1, 0xffff0000, v0
	s_delay_alu instid0(VALU_DEP_1) | instskip(SKIP_1) | instid1(SALU_CYCLE_1)
	v_dual_cndmask_b32 v1, 0x7fc00000, v1 :: v_dual_lshlrev_b32 v0, 16, v107
	s_and_saveexec_b32 s0, s55
	s_xor_b32 s56, exec_lo, s0
	s_cbranch_execz .LBB33_45
; %bb.44:
	s_swap_pc_i64 s[30:31], s[50:51]
	v_mov_b32_e32 v61, v0
                                        ; implicit-def: $vgpr0
                                        ; implicit-def: $vgpr1
.LBB33_45:
	s_and_not1_saveexec_b32 s26, s56
	s_cbranch_execz .LBB33_47
; %bb.46:
	s_swap_pc_i64 s[30:31], s[52:53]
	v_mov_b32_e32 v61, v0
.LBB33_47:
	s_or_b32 exec_lo, exec_lo, s26
	v_bfe_u32 v0, v63, 16, 1
	v_cmp_o_f32_e32 vcc_lo, v63, v63
                                        ; implicit-def: $vgpr62
	s_delay_alu instid0(VALU_DEP_2) | instskip(NEXT) | instid1(VALU_DEP_1)
	v_add3_u32 v0, v63, v0, 0x7fff
	v_and_b32_e32 v1, 0xffff0000, v0
	v_and_b32_e32 v0, 0xffff0000, v107
	s_delay_alu instid0(VALU_DEP_2) | instskip(SKIP_1) | instid1(SALU_CYCLE_1)
	v_cndmask_b32_e32 v1, 0x7fc00000, v1, vcc_lo
	s_and_saveexec_b32 s0, s55
	s_xor_b32 s56, exec_lo, s0
	s_cbranch_execz .LBB33_49
; %bb.48:
	s_swap_pc_i64 s[30:31], s[50:51]
	v_mov_b32_e32 v62, v0
                                        ; implicit-def: $vgpr0
                                        ; implicit-def: $vgpr1
.LBB33_49:
	s_and_not1_saveexec_b32 s26, s56
	s_cbranch_execz .LBB33_51
; %bb.50:
	s_swap_pc_i64 s[30:31], s[52:53]
	v_mov_b32_e32 v62, v0
.LBB33_51:
	s_or_b32 exec_lo, exec_lo, s26
	s_wait_loadcnt 0x4
	v_bfe_u32 v0, v72, 16, 1
	v_cmp_o_f32_e32 vcc_lo, v72, v72
                                        ; implicit-def: $vgpr63
	s_delay_alu instid0(VALU_DEP_2) | instskip(NEXT) | instid1(VALU_DEP_1)
	v_add3_u32 v0, v72, v0, 0x7fff
	v_and_b32_e32 v1, 0xffff0000, v0
	s_delay_alu instid0(VALU_DEP_1) | instskip(SKIP_1) | instid1(SALU_CYCLE_1)
	v_dual_cndmask_b32 v1, 0x7fc00000, v1 :: v_dual_lshlrev_b32 v0, 16, v104
	s_and_saveexec_b32 s0, s55
	s_xor_b32 s56, exec_lo, s0
	s_cbranch_execz .LBB33_53
; %bb.52:
	s_swap_pc_i64 s[30:31], s[50:51]
	v_mov_b32_e32 v63, v0
                                        ; implicit-def: $vgpr0
                                        ; implicit-def: $vgpr1
.LBB33_53:
	s_and_not1_saveexec_b32 s26, s56
	s_cbranch_execz .LBB33_55
; %bb.54:
	s_swap_pc_i64 s[30:31], s[52:53]
	v_mov_b32_e32 v63, v0
.LBB33_55:
	s_or_b32 exec_lo, exec_lo, s26
	v_bfe_u32 v0, v73, 16, 1
	v_cmp_o_f32_e32 vcc_lo, v73, v73
                                        ; implicit-def: $vgpr72
	s_delay_alu instid0(VALU_DEP_2) | instskip(NEXT) | instid1(VALU_DEP_1)
	v_add3_u32 v0, v73, v0, 0x7fff
	v_and_b32_e32 v1, 0xffff0000, v0
	v_and_b32_e32 v0, 0xffff0000, v104
	s_delay_alu instid0(VALU_DEP_2) | instskip(SKIP_1) | instid1(SALU_CYCLE_1)
	v_cndmask_b32_e32 v1, 0x7fc00000, v1, vcc_lo
	s_and_saveexec_b32 s0, s55
	s_xor_b32 s56, exec_lo, s0
	s_cbranch_execz .LBB33_57
; %bb.56:
	s_swap_pc_i64 s[30:31], s[50:51]
	v_mov_b32_e32 v72, v0
                                        ; implicit-def: $vgpr0
                                        ; implicit-def: $vgpr1
.LBB33_57:
	s_and_not1_saveexec_b32 s26, s56
	s_cbranch_execz .LBB33_59
; %bb.58:
	s_swap_pc_i64 s[30:31], s[52:53]
	v_mov_b32_e32 v72, v0
.LBB33_59:
	s_or_b32 exec_lo, exec_lo, s26
	v_bfe_u32 v0, v74, 16, 1
	v_cmp_o_f32_e32 vcc_lo, v74, v74
                                        ; implicit-def: $vgpr73
	s_delay_alu instid0(VALU_DEP_2) | instskip(NEXT) | instid1(VALU_DEP_1)
	v_add3_u32 v0, v74, v0, 0x7fff
	v_and_b32_e32 v1, 0xffff0000, v0
	v_lshlrev_b32_e32 v0, 16, v105
	s_delay_alu instid0(VALU_DEP_2) | instskip(SKIP_1) | instid1(SALU_CYCLE_1)
	v_cndmask_b32_e32 v1, 0x7fc00000, v1, vcc_lo
	s_and_saveexec_b32 s0, s55
	s_xor_b32 s56, exec_lo, s0
	s_cbranch_execz .LBB33_61
; %bb.60:
	s_swap_pc_i64 s[30:31], s[50:51]
	v_mov_b32_e32 v73, v0
                                        ; implicit-def: $vgpr0
                                        ; implicit-def: $vgpr1
.LBB33_61:
	s_and_not1_saveexec_b32 s26, s56
	s_cbranch_execz .LBB33_63
; %bb.62:
	s_swap_pc_i64 s[30:31], s[52:53]
	v_mov_b32_e32 v73, v0
.LBB33_63:
	s_or_b32 exec_lo, exec_lo, s26
	v_bfe_u32 v0, v75, 16, 1
	v_cmp_o_f32_e32 vcc_lo, v75, v75
                                        ; implicit-def: $vgpr74
	s_delay_alu instid0(VALU_DEP_2) | instskip(NEXT) | instid1(VALU_DEP_1)
	v_add3_u32 v0, v75, v0, 0x7fff
	v_and_b32_e32 v1, 0xffff0000, v0
	v_and_b32_e32 v0, 0xffff0000, v105
	s_delay_alu instid0(VALU_DEP_2) | instskip(SKIP_1) | instid1(SALU_CYCLE_1)
	v_cndmask_b32_e32 v1, 0x7fc00000, v1, vcc_lo
	s_and_saveexec_b32 s0, s55
	s_xor_b32 s56, exec_lo, s0
	s_cbranch_execz .LBB33_65
; %bb.64:
	s_swap_pc_i64 s[30:31], s[50:51]
	v_mov_b32_e32 v74, v0
                                        ; implicit-def: $vgpr0
                                        ; implicit-def: $vgpr1
.LBB33_65:
	s_and_not1_saveexec_b32 s26, s56
	s_cbranch_execz .LBB33_67
; %bb.66:
	s_swap_pc_i64 s[30:31], s[52:53]
	v_mov_b32_e32 v74, v0
.LBB33_67:
	s_or_b32 exec_lo, exec_lo, s26
	s_wait_loadcnt 0x3
	v_bfe_u32 v0, v76, 16, 1
	v_cmp_o_f32_e32 vcc_lo, v76, v76
                                        ; implicit-def: $vgpr75
	s_delay_alu instid0(VALU_DEP_2) | instskip(NEXT) | instid1(VALU_DEP_1)
	v_add3_u32 v0, v76, v0, 0x7fff
	v_and_b32_e32 v1, 0xffff0000, v0
	s_delay_alu instid0(VALU_DEP_1) | instskip(SKIP_1) | instid1(SALU_CYCLE_1)
	v_dual_cndmask_b32 v1, 0x7fc00000, v1 :: v_dual_lshlrev_b32 v0, 16, v102
	s_and_saveexec_b32 s0, s55
	s_xor_b32 s56, exec_lo, s0
	s_cbranch_execz .LBB33_69
; %bb.68:
	s_swap_pc_i64 s[30:31], s[50:51]
	v_mov_b32_e32 v75, v0
                                        ; implicit-def: $vgpr0
                                        ; implicit-def: $vgpr1
.LBB33_69:
	s_and_not1_saveexec_b32 s26, s56
	s_cbranch_execz .LBB33_71
; %bb.70:
	s_swap_pc_i64 s[30:31], s[52:53]
	v_mov_b32_e32 v75, v0
.LBB33_71:
	s_or_b32 exec_lo, exec_lo, s26
	v_bfe_u32 v0, v77, 16, 1
	v_cmp_o_f32_e32 vcc_lo, v77, v77
                                        ; implicit-def: $vgpr76
	s_delay_alu instid0(VALU_DEP_2) | instskip(NEXT) | instid1(VALU_DEP_1)
	v_add3_u32 v0, v77, v0, 0x7fff
	v_and_b32_e32 v1, 0xffff0000, v0
	v_and_b32_e32 v0, 0xffff0000, v102
	s_delay_alu instid0(VALU_DEP_2) | instskip(SKIP_1) | instid1(SALU_CYCLE_1)
	v_cndmask_b32_e32 v1, 0x7fc00000, v1, vcc_lo
	s_and_saveexec_b32 s0, s55
	s_xor_b32 s56, exec_lo, s0
	s_cbranch_execz .LBB33_73
; %bb.72:
	s_swap_pc_i64 s[30:31], s[50:51]
	v_mov_b32_e32 v76, v0
                                        ; implicit-def: $vgpr0
                                        ; implicit-def: $vgpr1
.LBB33_73:
	s_and_not1_saveexec_b32 s26, s56
	s_cbranch_execz .LBB33_75
; %bb.74:
	s_swap_pc_i64 s[30:31], s[52:53]
	v_mov_b32_e32 v76, v0
.LBB33_75:
	s_or_b32 exec_lo, exec_lo, s26
	v_bfe_u32 v0, v78, 16, 1
	v_cmp_o_f32_e32 vcc_lo, v78, v78
                                        ; implicit-def: $vgpr77
	s_delay_alu instid0(VALU_DEP_2) | instskip(NEXT) | instid1(VALU_DEP_1)
	v_add3_u32 v0, v78, v0, 0x7fff
	v_and_b32_e32 v1, 0xffff0000, v0
	s_delay_alu instid0(VALU_DEP_1) | instskip(SKIP_1) | instid1(SALU_CYCLE_1)
	v_dual_cndmask_b32 v1, 0x7fc00000, v1 :: v_dual_lshlrev_b32 v0, 16, v103
	s_and_saveexec_b32 s0, s55
	s_xor_b32 s56, exec_lo, s0
	s_cbranch_execz .LBB33_77
; %bb.76:
	s_swap_pc_i64 s[30:31], s[50:51]
	v_mov_b32_e32 v77, v0
                                        ; implicit-def: $vgpr0
                                        ; implicit-def: $vgpr1
.LBB33_77:
	s_and_not1_saveexec_b32 s26, s56
	s_cbranch_execz .LBB33_79
; %bb.78:
	s_swap_pc_i64 s[30:31], s[52:53]
	v_mov_b32_e32 v77, v0
.LBB33_79:
	s_or_b32 exec_lo, exec_lo, s26
	v_bfe_u32 v0, v79, 16, 1
	v_cmp_o_f32_e32 vcc_lo, v79, v79
                                        ; implicit-def: $vgpr78
	s_delay_alu instid0(VALU_DEP_2) | instskip(NEXT) | instid1(VALU_DEP_1)
	v_add3_u32 v0, v79, v0, 0x7fff
	v_and_b32_e32 v1, 0xffff0000, v0
	v_and_b32_e32 v0, 0xffff0000, v103
	s_delay_alu instid0(VALU_DEP_2) | instskip(SKIP_1) | instid1(SALU_CYCLE_1)
	v_cndmask_b32_e32 v1, 0x7fc00000, v1, vcc_lo
	s_and_saveexec_b32 s0, s55
	s_xor_b32 s56, exec_lo, s0
	s_cbranch_execz .LBB33_81
; %bb.80:
	s_swap_pc_i64 s[30:31], s[50:51]
	v_mov_b32_e32 v78, v0
                                        ; implicit-def: $vgpr0
                                        ; implicit-def: $vgpr1
.LBB33_81:
	s_and_not1_saveexec_b32 s26, s56
	s_cbranch_execz .LBB33_83
; %bb.82:
	s_swap_pc_i64 s[30:31], s[52:53]
	v_mov_b32_e32 v78, v0
.LBB33_83:
	s_or_b32 exec_lo, exec_lo, s26
	s_wait_loadcnt 0x2
	v_bfe_u32 v0, v84, 16, 1
	v_cmp_o_f32_e32 vcc_lo, v84, v84
                                        ; implicit-def: $vgpr79
	s_delay_alu instid0(VALU_DEP_2) | instskip(NEXT) | instid1(VALU_DEP_1)
	v_add3_u32 v0, v84, v0, 0x7fff
	v_and_b32_e32 v1, 0xffff0000, v0
	s_delay_alu instid0(VALU_DEP_1) | instskip(SKIP_1) | instid1(SALU_CYCLE_1)
	v_dual_cndmask_b32 v1, 0x7fc00000, v1 :: v_dual_lshlrev_b32 v0, 16, v100
	s_and_saveexec_b32 s0, s55
	s_xor_b32 s56, exec_lo, s0
	s_cbranch_execz .LBB33_85
; %bb.84:
	s_swap_pc_i64 s[30:31], s[50:51]
	v_mov_b32_e32 v79, v0
                                        ; implicit-def: $vgpr0
                                        ; implicit-def: $vgpr1
.LBB33_85:
	s_and_not1_saveexec_b32 s26, s56
	s_cbranch_execz .LBB33_87
; %bb.86:
	s_swap_pc_i64 s[30:31], s[52:53]
	v_mov_b32_e32 v79, v0
.LBB33_87:
	s_or_b32 exec_lo, exec_lo, s26
	v_bfe_u32 v0, v85, 16, 1
	v_cmp_o_f32_e32 vcc_lo, v85, v85
                                        ; implicit-def: $vgpr84
	s_delay_alu instid0(VALU_DEP_2) | instskip(NEXT) | instid1(VALU_DEP_1)
	v_add3_u32 v0, v85, v0, 0x7fff
	v_and_b32_e32 v1, 0xffff0000, v0
	v_and_b32_e32 v0, 0xffff0000, v100
	s_delay_alu instid0(VALU_DEP_2) | instskip(SKIP_1) | instid1(SALU_CYCLE_1)
	v_cndmask_b32_e32 v1, 0x7fc00000, v1, vcc_lo
	s_and_saveexec_b32 s0, s55
	s_xor_b32 s56, exec_lo, s0
	s_cbranch_execz .LBB33_89
; %bb.88:
	s_swap_pc_i64 s[30:31], s[50:51]
	v_mov_b32_e32 v84, v0
                                        ; implicit-def: $vgpr0
                                        ; implicit-def: $vgpr1
.LBB33_89:
	s_and_not1_saveexec_b32 s26, s56
	s_cbranch_execz .LBB33_91
; %bb.90:
	s_swap_pc_i64 s[30:31], s[52:53]
	v_mov_b32_e32 v84, v0
.LBB33_91:
	s_or_b32 exec_lo, exec_lo, s26
	v_bfe_u32 v0, v86, 16, 1
	v_cmp_o_f32_e32 vcc_lo, v86, v86
                                        ; implicit-def: $vgpr85
	s_delay_alu instid0(VALU_DEP_2) | instskip(NEXT) | instid1(VALU_DEP_1)
	v_add3_u32 v0, v86, v0, 0x7fff
	v_and_b32_e32 v1, 0xffff0000, v0
	v_lshlrev_b32_e32 v0, 16, v101
	s_delay_alu instid0(VALU_DEP_2) | instskip(SKIP_1) | instid1(SALU_CYCLE_1)
	v_cndmask_b32_e32 v1, 0x7fc00000, v1, vcc_lo
	s_and_saveexec_b32 s0, s55
	s_xor_b32 s56, exec_lo, s0
	s_cbranch_execz .LBB33_93
; %bb.92:
	s_swap_pc_i64 s[30:31], s[50:51]
	v_mov_b32_e32 v85, v0
                                        ; implicit-def: $vgpr0
                                        ; implicit-def: $vgpr1
.LBB33_93:
	s_and_not1_saveexec_b32 s26, s56
	s_cbranch_execz .LBB33_95
; %bb.94:
	s_swap_pc_i64 s[30:31], s[52:53]
	v_mov_b32_e32 v85, v0
.LBB33_95:
	s_or_b32 exec_lo, exec_lo, s26
	v_bfe_u32 v0, v87, 16, 1
	v_cmp_o_f32_e32 vcc_lo, v87, v87
	s_delay_alu instid0(VALU_DEP_2) | instskip(NEXT) | instid1(VALU_DEP_1)
	v_add3_u32 v0, v87, v0, 0x7fff
                                        ; implicit-def: $vgpr87
	v_and_b32_e32 v1, 0xffff0000, v0
	v_and_b32_e32 v0, 0xffff0000, v101
	s_delay_alu instid0(VALU_DEP_2) | instskip(SKIP_1) | instid1(SALU_CYCLE_1)
	v_cndmask_b32_e32 v1, 0x7fc00000, v1, vcc_lo
	s_and_saveexec_b32 s0, s55
	s_xor_b32 s56, exec_lo, s0
	s_cbranch_execz .LBB33_97
; %bb.96:
	s_swap_pc_i64 s[30:31], s[50:51]
	v_mov_b32_e32 v87, v0
                                        ; implicit-def: $vgpr0
                                        ; implicit-def: $vgpr1
.LBB33_97:
	s_and_not1_saveexec_b32 s26, s56
	s_cbranch_execz .LBB33_99
; %bb.98:
	s_swap_pc_i64 s[30:31], s[52:53]
	v_mov_b32_e32 v87, v0
.LBB33_99:
	s_or_b32 exec_lo, exec_lo, s26
	s_wait_loadcnt 0x1
	v_bfe_u32 v0, v88, 16, 1
	v_cmp_o_f32_e32 vcc_lo, v88, v88
                                        ; implicit-def: $vgpr86
	s_delay_alu instid0(VALU_DEP_2) | instskip(NEXT) | instid1(VALU_DEP_1)
	v_add3_u32 v0, v88, v0, 0x7fff
	v_and_b32_e32 v1, 0xffff0000, v0
	s_delay_alu instid0(VALU_DEP_1) | instskip(SKIP_1) | instid1(SALU_CYCLE_1)
	v_dual_cndmask_b32 v1, 0x7fc00000, v1 :: v_dual_lshlrev_b32 v0, 16, v98
	s_and_saveexec_b32 s0, s55
	s_xor_b32 s56, exec_lo, s0
	s_cbranch_execz .LBB33_101
; %bb.100:
	s_swap_pc_i64 s[30:31], s[50:51]
	v_mov_b32_e32 v86, v0
                                        ; implicit-def: $vgpr0
                                        ; implicit-def: $vgpr1
.LBB33_101:
	s_and_not1_saveexec_b32 s26, s56
	s_cbranch_execz .LBB33_103
; %bb.102:
	s_swap_pc_i64 s[30:31], s[52:53]
	v_mov_b32_e32 v86, v0
.LBB33_103:
	s_or_b32 exec_lo, exec_lo, s26
	v_bfe_u32 v0, v89, 16, 1
	v_cmp_o_f32_e32 vcc_lo, v89, v89
                                        ; implicit-def: $vgpr88
	s_delay_alu instid0(VALU_DEP_2) | instskip(NEXT) | instid1(VALU_DEP_1)
	v_add3_u32 v0, v89, v0, 0x7fff
	v_and_b32_e32 v1, 0xffff0000, v0
	v_and_b32_e32 v0, 0xffff0000, v98
	s_delay_alu instid0(VALU_DEP_2) | instskip(SKIP_1) | instid1(SALU_CYCLE_1)
	v_cndmask_b32_e32 v1, 0x7fc00000, v1, vcc_lo
	s_and_saveexec_b32 s0, s55
	s_xor_b32 s56, exec_lo, s0
	s_cbranch_execz .LBB33_105
; %bb.104:
	s_swap_pc_i64 s[30:31], s[50:51]
	v_mov_b32_e32 v88, v0
                                        ; implicit-def: $vgpr0
                                        ; implicit-def: $vgpr1
.LBB33_105:
	s_and_not1_saveexec_b32 s26, s56
	s_cbranch_execz .LBB33_107
; %bb.106:
	s_swap_pc_i64 s[30:31], s[52:53]
	v_mov_b32_e32 v88, v0
.LBB33_107:
	s_or_b32 exec_lo, exec_lo, s26
	v_bfe_u32 v0, v90, 16, 1
	v_cmp_o_f32_e32 vcc_lo, v90, v90
                                        ; implicit-def: $vgpr89
	s_delay_alu instid0(VALU_DEP_2) | instskip(NEXT) | instid1(VALU_DEP_1)
	v_add3_u32 v0, v90, v0, 0x7fff
	v_and_b32_e32 v1, 0xffff0000, v0
	s_delay_alu instid0(VALU_DEP_1) | instskip(SKIP_1) | instid1(SALU_CYCLE_1)
	v_dual_cndmask_b32 v1, 0x7fc00000, v1 :: v_dual_lshlrev_b32 v0, 16, v99
	s_and_saveexec_b32 s0, s55
	s_xor_b32 s56, exec_lo, s0
	s_cbranch_execz .LBB33_109
; %bb.108:
	s_swap_pc_i64 s[30:31], s[50:51]
	v_mov_b32_e32 v89, v0
                                        ; implicit-def: $vgpr0
                                        ; implicit-def: $vgpr1
.LBB33_109:
	s_and_not1_saveexec_b32 s26, s56
	s_cbranch_execz .LBB33_111
; %bb.110:
	s_swap_pc_i64 s[30:31], s[52:53]
	v_mov_b32_e32 v89, v0
.LBB33_111:
	s_or_b32 exec_lo, exec_lo, s26
	v_bfe_u32 v0, v91, 16, 1
	v_cmp_o_f32_e32 vcc_lo, v91, v91
                                        ; implicit-def: $vgpr90
	s_delay_alu instid0(VALU_DEP_2) | instskip(NEXT) | instid1(VALU_DEP_1)
	v_add3_u32 v0, v91, v0, 0x7fff
	v_and_b32_e32 v1, 0xffff0000, v0
	v_and_b32_e32 v0, 0xffff0000, v99
	s_delay_alu instid0(VALU_DEP_2) | instskip(SKIP_1) | instid1(SALU_CYCLE_1)
	v_cndmask_b32_e32 v1, 0x7fc00000, v1, vcc_lo
	s_and_saveexec_b32 s0, s55
	s_xor_b32 s56, exec_lo, s0
	s_cbranch_execz .LBB33_113
; %bb.112:
	s_swap_pc_i64 s[30:31], s[50:51]
	v_mov_b32_e32 v90, v0
                                        ; implicit-def: $vgpr0
                                        ; implicit-def: $vgpr1
.LBB33_113:
	s_and_not1_saveexec_b32 s26, s56
	s_cbranch_execz .LBB33_115
; %bb.114:
	s_swap_pc_i64 s[30:31], s[52:53]
	v_mov_b32_e32 v90, v0
.LBB33_115:
	s_or_b32 exec_lo, exec_lo, s26
	s_wait_loadcnt 0x0
	v_bfe_u32 v0, v92, 16, 1
	v_cmp_o_f32_e32 vcc_lo, v92, v92
                                        ; implicit-def: $vgpr91
	s_delay_alu instid0(VALU_DEP_2) | instskip(NEXT) | instid1(VALU_DEP_1)
	v_add3_u32 v0, v92, v0, 0x7fff
	v_and_b32_e32 v1, 0xffff0000, v0
	s_delay_alu instid0(VALU_DEP_1) | instskip(SKIP_1) | instid1(SALU_CYCLE_1)
	v_dual_cndmask_b32 v1, 0x7fc00000, v1 :: v_dual_lshlrev_b32 v0, 16, v96
	s_and_saveexec_b32 s0, s55
	s_xor_b32 s56, exec_lo, s0
	s_cbranch_execz .LBB33_117
; %bb.116:
	s_swap_pc_i64 s[30:31], s[50:51]
	v_mov_b32_e32 v91, v0
                                        ; implicit-def: $vgpr0
                                        ; implicit-def: $vgpr1
.LBB33_117:
	s_and_not1_saveexec_b32 s26, s56
	s_cbranch_execz .LBB33_119
; %bb.118:
	s_swap_pc_i64 s[30:31], s[52:53]
	v_mov_b32_e32 v91, v0
.LBB33_119:
	s_or_b32 exec_lo, exec_lo, s26
	v_bfe_u32 v0, v93, 16, 1
	v_cmp_o_f32_e32 vcc_lo, v93, v93
                                        ; implicit-def: $vgpr92
	s_delay_alu instid0(VALU_DEP_2) | instskip(NEXT) | instid1(VALU_DEP_1)
	v_add3_u32 v0, v93, v0, 0x7fff
	v_and_b32_e32 v1, 0xffff0000, v0
	v_and_b32_e32 v0, 0xffff0000, v96
	s_delay_alu instid0(VALU_DEP_2) | instskip(SKIP_1) | instid1(SALU_CYCLE_1)
	v_cndmask_b32_e32 v1, 0x7fc00000, v1, vcc_lo
	s_and_saveexec_b32 s0, s55
	s_xor_b32 s56, exec_lo, s0
	s_cbranch_execz .LBB33_121
; %bb.120:
	s_swap_pc_i64 s[30:31], s[50:51]
	v_mov_b32_e32 v92, v0
                                        ; implicit-def: $vgpr0
                                        ; implicit-def: $vgpr1
.LBB33_121:
	s_and_not1_saveexec_b32 s26, s56
	s_cbranch_execz .LBB33_123
; %bb.122:
	s_swap_pc_i64 s[30:31], s[52:53]
	v_mov_b32_e32 v92, v0
.LBB33_123:
	s_or_b32 exec_lo, exec_lo, s26
	v_bfe_u32 v0, v94, 16, 1
	v_cmp_o_f32_e32 vcc_lo, v94, v94
                                        ; implicit-def: $vgpr93
	s_delay_alu instid0(VALU_DEP_2) | instskip(NEXT) | instid1(VALU_DEP_1)
	v_add3_u32 v0, v94, v0, 0x7fff
	v_and_b32_e32 v1, 0xffff0000, v0
	v_lshlrev_b32_e32 v0, 16, v97
	s_delay_alu instid0(VALU_DEP_2) | instskip(SKIP_1) | instid1(SALU_CYCLE_1)
	v_cndmask_b32_e32 v1, 0x7fc00000, v1, vcc_lo
	s_and_saveexec_b32 s0, s55
	s_xor_b32 s56, exec_lo, s0
	s_cbranch_execz .LBB33_125
; %bb.124:
	s_swap_pc_i64 s[30:31], s[50:51]
	v_mov_b32_e32 v93, v0
                                        ; implicit-def: $vgpr0
                                        ; implicit-def: $vgpr1
.LBB33_125:
	s_and_not1_saveexec_b32 s26, s56
	s_cbranch_execz .LBB33_127
; %bb.126:
	s_swap_pc_i64 s[30:31], s[52:53]
	v_mov_b32_e32 v93, v0
.LBB33_127:
	s_or_b32 exec_lo, exec_lo, s26
	v_bfe_u32 v0, v95, 16, 1
	v_cmp_o_f32_e32 vcc_lo, v95, v95
	v_and_b32_e32 v2, 0xffff0000, v97
	s_delay_alu instid0(VALU_DEP_3) | instskip(NEXT) | instid1(VALU_DEP_1)
	v_add3_u32 v0, v95, v0, 0x7fff
	v_and_b32_e32 v0, 0xffff0000, v0
	s_delay_alu instid0(VALU_DEP_1) | instskip(SKIP_1) | instid1(SALU_CYCLE_1)
	v_cndmask_b32_e32 v1, 0x7fc00000, v0, vcc_lo
                                        ; implicit-def: $vgpr0
	s_and_saveexec_b32 s0, s55
	s_xor_b32 s55, exec_lo, s0
	s_cbranch_execz .LBB33_129
; %bb.128:
	v_mov_b32_e32 v0, v2
	s_swap_pc_i64 s[30:31], s[50:51]
                                        ; implicit-def: $vgpr2
                                        ; implicit-def: $vgpr1
.LBB33_129:
	s_and_not1_saveexec_b32 s26, s55
	s_cbranch_execz .LBB33_131
; %bb.130:
	v_mov_b32_e32 v0, v2
	s_swap_pc_i64 s[30:31], s[52:53]
.LBB33_131:
	s_or_b32 exec_lo, exec_lo, s26
	v_bfe_u32 v1, v44, 16, 1
	v_bfe_u32 v2, v43, 16, 1
	;; [unrolled: 1-line block ×4, first 2 shown]
	v_cmp_o_f32_e32 vcc_lo, v44, v44
	v_add3_u32 v1, v44, v1, 0x7fff
	v_add3_u32 v2, v43, v2, 0x7fff
	;; [unrolled: 1-line block ×4, first 2 shown]
	v_bfe_u32 v8, v61, 16, 1
	v_and_b32_e32 v1, 0xffff0000, v1
	s_delay_alu instid0(VALU_DEP_4) | instskip(NEXT) | instid1(VALU_DEP_4)
	v_dual_lshrrev_b32 v2, 16, v2 :: v_dual_lshrrev_b32 v3, 16, v3
	v_and_b32_e32 v4, 0xffff0000, v4
	v_bfe_u32 v6, v57, 16, 1
	s_delay_alu instid0(VALU_DEP_4)
	v_cndmask_b32_e32 v1, 0x7fc00000, v1, vcc_lo
	v_cmp_o_f32_e32 vcc_lo, v43, v43
	v_add3_u32 v8, v61, v8, 0x7fff
	v_bfe_u32 v5, v47, 16, 1
	v_add3_u32 v6, v57, v6, 0x7fff
	v_bfe_u32 v7, v58, 16, 1
	v_cndmask_b32_e32 v2, 0x7fc0, v2, vcc_lo
	v_cmp_o_f32_e32 vcc_lo, v46, v46
	v_add3_u32 v5, v47, v5, 0x7fff
	v_bfe_u32 v10, v73, 16, 1
	v_add3_u32 v7, v58, v7, 0x7fff
	v_or_b32_e32 v1, v1, v2
	v_cndmask_b32_e32 v4, 0x7fc00000, v4, vcc_lo
	v_cmp_o_f32_e32 vcc_lo, v45, v45
	v_bfe_u32 v2, v56, 16, 1
	v_add3_u32 v10, v73, v10, 0x7fff
	v_bfe_u32 v12, v77, 16, 1
	v_bfe_u32 v9, v62, 16, 1
	v_cndmask_b32_e32 v3, 0x7fc0, v3, vcc_lo
	v_cmp_o_f32_e32 vcc_lo, v56, v56
	v_bfe_u32 v19, v93, 16, 1
	v_add3_u32 v12, v77, v12, 0x7fff
	v_add3_u32 v9, v62, v9, 0x7fff
	v_or3_b32 v3, 0, v3, v4
	v_add3_u32 v4, v56, v2, 0x7fff
	v_or3_b32 v2, v1, 0, 0
	v_add3_u32 v19, v93, v19, 0x7fff
	v_bfe_u32 v14, v85, 16, 1
	v_bfe_u32 v11, v74, 16, 1
	v_and_b32_e32 v1, 0xffff0000, v4
	v_dual_lshrrev_b32 v4, 16, v5 :: v_dual_lshrrev_b32 v5, 16, v6
	v_and_b32_e32 v6, 0xffff0000, v7
	v_bfe_u32 v7, v59, 16, 1
	s_delay_alu instid0(VALU_DEP_4)
	v_cndmask_b32_e32 v1, 0x7fc00000, v1, vcc_lo
	v_cmp_o_f32_e32 vcc_lo, v47, v47
	v_add3_u32 v14, v85, v14, 0x7fff
	v_add3_u32 v11, v74, v11, 0x7fff
	;; [unrolled: 1-line block ×3, first 2 shown]
	v_bfe_u32 v13, v78, 16, 1
	v_cndmask_b32_e32 v4, 0x7fc0, v4, vcc_lo
	v_cmp_o_f32_e32 vcc_lo, v58, v58
	v_bfe_u32 v15, v84, 16, 1
	v_bfe_u32 v16, v86, 16, 1
	v_add3_u32 v13, v78, v13, 0x7fff
	v_or_b32_e32 v1, v1, v4
	v_cndmask_b32_e32 v6, 0x7fc00000, v6, vcc_lo
	v_cmp_o_f32_e32 vcc_lo, v57, v57
	v_bfe_u32 v4, v60, 16, 1
	v_add3_u32 v15, v84, v15, 0x7fff
	v_bfe_u32 v17, v89, 16, 1
	v_bfe_u32 v18, v88, 16, 1
	v_cndmask_b32_e32 v5, 0x7fc0, v5, vcc_lo
	v_cmp_o_f32_e32 vcc_lo, v60, v60
	v_bfe_u32 v20, v0, 16, 1
	s_add_nc_u64 s[0:1], s[36:37], s[48:49]
	s_delay_alu instid0(VALU_DEP_3) | instskip(SKIP_3) | instid1(VALU_DEP_3)
	v_or3_b32 v5, 0, v5, v6
	v_add3_u32 v6, v60, v4, 0x7fff
	v_or3_b32 v4, v1, 0, 0
	v_add3_u32 v20, v0, v20, 0x7fff
	v_and_b32_e32 v1, 0xffff0000, v6
	v_dual_lshrrev_b32 v6, 16, v7 :: v_dual_lshrrev_b32 v7, 16, v8
	v_and_b32_e32 v8, 0xffff0000, v9
	v_bfe_u32 v9, v63, 16, 1
	s_delay_alu instid0(VALU_DEP_4) | instskip(SKIP_1) | instid1(VALU_DEP_3)
	v_cndmask_b32_e32 v1, 0x7fc00000, v1, vcc_lo
	v_cmp_o_f32_e32 vcc_lo, v59, v59
	v_add3_u32 v9, v63, v9, 0x7fff
	v_cndmask_b32_e32 v6, 0x7fc0, v6, vcc_lo
	v_cmp_o_f32_e32 vcc_lo, v62, v62
	s_delay_alu instid0(VALU_DEP_2)
	v_or_b32_e32 v1, v1, v6
	v_cndmask_b32_e32 v8, 0x7fc00000, v8, vcc_lo
	v_cmp_o_f32_e32 vcc_lo, v61, v61
	v_bfe_u32 v6, v72, 16, 1
	v_cndmask_b32_e32 v7, 0x7fc0, v7, vcc_lo
	v_cmp_o_f32_e32 vcc_lo, v72, v72
	s_delay_alu instid0(VALU_DEP_2) | instskip(NEXT) | instid1(VALU_DEP_4)
	v_or3_b32 v7, 0, v7, v8
	v_add3_u32 v8, v72, v6, 0x7fff
	v_or3_b32 v6, v1, 0, 0
	s_delay_alu instid0(VALU_DEP_2) | instskip(SKIP_3) | instid1(VALU_DEP_4)
	v_and_b32_e32 v1, 0xffff0000, v8
	v_dual_lshrrev_b32 v8, 16, v9 :: v_dual_lshrrev_b32 v9, 16, v10
	v_and_b32_e32 v10, 0xffff0000, v11
	v_bfe_u32 v11, v75, 16, 1
	v_cndmask_b32_e32 v1, 0x7fc00000, v1, vcc_lo
	v_cmp_o_f32_e32 vcc_lo, v63, v63
	s_delay_alu instid0(VALU_DEP_3) | instskip(SKIP_2) | instid1(VALU_DEP_2)
	v_add3_u32 v11, v75, v11, 0x7fff
	v_cndmask_b32_e32 v8, 0x7fc0, v8, vcc_lo
	v_cmp_o_f32_e32 vcc_lo, v74, v74
	v_or_b32_e32 v1, v1, v8
	v_cndmask_b32_e32 v10, 0x7fc00000, v10, vcc_lo
	v_cmp_o_f32_e32 vcc_lo, v73, v73
	v_bfe_u32 v8, v76, 16, 1
	v_cndmask_b32_e32 v9, 0x7fc0, v9, vcc_lo
	v_cmp_o_f32_e32 vcc_lo, v76, v76
	s_delay_alu instid0(VALU_DEP_2) | instskip(NEXT) | instid1(VALU_DEP_4)
	v_or3_b32 v9, 0, v9, v10
	v_add3_u32 v10, v76, v8, 0x7fff
	v_or3_b32 v8, v1, 0, 0
	s_delay_alu instid0(VALU_DEP_2) | instskip(SKIP_3) | instid1(VALU_DEP_4)
	v_and_b32_e32 v1, 0xffff0000, v10
	v_dual_lshrrev_b32 v10, 16, v11 :: v_dual_lshrrev_b32 v11, 16, v12
	v_and_b32_e32 v12, 0xffff0000, v13
	v_bfe_u32 v13, v79, 16, 1
	v_cndmask_b32_e32 v1, 0x7fc00000, v1, vcc_lo
	v_cmp_o_f32_e32 vcc_lo, v75, v75
	s_delay_alu instid0(VALU_DEP_3) | instskip(SKIP_2) | instid1(VALU_DEP_2)
	v_add3_u32 v13, v79, v13, 0x7fff
	v_cndmask_b32_e32 v10, 0x7fc0, v10, vcc_lo
	v_cmp_o_f32_e32 vcc_lo, v78, v78
	v_or_b32_e32 v1, v1, v10
	v_cndmask_b32_e32 v12, 0x7fc00000, v12, vcc_lo
	v_cmp_o_f32_e32 vcc_lo, v77, v77
	v_bfe_u32 v10, v87, 16, 1
	v_cndmask_b32_e32 v11, 0x7fc0, v11, vcc_lo
	v_cmp_o_f32_e32 vcc_lo, v87, v87
	s_delay_alu instid0(VALU_DEP_2) | instskip(NEXT) | instid1(VALU_DEP_4)
	v_or3_b32 v11, 0, v11, v12
	v_add3_u32 v12, v87, v10, 0x7fff
	v_or3_b32 v10, v1, 0, 0
	s_delay_alu instid0(VALU_DEP_2) | instskip(SKIP_3) | instid1(VALU_DEP_4)
	v_and_b32_e32 v1, 0xffff0000, v12
	v_dual_lshrrev_b32 v12, 16, v13 :: v_dual_lshrrev_b32 v13, 16, v14
	v_and_b32_e32 v14, 0xffff0000, v15
	v_bfe_u32 v15, v90, 16, 1
	v_cndmask_b32_e32 v1, 0x7fc00000, v1, vcc_lo
	v_cmp_o_f32_e32 vcc_lo, v85, v85
	v_cndmask_b32_e32 v13, 0x7fc0, v13, vcc_lo
	v_cmp_o_f32_e32 vcc_lo, v84, v84
	s_delay_alu instid0(VALU_DEP_2) | instskip(SKIP_4) | instid1(VALU_DEP_2)
	v_or3_b32 v1, 0, v13, v1
	v_cndmask_b32_e32 v14, 0x7fc00000, v14, vcc_lo
	v_cmp_o_f32_e32 vcc_lo, v79, v79
	v_cndmask_b32_e32 v12, 0x7fc0, v12, vcc_lo
	v_cmp_o_f32_e32 vcc_lo, v90, v90
	v_or_b32_e32 v12, v14, v12
	v_add3_u32 v14, v90, v15, 0x7fff
	v_add3_u32 v15, v86, v16, 0x7fff
	;; [unrolled: 1-line block ×4, first 2 shown]
	v_bfe_u32 v18, v92, 16, 1
	v_and_b32_e32 v13, 0xffff0000, v14
	s_delay_alu instid0(VALU_DEP_4) | instskip(NEXT) | instid1(VALU_DEP_4)
	v_dual_lshrrev_b32 v14, 16, v15 :: v_dual_lshrrev_b32 v15, 16, v16
	v_and_b32_e32 v16, 0xffff0000, v17
	v_bfe_u32 v17, v91, 16, 1
	s_delay_alu instid0(VALU_DEP_4) | instskip(SKIP_2) | instid1(VALU_DEP_4)
	v_cndmask_b32_e32 v13, 0x7fc00000, v13, vcc_lo
	v_cmp_o_f32_e32 vcc_lo, v89, v89
	v_add3_u32 v18, v92, v18, 0x7fff
	v_add3_u32 v17, v91, v17, 0x7fff
	v_cndmask_b32_e32 v15, 0x7fc0, v15, vcc_lo
	v_cmp_o_f32_e32 vcc_lo, v88, v88
	s_delay_alu instid0(VALU_DEP_3) | instskip(NEXT) | instid1(VALU_DEP_3)
	v_lshrrev_b32_e32 v17, 16, v17
	v_or3_b32 v13, 0, v15, v13
	v_cndmask_b32_e32 v16, 0x7fc00000, v16, vcc_lo
	v_cmp_o_f32_e32 vcc_lo, v86, v86
	v_cndmask_b32_e32 v14, 0x7fc0, v14, vcc_lo
	v_cmp_o_f32_e32 vcc_lo, v92, v92
	s_delay_alu instid0(VALU_DEP_2) | instskip(SKIP_3) | instid1(VALU_DEP_3)
	v_or_b32_e32 v14, v16, v14
	v_and_b32_e32 v16, 0xffff0000, v18
	v_lshrrev_b32_e32 v18, 16, v19
	v_and_b32_e32 v19, 0xffff0000, v20
	v_cndmask_b32_e32 v16, 0x7fc00000, v16, vcc_lo
	v_cmp_o_f32_e32 vcc_lo, v91, v91
	v_cndmask_b32_e32 v17, 0x7fc0, v17, vcc_lo
	v_cmp_o_f32_e32 vcc_lo, v0, v0
	v_or3_b32 v0, v12, 0, 0
	v_or3_b32 v12, v14, 0, 0
	s_delay_alu instid0(VALU_DEP_4) | instskip(SKIP_2) | instid1(VALU_DEP_3)
	v_or_b32_e32 v16, v16, v17
	v_cndmask_b32_e32 v19, 0x7fc00000, v19, vcc_lo
	v_cmp_o_f32_e32 vcc_lo, v93, v93
	v_or3_b32 v14, v16, 0, 0
	v_cndmask_b32_e32 v18, 0x7fc0, v18, vcc_lo
	s_delay_alu instid0(VALU_DEP_1)
	v_or3_b32 v15, 0, v18, v19
	s_clause 0x7
	global_store_b64 v113, v[2:3], s[0:1] scale_offset
	global_store_b64 v113, v[4:5], s[0:1] offset:4096 scale_offset
	global_store_b64 v113, v[6:7], s[0:1] offset:8192 scale_offset
	;; [unrolled: 1-line block ×7, first 2 shown]
	s_branch .LBB33_2
.LBB33_132:
	s_clause 0x1
	s_load_b32 s6, s[34:35], 0x24
	s_load_b128 s[0:3], s[34:35], 0x28
	ds_load_u8 v0, v112
	v_dual_mov_b32 v31, v42 :: v_dual_mov_b32 v1, s36
	v_dual_mov_b32 v2, s37 :: v_dual_mov_b32 v3, s38
	v_dual_mov_b32 v4, s39 :: v_dual_mov_b32 v5, s46
	v_dual_mov_b32 v6, s47 :: v_dual_mov_b32 v7, s54
	s_add_nc_u64 s[8:9], s[34:35], 56
	s_get_pc_i64 s[4:5]
	s_add_nc_u64 s[4:5], s[4:5], _ZN2at6native25elementwise_kernel_helperILb1EN12_GLOBAL__N_110CalcIgammaIfEENS0_6memory8policies11unroll_baseILi512ESt5arrayIPcLm3EE23TrivialOffsetCalculatorILi2EjESB_ILi1EjENS5_12LoadWithCastILi2EEENS5_13StoreWithCastILi1EEELi32ELi1EEEEEvT0_T1_@rel64+4
	s_wait_kmcnt 0x0
	s_bfe_u32 s7, s6, 0x80008
	v_dual_mov_b32 v8, s6 :: v_dual_mov_b32 v10, s0
	v_dual_mov_b32 v11, s1 :: v_dual_mov_b32 v12, s2
	;; [unrolled: 1-line block ×3, first 2 shown]
	s_swap_pc_i64 s[30:31], s[4:5]
	s_endpgm
	.section	.rodata,"a",@progbits
	.p2align	6, 0x0
	.amdhsa_kernel _ZN2at6native39vectorized_templated_elementwise_kernelILi4EN12_GLOBAL__N_110CalcIgammaIfEESt5arrayIPcLm3EE23TrivialOffsetCalculatorILi2EjES8_ILi1EjENS0_6memory12LoadWithCastILi2EEENSB_13StoreWithCastILi1EEEN3c108BFloat16EJSH_fEEEviT0_T1_T2_T3_T4_T5_
		.amdhsa_group_segment_fixed_size 1024
		.amdhsa_private_segment_fixed_size 448
		.amdhsa_kernarg_size 312
		.amdhsa_user_sgpr_count 4
		.amdhsa_user_sgpr_dispatch_ptr 1
		.amdhsa_user_sgpr_queue_ptr 0
		.amdhsa_user_sgpr_kernarg_segment_ptr 1
		.amdhsa_user_sgpr_dispatch_id 0
		.amdhsa_user_sgpr_kernarg_preload_length 0
		.amdhsa_user_sgpr_kernarg_preload_offset 0
		.amdhsa_user_sgpr_private_segment_size 0
		.amdhsa_wavefront_size32 1
		.amdhsa_uses_dynamic_stack 0
		.amdhsa_enable_private_segment 1
		.amdhsa_system_sgpr_workgroup_id_x 1
		.amdhsa_system_sgpr_workgroup_id_y 0
		.amdhsa_system_sgpr_workgroup_id_z 0
		.amdhsa_system_sgpr_workgroup_info 0
		.amdhsa_system_vgpr_workitem_id 2
		.amdhsa_next_free_vgpr 214
		.amdhsa_next_free_sgpr 96
		.amdhsa_named_barrier_count 0
		.amdhsa_reserve_vcc 1
		.amdhsa_float_round_mode_32 0
		.amdhsa_float_round_mode_16_64 0
		.amdhsa_float_denorm_mode_32 3
		.amdhsa_float_denorm_mode_16_64 3
		.amdhsa_fp16_overflow 0
		.amdhsa_memory_ordered 1
		.amdhsa_forward_progress 1
		.amdhsa_inst_pref_size 42
		.amdhsa_round_robin_scheduling 0
		.amdhsa_exception_fp_ieee_invalid_op 0
		.amdhsa_exception_fp_denorm_src 0
		.amdhsa_exception_fp_ieee_div_zero 0
		.amdhsa_exception_fp_ieee_overflow 0
		.amdhsa_exception_fp_ieee_underflow 0
		.amdhsa_exception_fp_ieee_inexact 0
		.amdhsa_exception_int_div_zero 0
	.end_amdhsa_kernel
	.section	.text._ZN2at6native39vectorized_templated_elementwise_kernelILi4EN12_GLOBAL__N_110CalcIgammaIfEESt5arrayIPcLm3EE23TrivialOffsetCalculatorILi2EjES8_ILi1EjENS0_6memory12LoadWithCastILi2EEENSB_13StoreWithCastILi1EEEN3c108BFloat16EJSH_fEEEviT0_T1_T2_T3_T4_T5_,"axG",@progbits,_ZN2at6native39vectorized_templated_elementwise_kernelILi4EN12_GLOBAL__N_110CalcIgammaIfEESt5arrayIPcLm3EE23TrivialOffsetCalculatorILi2EjES8_ILi1EjENS0_6memory12LoadWithCastILi2EEENSB_13StoreWithCastILi1EEEN3c108BFloat16EJSH_fEEEviT0_T1_T2_T3_T4_T5_,comdat
.Lfunc_end33:
	.size	_ZN2at6native39vectorized_templated_elementwise_kernelILi4EN12_GLOBAL__N_110CalcIgammaIfEESt5arrayIPcLm3EE23TrivialOffsetCalculatorILi2EjES8_ILi1EjENS0_6memory12LoadWithCastILi2EEENSB_13StoreWithCastILi1EEEN3c108BFloat16EJSH_fEEEviT0_T1_T2_T3_T4_T5_, .Lfunc_end33-_ZN2at6native39vectorized_templated_elementwise_kernelILi4EN12_GLOBAL__N_110CalcIgammaIfEESt5arrayIPcLm3EE23TrivialOffsetCalculatorILi2EjES8_ILi1EjENS0_6memory12LoadWithCastILi2EEENSB_13StoreWithCastILi1EEEN3c108BFloat16EJSH_fEEEviT0_T1_T2_T3_T4_T5_
                                        ; -- End function
	.set _ZN2at6native39vectorized_templated_elementwise_kernelILi4EN12_GLOBAL__N_110CalcIgammaIfEESt5arrayIPcLm3EE23TrivialOffsetCalculatorILi2EjES8_ILi1EjENS0_6memory12LoadWithCastILi2EEENSB_13StoreWithCastILi1EEEN3c108BFloat16EJSH_fEEEviT0_T1_T2_T3_T4_T5_.num_vgpr, max(114, .L_ZN12_GLOBAL__N_111calc_igammaIfEET_S1_S1_.num_vgpr, .L_ZN12_GLOBAL__N_112calc_igammacIfEET_S1_S1_.num_vgpr, .L_ZN2at6native25elementwise_kernel_helperILb1EN12_GLOBAL__N_110CalcIgammaIfEENS0_6memory8policies11unroll_baseILi512ESt5arrayIPcLm3EE23TrivialOffsetCalculatorILi2EjESB_ILi1EjENS5_12LoadWithCastILi2EEENS5_13StoreWithCastILi1EEELi32ELi1EEEEEvT0_T1_.num_vgpr)
	.set _ZN2at6native39vectorized_templated_elementwise_kernelILi4EN12_GLOBAL__N_110CalcIgammaIfEESt5arrayIPcLm3EE23TrivialOffsetCalculatorILi2EjES8_ILi1EjENS0_6memory12LoadWithCastILi2EEENSB_13StoreWithCastILi1EEEN3c108BFloat16EJSH_fEEEviT0_T1_T2_T3_T4_T5_.num_agpr, max(0, .L_ZN12_GLOBAL__N_111calc_igammaIfEET_S1_S1_.num_agpr, .L_ZN12_GLOBAL__N_112calc_igammacIfEET_S1_S1_.num_agpr, .L_ZN2at6native25elementwise_kernel_helperILb1EN12_GLOBAL__N_110CalcIgammaIfEENS0_6memory8policies11unroll_baseILi512ESt5arrayIPcLm3EE23TrivialOffsetCalculatorILi2EjESB_ILi1EjENS5_12LoadWithCastILi2EEENS5_13StoreWithCastILi1EEELi32ELi1EEEEEvT0_T1_.num_agpr)
	.set _ZN2at6native39vectorized_templated_elementwise_kernelILi4EN12_GLOBAL__N_110CalcIgammaIfEESt5arrayIPcLm3EE23TrivialOffsetCalculatorILi2EjES8_ILi1EjENS0_6memory12LoadWithCastILi2EEENSB_13StoreWithCastILi1EEEN3c108BFloat16EJSH_fEEEviT0_T1_T2_T3_T4_T5_.numbered_sgpr, max(57, .L_ZN12_GLOBAL__N_111calc_igammaIfEET_S1_S1_.numbered_sgpr, .L_ZN12_GLOBAL__N_112calc_igammacIfEET_S1_S1_.numbered_sgpr, .L_ZN2at6native25elementwise_kernel_helperILb1EN12_GLOBAL__N_110CalcIgammaIfEENS0_6memory8policies11unroll_baseILi512ESt5arrayIPcLm3EE23TrivialOffsetCalculatorILi2EjESB_ILi1EjENS5_12LoadWithCastILi2EEENS5_13StoreWithCastILi1EEELi32ELi1EEEEEvT0_T1_.numbered_sgpr)
	.set _ZN2at6native39vectorized_templated_elementwise_kernelILi4EN12_GLOBAL__N_110CalcIgammaIfEESt5arrayIPcLm3EE23TrivialOffsetCalculatorILi2EjES8_ILi1EjENS0_6memory12LoadWithCastILi2EEENSB_13StoreWithCastILi1EEEN3c108BFloat16EJSH_fEEEviT0_T1_T2_T3_T4_T5_.num_named_barrier, max(0, .L_ZN12_GLOBAL__N_111calc_igammaIfEET_S1_S1_.num_named_barrier, .L_ZN12_GLOBAL__N_112calc_igammacIfEET_S1_S1_.num_named_barrier, .L_ZN2at6native25elementwise_kernel_helperILb1EN12_GLOBAL__N_110CalcIgammaIfEENS0_6memory8policies11unroll_baseILi512ESt5arrayIPcLm3EE23TrivialOffsetCalculatorILi2EjESB_ILi1EjENS5_12LoadWithCastILi2EEENS5_13StoreWithCastILi1EEELi32ELi1EEEEEvT0_T1_.num_named_barrier)
	.set _ZN2at6native39vectorized_templated_elementwise_kernelILi4EN12_GLOBAL__N_110CalcIgammaIfEESt5arrayIPcLm3EE23TrivialOffsetCalculatorILi2EjES8_ILi1EjENS0_6memory12LoadWithCastILi2EEENSB_13StoreWithCastILi1EEEN3c108BFloat16EJSH_fEEEviT0_T1_T2_T3_T4_T5_.private_seg_size, 0+max(.L_ZN12_GLOBAL__N_111calc_igammaIfEET_S1_S1_.private_seg_size, .L_ZN12_GLOBAL__N_112calc_igammacIfEET_S1_S1_.private_seg_size, .L_ZN2at6native25elementwise_kernel_helperILb1EN12_GLOBAL__N_110CalcIgammaIfEENS0_6memory8policies11unroll_baseILi512ESt5arrayIPcLm3EE23TrivialOffsetCalculatorILi2EjESB_ILi1EjENS5_12LoadWithCastILi2EEENS5_13StoreWithCastILi1EEELi32ELi1EEEEEvT0_T1_.private_seg_size)
	.set _ZN2at6native39vectorized_templated_elementwise_kernelILi4EN12_GLOBAL__N_110CalcIgammaIfEESt5arrayIPcLm3EE23TrivialOffsetCalculatorILi2EjES8_ILi1EjENS0_6memory12LoadWithCastILi2EEENSB_13StoreWithCastILi1EEEN3c108BFloat16EJSH_fEEEviT0_T1_T2_T3_T4_T5_.uses_vcc, or(1, .L_ZN12_GLOBAL__N_111calc_igammaIfEET_S1_S1_.uses_vcc, .L_ZN12_GLOBAL__N_112calc_igammacIfEET_S1_S1_.uses_vcc, .L_ZN2at6native25elementwise_kernel_helperILb1EN12_GLOBAL__N_110CalcIgammaIfEENS0_6memory8policies11unroll_baseILi512ESt5arrayIPcLm3EE23TrivialOffsetCalculatorILi2EjESB_ILi1EjENS5_12LoadWithCastILi2EEENS5_13StoreWithCastILi1EEELi32ELi1EEEEEvT0_T1_.uses_vcc)
	.set _ZN2at6native39vectorized_templated_elementwise_kernelILi4EN12_GLOBAL__N_110CalcIgammaIfEESt5arrayIPcLm3EE23TrivialOffsetCalculatorILi2EjES8_ILi1EjENS0_6memory12LoadWithCastILi2EEENSB_13StoreWithCastILi1EEEN3c108BFloat16EJSH_fEEEviT0_T1_T2_T3_T4_T5_.uses_flat_scratch, or(0, .L_ZN12_GLOBAL__N_111calc_igammaIfEET_S1_S1_.uses_flat_scratch, .L_ZN12_GLOBAL__N_112calc_igammacIfEET_S1_S1_.uses_flat_scratch, .L_ZN2at6native25elementwise_kernel_helperILb1EN12_GLOBAL__N_110CalcIgammaIfEENS0_6memory8policies11unroll_baseILi512ESt5arrayIPcLm3EE23TrivialOffsetCalculatorILi2EjESB_ILi1EjENS5_12LoadWithCastILi2EEENS5_13StoreWithCastILi1EEELi32ELi1EEEEEvT0_T1_.uses_flat_scratch)
	.set _ZN2at6native39vectorized_templated_elementwise_kernelILi4EN12_GLOBAL__N_110CalcIgammaIfEESt5arrayIPcLm3EE23TrivialOffsetCalculatorILi2EjES8_ILi1EjENS0_6memory12LoadWithCastILi2EEENSB_13StoreWithCastILi1EEEN3c108BFloat16EJSH_fEEEviT0_T1_T2_T3_T4_T5_.has_dyn_sized_stack, or(0, .L_ZN12_GLOBAL__N_111calc_igammaIfEET_S1_S1_.has_dyn_sized_stack, .L_ZN12_GLOBAL__N_112calc_igammacIfEET_S1_S1_.has_dyn_sized_stack, .L_ZN2at6native25elementwise_kernel_helperILb1EN12_GLOBAL__N_110CalcIgammaIfEENS0_6memory8policies11unroll_baseILi512ESt5arrayIPcLm3EE23TrivialOffsetCalculatorILi2EjESB_ILi1EjENS5_12LoadWithCastILi2EEENS5_13StoreWithCastILi1EEELi32ELi1EEEEEvT0_T1_.has_dyn_sized_stack)
	.set _ZN2at6native39vectorized_templated_elementwise_kernelILi4EN12_GLOBAL__N_110CalcIgammaIfEESt5arrayIPcLm3EE23TrivialOffsetCalculatorILi2EjES8_ILi1EjENS0_6memory12LoadWithCastILi2EEENSB_13StoreWithCastILi1EEEN3c108BFloat16EJSH_fEEEviT0_T1_T2_T3_T4_T5_.has_recursion, or(0, .L_ZN12_GLOBAL__N_111calc_igammaIfEET_S1_S1_.has_recursion, .L_ZN12_GLOBAL__N_112calc_igammacIfEET_S1_S1_.has_recursion, .L_ZN2at6native25elementwise_kernel_helperILb1EN12_GLOBAL__N_110CalcIgammaIfEENS0_6memory8policies11unroll_baseILi512ESt5arrayIPcLm3EE23TrivialOffsetCalculatorILi2EjESB_ILi1EjENS5_12LoadWithCastILi2EEENS5_13StoreWithCastILi1EEELi32ELi1EEEEEvT0_T1_.has_recursion)
	.set _ZN2at6native39vectorized_templated_elementwise_kernelILi4EN12_GLOBAL__N_110CalcIgammaIfEESt5arrayIPcLm3EE23TrivialOffsetCalculatorILi2EjES8_ILi1EjENS0_6memory12LoadWithCastILi2EEENSB_13StoreWithCastILi1EEEN3c108BFloat16EJSH_fEEEviT0_T1_T2_T3_T4_T5_.has_indirect_call, or(0, .L_ZN12_GLOBAL__N_111calc_igammaIfEET_S1_S1_.has_indirect_call, .L_ZN12_GLOBAL__N_112calc_igammacIfEET_S1_S1_.has_indirect_call, .L_ZN2at6native25elementwise_kernel_helperILb1EN12_GLOBAL__N_110CalcIgammaIfEENS0_6memory8policies11unroll_baseILi512ESt5arrayIPcLm3EE23TrivialOffsetCalculatorILi2EjESB_ILi1EjENS5_12LoadWithCastILi2EEENS5_13StoreWithCastILi1EEELi32ELi1EEEEEvT0_T1_.has_indirect_call)
	.section	.AMDGPU.csdata,"",@progbits
; Kernel info:
; codeLenInByte = 5300
; TotalNumSgprs: 98
; NumVgprs: 214
; ScratchSize: 448
; MemoryBound: 0
; FloatMode: 240
; IeeeMode: 1
; LDSByteSize: 1024 bytes/workgroup (compile time only)
; SGPRBlocks: 0
; VGPRBlocks: 13
; NumSGPRsForWavesPerEU: 98
; NumVGPRsForWavesPerEU: 214
; NamedBarCnt: 0
; Occupancy: 4
; WaveLimiterHint : 0
; COMPUTE_PGM_RSRC2:SCRATCH_EN: 1
; COMPUTE_PGM_RSRC2:USER_SGPR: 4
; COMPUTE_PGM_RSRC2:TRAP_HANDLER: 0
; COMPUTE_PGM_RSRC2:TGID_X_EN: 1
; COMPUTE_PGM_RSRC2:TGID_Y_EN: 0
; COMPUTE_PGM_RSRC2:TGID_Z_EN: 0
; COMPUTE_PGM_RSRC2:TIDIG_COMP_CNT: 2
	.section	.text._ZN2at6native39vectorized_templated_elementwise_kernelILi2EN12_GLOBAL__N_110CalcIgammaIfEESt5arrayIPcLm3EE23TrivialOffsetCalculatorILi2EjES8_ILi1EjENS0_6memory12LoadWithCastILi2EEENSB_13StoreWithCastILi1EEEN3c108BFloat16EJSH_fEEEviT0_T1_T2_T3_T4_T5_,"axG",@progbits,_ZN2at6native39vectorized_templated_elementwise_kernelILi2EN12_GLOBAL__N_110CalcIgammaIfEESt5arrayIPcLm3EE23TrivialOffsetCalculatorILi2EjES8_ILi1EjENS0_6memory12LoadWithCastILi2EEENSB_13StoreWithCastILi1EEEN3c108BFloat16EJSH_fEEEviT0_T1_T2_T3_T4_T5_,comdat
	.globl	_ZN2at6native39vectorized_templated_elementwise_kernelILi2EN12_GLOBAL__N_110CalcIgammaIfEESt5arrayIPcLm3EE23TrivialOffsetCalculatorILi2EjES8_ILi1EjENS0_6memory12LoadWithCastILi2EEENSB_13StoreWithCastILi1EEEN3c108BFloat16EJSH_fEEEviT0_T1_T2_T3_T4_T5_ ; -- Begin function _ZN2at6native39vectorized_templated_elementwise_kernelILi2EN12_GLOBAL__N_110CalcIgammaIfEESt5arrayIPcLm3EE23TrivialOffsetCalculatorILi2EjES8_ILi1EjENS0_6memory12LoadWithCastILi2EEENSB_13StoreWithCastILi1EEEN3c108BFloat16EJSH_fEEEviT0_T1_T2_T3_T4_T5_
	.p2align	8
	.type	_ZN2at6native39vectorized_templated_elementwise_kernelILi2EN12_GLOBAL__N_110CalcIgammaIfEESt5arrayIPcLm3EE23TrivialOffsetCalculatorILi2EjES8_ILi1EjENS0_6memory12LoadWithCastILi2EEENSB_13StoreWithCastILi1EEEN3c108BFloat16EJSH_fEEEviT0_T1_T2_T3_T4_T5_,@function
_ZN2at6native39vectorized_templated_elementwise_kernelILi2EN12_GLOBAL__N_110CalcIgammaIfEESt5arrayIPcLm3EE23TrivialOffsetCalculatorILi2EjES8_ILi1EjENS0_6memory12LoadWithCastILi2EEENSB_13StoreWithCastILi1EEEN3c108BFloat16EJSH_fEEEviT0_T1_T2_T3_T4_T5_: ; @_ZN2at6native39vectorized_templated_elementwise_kernelILi2EN12_GLOBAL__N_110CalcIgammaIfEESt5arrayIPcLm3EE23TrivialOffsetCalculatorILi2EjES8_ILi1EjENS0_6memory12LoadWithCastILi2EEENSB_13StoreWithCastILi1EEEN3c108BFloat16EJSH_fEEEviT0_T1_T2_T3_T4_T5_
; %bb.0:
	s_mov_b64 s[34:35], s[2:3]
	s_load_b64 s[2:3], s[0:1], 0x4
	s_clause 0x2
	s_load_b64 s[4:5], s[34:35], 0x0
	s_load_b64 s[38:39], s[34:35], 0x18
	s_load_b32 s6, s[34:35], 0x38
	s_wait_xcnt 0x0
	s_bfe_u32 s1, ttmp6, 0x4000c
	s_and_b32 s0, ttmp6, 15
	s_add_co_i32 s1, s1, 1
	s_load_b128 s[48:51], s[34:35], 0x8
	s_mul_i32 s1, ttmp9, s1
	s_getreg_b32 s7, hwreg(HW_REG_IB_STS2, 6, 4)
	s_add_co_i32 s0, s0, s1
	s_mov_b32 s32, 0
	s_wait_kmcnt 0x0
	s_lshr_b32 s2, s2, 16
	s_and_b32 s1, s5, 1
	v_mov_b32_e32 v42, v0
	s_mul_i32 s2, s2, s3
	s_cmp_eq_u32 s7, 0
	s_cselect_b32 s0, ttmp9, s0
	s_delay_alu instid0(VALU_DEP_1) | instskip(SKIP_3) | instid1(VALU_DEP_3)
	v_and_b32_e32 v97, 0x3ff, v42
	v_bfe_u32 v0, v42, 10, 10
	v_bfe_u32 v2, v42, 20, 10
	s_not_b32 s0, s0
	v_mul_lo_u32 v1, s2, v97
	s_delay_alu instid0(VALU_DEP_3) | instskip(SKIP_3) | instid1(SALU_CYCLE_1)
	v_mul_u32_u24_e32 v0, s3, v0
	s_add_co_i32 s6, s6, s0
	s_mov_b32 s2, -1
	s_lshl_b32 s0, s6, 14
	s_sub_co_i32 s37, s4, s0
	s_delay_alu instid0(SALU_CYCLE_1) | instskip(NEXT) | instid1(VALU_DEP_2)
	s_cmp_gt_i32 s37, 0x3fff
	v_add3_u32 v96, v1, v0, v2
	v_mov_b32_e32 v0, s1
	ds_store_b8 v96, v0
	s_cbranch_scc1 .LBB34_3
; %bb.1:
	s_and_b32 vcc_lo, exec_lo, s2
	s_cbranch_vccnz .LBB34_132
.LBB34_2:
	s_endpgm
.LBB34_3:
	s_ashr_i32 s1, s0, 31
	s_get_pc_i64 s[52:53]
	s_add_nc_u64 s[52:53], s[52:53], _ZN12_GLOBAL__N_111calc_igammaIfEET_S1_S1_@rel64+4
	s_lshl_b64 s[46:47], s[0:1], 1
	s_lshl_b64 s[0:1], s[0:1], 2
	s_add_nc_u64 s[2:3], s[50:51], s[46:47]
	s_add_nc_u64 s[0:1], s[38:39], s[0:1]
	s_clause 0x1f
	global_load_b32 v113, v97, s[2:3] scale_offset
	global_load_b32 v112, v97, s[2:3] offset:2048 scale_offset
	global_load_b32 v111, v97, s[2:3] offset:4096 scale_offset
	;; [unrolled: 1-line block ×7, first 2 shown]
	global_load_b64 v[44:45], v97, s[0:1] scale_offset
	global_load_b32 v105, v97, s[2:3] offset:16384 scale_offset
	global_load_b32 v104, v97, s[2:3] offset:18432 scale_offset
	;; [unrolled: 1-line block ×8, first 2 shown]
	global_load_b64 v[46:47], v97, s[0:1] offset:4096 scale_offset
	global_load_b64 v[56:57], v97, s[0:1] offset:8192 scale_offset
	;; [unrolled: 1-line block ×13, first 2 shown]
	; meta instruction
	global_load_b64 v[92:93], v97, s[0:1] offset:57344 scale_offset
	global_load_b64 v[94:95], v97, s[0:1] offset:61440 scale_offset
	ds_load_u8 v0, v96
                                        ; implicit-def: $vgpr43
	s_wait_loadcnt_dscnt 0x1f00
	v_dual_lshlrev_b32 v0, 16, v113 :: v_dual_bitop2_b32 v2, 1, v0 bitop3:0x40
	s_delay_alu instid0(VALU_DEP_1)
	v_cmp_eq_u32_e32 vcc_lo, 1, v2
	ds_store_b8 v96, v2 offset:512
	s_xor_b32 s56, vcc_lo, -1
	s_wait_loadcnt 0x17
	v_bfe_u32 v1, v44, 16, 1
	s_wait_xcnt 0x0
	v_cmp_u_f32_e64 s0, v44, v44
	v_cmp_u_f32_e64 s36, v45, v45
	s_delay_alu instid0(VALU_DEP_3) | instskip(NEXT) | instid1(VALU_DEP_1)
	v_add3_u32 v1, v44, v1, 0x7fff
	v_and_b32_e32 v1, 0xffff0000, v1
	s_delay_alu instid0(VALU_DEP_1) | instskip(SKIP_1) | instid1(SALU_CYCLE_1)
	v_cndmask_b32_e64 v1, v1, 0x7fc00000, s0
	s_and_saveexec_b32 s0, s56
	s_xor_b32 s54, exec_lo, s0
	s_cbranch_execz .LBB34_5
; %bb.4:
	s_swap_pc_i64 s[30:31], s[52:53]
	v_mov_b32_e32 v43, v0
                                        ; implicit-def: $vgpr0
                                        ; implicit-def: $vgpr1
.LBB34_5:
	s_or_saveexec_b32 s26, s54
	s_get_pc_i64 s[54:55]
	s_add_nc_u64 s[54:55], s[54:55], _ZN12_GLOBAL__N_112calc_igammacIfEET_S1_S1_@rel64+4
	s_xor_b32 exec_lo, exec_lo, s26
	s_cbranch_execz .LBB34_7
; %bb.6:
	s_swap_pc_i64 s[30:31], s[54:55]
	v_mov_b32_e32 v43, v0
.LBB34_7:
	s_or_b32 exec_lo, exec_lo, s26
	v_bfe_u32 v0, v45, 16, 1
                                        ; implicit-def: $vgpr44
	s_delay_alu instid0(VALU_DEP_1) | instskip(NEXT) | instid1(VALU_DEP_1)
	v_add3_u32 v0, v45, v0, 0x7fff
	v_and_b32_e32 v1, 0xffff0000, v0
	v_and_b32_e32 v0, 0xffff0000, v113
	s_delay_alu instid0(VALU_DEP_2) | instskip(SKIP_1) | instid1(SALU_CYCLE_1)
	v_cndmask_b32_e64 v1, v1, 0x7fc00000, s36
	s_and_saveexec_b32 s0, s56
	s_xor_b32 s36, exec_lo, s0
	s_cbranch_execz .LBB34_9
; %bb.8:
	s_swap_pc_i64 s[30:31], s[52:53]
	v_mov_b32_e32 v44, v0
                                        ; implicit-def: $vgpr0
                                        ; implicit-def: $vgpr1
.LBB34_9:
	s_and_not1_saveexec_b32 s26, s36
	s_cbranch_execz .LBB34_11
; %bb.10:
	s_swap_pc_i64 s[30:31], s[54:55]
	v_mov_b32_e32 v44, v0
.LBB34_11:
	s_or_b32 exec_lo, exec_lo, s26
	s_wait_loadcnt 0xe
	v_bfe_u32 v0, v46, 16, 1
	v_cmp_u_f32_e32 vcc_lo, v46, v46
	v_cmp_u_f32_e64 s36, v47, v47
                                        ; implicit-def: $vgpr45
	s_delay_alu instid0(VALU_DEP_3) | instskip(NEXT) | instid1(VALU_DEP_1)
	v_add3_u32 v0, v46, v0, 0x7fff
	v_and_b32_e32 v1, 0xffff0000, v0
	v_lshlrev_b32_e32 v0, 16, v112
	s_delay_alu instid0(VALU_DEP_2) | instskip(SKIP_1) | instid1(SALU_CYCLE_1)
	v_cndmask_b32_e64 v1, v1, 0x7fc00000, vcc_lo
	s_and_saveexec_b32 s0, s56
	s_xor_b32 s57, exec_lo, s0
	s_cbranch_execz .LBB34_13
; %bb.12:
	s_swap_pc_i64 s[30:31], s[52:53]
	v_mov_b32_e32 v45, v0
                                        ; implicit-def: $vgpr0
                                        ; implicit-def: $vgpr1
.LBB34_13:
	s_and_not1_saveexec_b32 s26, s57
	s_cbranch_execz .LBB34_15
; %bb.14:
	s_swap_pc_i64 s[30:31], s[54:55]
	v_mov_b32_e32 v45, v0
.LBB34_15:
	s_or_b32 exec_lo, exec_lo, s26
	v_bfe_u32 v0, v47, 16, 1
                                        ; implicit-def: $vgpr46
	s_delay_alu instid0(VALU_DEP_1) | instskip(NEXT) | instid1(VALU_DEP_1)
	v_add3_u32 v0, v47, v0, 0x7fff
	v_and_b32_e32 v1, 0xffff0000, v0
	v_and_b32_e32 v0, 0xffff0000, v112
	s_delay_alu instid0(VALU_DEP_2) | instskip(SKIP_1) | instid1(SALU_CYCLE_1)
	v_cndmask_b32_e64 v1, v1, 0x7fc00000, s36
	s_and_saveexec_b32 s0, s56
	s_xor_b32 s36, exec_lo, s0
	s_cbranch_execz .LBB34_17
; %bb.16:
	s_swap_pc_i64 s[30:31], s[52:53]
	v_mov_b32_e32 v46, v0
                                        ; implicit-def: $vgpr0
                                        ; implicit-def: $vgpr1
.LBB34_17:
	s_and_not1_saveexec_b32 s26, s36
	s_cbranch_execz .LBB34_19
; %bb.18:
	s_swap_pc_i64 s[30:31], s[54:55]
	v_mov_b32_e32 v46, v0
.LBB34_19:
	s_or_b32 exec_lo, exec_lo, s26
	s_wait_loadcnt 0xd
	v_bfe_u32 v0, v56, 16, 1
	v_cmp_u_f32_e32 vcc_lo, v56, v56
	v_cmp_u_f32_e64 s36, v57, v57
                                        ; implicit-def: $vgpr47
	s_delay_alu instid0(VALU_DEP_3) | instskip(NEXT) | instid1(VALU_DEP_1)
	v_add3_u32 v0, v56, v0, 0x7fff
	v_and_b32_e32 v1, 0xffff0000, v0
	v_lshlrev_b32_e32 v0, 16, v111
	s_delay_alu instid0(VALU_DEP_2) | instskip(SKIP_1) | instid1(SALU_CYCLE_1)
	v_cndmask_b32_e64 v1, v1, 0x7fc00000, vcc_lo
	s_and_saveexec_b32 s0, s56
	s_xor_b32 s57, exec_lo, s0
	s_cbranch_execz .LBB34_21
; %bb.20:
	s_swap_pc_i64 s[30:31], s[52:53]
	v_mov_b32_e32 v47, v0
                                        ; implicit-def: $vgpr0
                                        ; implicit-def: $vgpr1
.LBB34_21:
	s_and_not1_saveexec_b32 s26, s57
	s_cbranch_execz .LBB34_23
; %bb.22:
	s_swap_pc_i64 s[30:31], s[54:55]
	v_mov_b32_e32 v47, v0
.LBB34_23:
	s_or_b32 exec_lo, exec_lo, s26
	v_bfe_u32 v0, v57, 16, 1
                                        ; implicit-def: $vgpr56
	s_delay_alu instid0(VALU_DEP_1) | instskip(NEXT) | instid1(VALU_DEP_1)
	v_add3_u32 v0, v57, v0, 0x7fff
	v_and_b32_e32 v1, 0xffff0000, v0
	v_and_b32_e32 v0, 0xffff0000, v111
	s_delay_alu instid0(VALU_DEP_2) | instskip(SKIP_1) | instid1(SALU_CYCLE_1)
	v_cndmask_b32_e64 v1, v1, 0x7fc00000, s36
	s_and_saveexec_b32 s0, s56
	s_xor_b32 s36, exec_lo, s0
	s_cbranch_execz .LBB34_25
; %bb.24:
	s_swap_pc_i64 s[30:31], s[52:53]
	v_mov_b32_e32 v56, v0
                                        ; implicit-def: $vgpr0
                                        ; implicit-def: $vgpr1
.LBB34_25:
	s_and_not1_saveexec_b32 s26, s36
	s_cbranch_execz .LBB34_27
; %bb.26:
	s_swap_pc_i64 s[30:31], s[54:55]
	v_mov_b32_e32 v56, v0
.LBB34_27:
	s_or_b32 exec_lo, exec_lo, s26
	s_wait_loadcnt 0xc
	v_bfe_u32 v0, v58, 16, 1
	v_cmp_u_f32_e32 vcc_lo, v58, v58
	v_cmp_u_f32_e64 s36, v59, v59
                                        ; implicit-def: $vgpr57
	s_delay_alu instid0(VALU_DEP_3) | instskip(NEXT) | instid1(VALU_DEP_1)
	v_add3_u32 v0, v58, v0, 0x7fff
	v_and_b32_e32 v1, 0xffff0000, v0
	v_lshlrev_b32_e32 v0, 16, v110
	s_delay_alu instid0(VALU_DEP_2) | instskip(SKIP_1) | instid1(SALU_CYCLE_1)
	v_cndmask_b32_e64 v1, v1, 0x7fc00000, vcc_lo
	s_and_saveexec_b32 s0, s56
	s_xor_b32 s57, exec_lo, s0
	s_cbranch_execz .LBB34_29
; %bb.28:
	s_swap_pc_i64 s[30:31], s[52:53]
	v_mov_b32_e32 v57, v0
                                        ; implicit-def: $vgpr0
                                        ; implicit-def: $vgpr1
.LBB34_29:
	s_and_not1_saveexec_b32 s26, s57
	s_cbranch_execz .LBB34_31
; %bb.30:
	s_swap_pc_i64 s[30:31], s[54:55]
	v_mov_b32_e32 v57, v0
.LBB34_31:
	s_or_b32 exec_lo, exec_lo, s26
	v_bfe_u32 v0, v59, 16, 1
                                        ; implicit-def: $vgpr58
	s_delay_alu instid0(VALU_DEP_1) | instskip(NEXT) | instid1(VALU_DEP_1)
	v_add3_u32 v0, v59, v0, 0x7fff
	v_and_b32_e32 v1, 0xffff0000, v0
	v_and_b32_e32 v0, 0xffff0000, v110
	s_delay_alu instid0(VALU_DEP_2) | instskip(SKIP_1) | instid1(SALU_CYCLE_1)
	v_cndmask_b32_e64 v1, v1, 0x7fc00000, s36
	s_and_saveexec_b32 s0, s56
	s_xor_b32 s36, exec_lo, s0
	s_cbranch_execz .LBB34_33
; %bb.32:
	s_swap_pc_i64 s[30:31], s[52:53]
	v_mov_b32_e32 v58, v0
                                        ; implicit-def: $vgpr0
                                        ; implicit-def: $vgpr1
.LBB34_33:
	s_and_not1_saveexec_b32 s26, s36
	s_cbranch_execz .LBB34_35
; %bb.34:
	s_swap_pc_i64 s[30:31], s[54:55]
	v_mov_b32_e32 v58, v0
.LBB34_35:
	s_or_b32 exec_lo, exec_lo, s26
	s_wait_loadcnt 0xb
	v_bfe_u32 v0, v60, 16, 1
	v_cmp_u_f32_e32 vcc_lo, v60, v60
	v_cmp_u_f32_e64 s36, v61, v61
                                        ; implicit-def: $vgpr59
	s_delay_alu instid0(VALU_DEP_3) | instskip(NEXT) | instid1(VALU_DEP_1)
	v_add3_u32 v0, v60, v0, 0x7fff
	v_and_b32_e32 v1, 0xffff0000, v0
	v_lshlrev_b32_e32 v0, 16, v109
	s_delay_alu instid0(VALU_DEP_2) | instskip(SKIP_1) | instid1(SALU_CYCLE_1)
	v_cndmask_b32_e64 v1, v1, 0x7fc00000, vcc_lo
	s_and_saveexec_b32 s0, s56
	s_xor_b32 s57, exec_lo, s0
	s_cbranch_execz .LBB34_37
; %bb.36:
	s_swap_pc_i64 s[30:31], s[52:53]
	v_mov_b32_e32 v59, v0
                                        ; implicit-def: $vgpr0
                                        ; implicit-def: $vgpr1
.LBB34_37:
	s_and_not1_saveexec_b32 s26, s57
	s_cbranch_execz .LBB34_39
; %bb.38:
	s_swap_pc_i64 s[30:31], s[54:55]
	v_mov_b32_e32 v59, v0
.LBB34_39:
	s_or_b32 exec_lo, exec_lo, s26
	v_bfe_u32 v0, v61, 16, 1
                                        ; implicit-def: $vgpr60
	s_delay_alu instid0(VALU_DEP_1) | instskip(NEXT) | instid1(VALU_DEP_1)
	v_add3_u32 v0, v61, v0, 0x7fff
	v_and_b32_e32 v1, 0xffff0000, v0
	v_and_b32_e32 v0, 0xffff0000, v109
	s_delay_alu instid0(VALU_DEP_2) | instskip(SKIP_1) | instid1(SALU_CYCLE_1)
	v_cndmask_b32_e64 v1, v1, 0x7fc00000, s36
	s_and_saveexec_b32 s0, s56
	s_xor_b32 s36, exec_lo, s0
	s_cbranch_execz .LBB34_41
; %bb.40:
	s_swap_pc_i64 s[30:31], s[52:53]
	v_mov_b32_e32 v60, v0
                                        ; implicit-def: $vgpr0
                                        ; implicit-def: $vgpr1
.LBB34_41:
	s_and_not1_saveexec_b32 s26, s36
	s_cbranch_execz .LBB34_43
; %bb.42:
	s_swap_pc_i64 s[30:31], s[54:55]
	v_mov_b32_e32 v60, v0
.LBB34_43:
	s_or_b32 exec_lo, exec_lo, s26
	s_wait_loadcnt 0xa
	v_bfe_u32 v0, v62, 16, 1
	v_cmp_u_f32_e32 vcc_lo, v62, v62
	v_cmp_u_f32_e64 s36, v63, v63
                                        ; implicit-def: $vgpr61
	s_delay_alu instid0(VALU_DEP_3) | instskip(NEXT) | instid1(VALU_DEP_1)
	v_add3_u32 v0, v62, v0, 0x7fff
	v_and_b32_e32 v1, 0xffff0000, v0
	v_lshlrev_b32_e32 v0, 16, v108
	s_delay_alu instid0(VALU_DEP_2) | instskip(SKIP_1) | instid1(SALU_CYCLE_1)
	v_cndmask_b32_e64 v1, v1, 0x7fc00000, vcc_lo
	s_and_saveexec_b32 s0, s56
	s_xor_b32 s57, exec_lo, s0
	s_cbranch_execz .LBB34_45
; %bb.44:
	s_swap_pc_i64 s[30:31], s[52:53]
	v_mov_b32_e32 v61, v0
                                        ; implicit-def: $vgpr0
                                        ; implicit-def: $vgpr1
.LBB34_45:
	s_and_not1_saveexec_b32 s26, s57
	s_cbranch_execz .LBB34_47
; %bb.46:
	s_swap_pc_i64 s[30:31], s[54:55]
	v_mov_b32_e32 v61, v0
.LBB34_47:
	s_or_b32 exec_lo, exec_lo, s26
	v_bfe_u32 v0, v63, 16, 1
                                        ; implicit-def: $vgpr62
	s_delay_alu instid0(VALU_DEP_1) | instskip(NEXT) | instid1(VALU_DEP_1)
	v_add3_u32 v0, v63, v0, 0x7fff
	v_and_b32_e32 v1, 0xffff0000, v0
	v_and_b32_e32 v0, 0xffff0000, v108
	s_delay_alu instid0(VALU_DEP_2) | instskip(SKIP_1) | instid1(SALU_CYCLE_1)
	v_cndmask_b32_e64 v1, v1, 0x7fc00000, s36
	s_and_saveexec_b32 s0, s56
	s_xor_b32 s36, exec_lo, s0
	s_cbranch_execz .LBB34_49
; %bb.48:
	s_swap_pc_i64 s[30:31], s[52:53]
	v_mov_b32_e32 v62, v0
                                        ; implicit-def: $vgpr0
                                        ; implicit-def: $vgpr1
.LBB34_49:
	s_and_not1_saveexec_b32 s26, s36
	s_cbranch_execz .LBB34_51
; %bb.50:
	s_swap_pc_i64 s[30:31], s[54:55]
	v_mov_b32_e32 v62, v0
.LBB34_51:
	s_or_b32 exec_lo, exec_lo, s26
	s_wait_loadcnt 0x9
	v_bfe_u32 v0, v72, 16, 1
	v_cmp_u_f32_e32 vcc_lo, v72, v72
	v_cmp_u_f32_e64 s36, v73, v73
                                        ; implicit-def: $vgpr63
	s_delay_alu instid0(VALU_DEP_3) | instskip(NEXT) | instid1(VALU_DEP_1)
	v_add3_u32 v0, v72, v0, 0x7fff
	v_and_b32_e32 v1, 0xffff0000, v0
	v_lshlrev_b32_e32 v0, 16, v107
	s_delay_alu instid0(VALU_DEP_2) | instskip(SKIP_1) | instid1(SALU_CYCLE_1)
	v_cndmask_b32_e64 v1, v1, 0x7fc00000, vcc_lo
	s_and_saveexec_b32 s0, s56
	s_xor_b32 s57, exec_lo, s0
	s_cbranch_execz .LBB34_53
; %bb.52:
	s_swap_pc_i64 s[30:31], s[52:53]
	v_mov_b32_e32 v63, v0
                                        ; implicit-def: $vgpr0
                                        ; implicit-def: $vgpr1
.LBB34_53:
	s_and_not1_saveexec_b32 s26, s57
	s_cbranch_execz .LBB34_55
; %bb.54:
	s_swap_pc_i64 s[30:31], s[54:55]
	v_mov_b32_e32 v63, v0
.LBB34_55:
	s_or_b32 exec_lo, exec_lo, s26
	v_bfe_u32 v0, v73, 16, 1
                                        ; implicit-def: $vgpr72
	s_delay_alu instid0(VALU_DEP_1) | instskip(NEXT) | instid1(VALU_DEP_1)
	v_add3_u32 v0, v73, v0, 0x7fff
	v_and_b32_e32 v1, 0xffff0000, v0
	v_and_b32_e32 v0, 0xffff0000, v107
	s_delay_alu instid0(VALU_DEP_2) | instskip(SKIP_1) | instid1(SALU_CYCLE_1)
	v_cndmask_b32_e64 v1, v1, 0x7fc00000, s36
	s_and_saveexec_b32 s0, s56
	s_xor_b32 s36, exec_lo, s0
	s_cbranch_execz .LBB34_57
; %bb.56:
	s_swap_pc_i64 s[30:31], s[52:53]
	v_mov_b32_e32 v72, v0
                                        ; implicit-def: $vgpr0
                                        ; implicit-def: $vgpr1
.LBB34_57:
	s_and_not1_saveexec_b32 s26, s36
	s_cbranch_execz .LBB34_59
; %bb.58:
	s_swap_pc_i64 s[30:31], s[54:55]
	v_mov_b32_e32 v72, v0
.LBB34_59:
	s_or_b32 exec_lo, exec_lo, s26
	s_wait_loadcnt 0x8
	v_bfe_u32 v0, v74, 16, 1
	v_cmp_u_f32_e32 vcc_lo, v74, v74
	v_cmp_u_f32_e64 s36, v75, v75
                                        ; implicit-def: $vgpr73
	s_delay_alu instid0(VALU_DEP_3) | instskip(NEXT) | instid1(VALU_DEP_1)
	v_add3_u32 v0, v74, v0, 0x7fff
	v_and_b32_e32 v1, 0xffff0000, v0
	v_lshlrev_b32_e32 v0, 16, v106
	s_delay_alu instid0(VALU_DEP_2) | instskip(SKIP_1) | instid1(SALU_CYCLE_1)
	v_cndmask_b32_e64 v1, v1, 0x7fc00000, vcc_lo
	s_and_saveexec_b32 s0, s56
	s_xor_b32 s57, exec_lo, s0
	s_cbranch_execz .LBB34_61
; %bb.60:
	s_swap_pc_i64 s[30:31], s[52:53]
	v_mov_b32_e32 v73, v0
                                        ; implicit-def: $vgpr0
                                        ; implicit-def: $vgpr1
.LBB34_61:
	s_and_not1_saveexec_b32 s26, s57
	s_cbranch_execz .LBB34_63
; %bb.62:
	s_swap_pc_i64 s[30:31], s[54:55]
	v_mov_b32_e32 v73, v0
.LBB34_63:
	s_or_b32 exec_lo, exec_lo, s26
	v_bfe_u32 v0, v75, 16, 1
                                        ; implicit-def: $vgpr74
	s_delay_alu instid0(VALU_DEP_1) | instskip(NEXT) | instid1(VALU_DEP_1)
	v_add3_u32 v0, v75, v0, 0x7fff
	v_and_b32_e32 v1, 0xffff0000, v0
	v_and_b32_e32 v0, 0xffff0000, v106
	s_delay_alu instid0(VALU_DEP_2) | instskip(SKIP_1) | instid1(SALU_CYCLE_1)
	v_cndmask_b32_e64 v1, v1, 0x7fc00000, s36
	s_and_saveexec_b32 s0, s56
	s_xor_b32 s36, exec_lo, s0
	s_cbranch_execz .LBB34_65
; %bb.64:
	s_swap_pc_i64 s[30:31], s[52:53]
	v_mov_b32_e32 v74, v0
                                        ; implicit-def: $vgpr0
                                        ; implicit-def: $vgpr1
.LBB34_65:
	s_and_not1_saveexec_b32 s26, s36
	s_cbranch_execz .LBB34_67
; %bb.66:
	s_swap_pc_i64 s[30:31], s[54:55]
	v_mov_b32_e32 v74, v0
.LBB34_67:
	s_or_b32 exec_lo, exec_lo, s26
	s_wait_loadcnt 0x7
	v_bfe_u32 v0, v76, 16, 1
	v_cmp_u_f32_e32 vcc_lo, v76, v76
	v_cmp_u_f32_e64 s36, v77, v77
                                        ; implicit-def: $vgpr75
	s_delay_alu instid0(VALU_DEP_3) | instskip(NEXT) | instid1(VALU_DEP_1)
	v_add3_u32 v0, v76, v0, 0x7fff
	v_and_b32_e32 v1, 0xffff0000, v0
	v_lshlrev_b32_e32 v0, 16, v105
	s_delay_alu instid0(VALU_DEP_2) | instskip(SKIP_1) | instid1(SALU_CYCLE_1)
	v_cndmask_b32_e64 v1, v1, 0x7fc00000, vcc_lo
	s_and_saveexec_b32 s0, s56
	s_xor_b32 s57, exec_lo, s0
	s_cbranch_execz .LBB34_69
; %bb.68:
	s_swap_pc_i64 s[30:31], s[52:53]
	v_mov_b32_e32 v75, v0
                                        ; implicit-def: $vgpr0
                                        ; implicit-def: $vgpr1
.LBB34_69:
	s_and_not1_saveexec_b32 s26, s57
	s_cbranch_execz .LBB34_71
; %bb.70:
	s_swap_pc_i64 s[30:31], s[54:55]
	v_mov_b32_e32 v75, v0
.LBB34_71:
	s_or_b32 exec_lo, exec_lo, s26
	v_bfe_u32 v0, v77, 16, 1
                                        ; implicit-def: $vgpr76
	s_delay_alu instid0(VALU_DEP_1) | instskip(NEXT) | instid1(VALU_DEP_1)
	v_add3_u32 v0, v77, v0, 0x7fff
	v_and_b32_e32 v1, 0xffff0000, v0
	v_and_b32_e32 v0, 0xffff0000, v105
	s_delay_alu instid0(VALU_DEP_2) | instskip(SKIP_1) | instid1(SALU_CYCLE_1)
	v_cndmask_b32_e64 v1, v1, 0x7fc00000, s36
	s_and_saveexec_b32 s0, s56
	s_xor_b32 s36, exec_lo, s0
	s_cbranch_execz .LBB34_73
; %bb.72:
	s_swap_pc_i64 s[30:31], s[52:53]
	v_mov_b32_e32 v76, v0
                                        ; implicit-def: $vgpr0
                                        ; implicit-def: $vgpr1
.LBB34_73:
	s_and_not1_saveexec_b32 s26, s36
	s_cbranch_execz .LBB34_75
; %bb.74:
	s_swap_pc_i64 s[30:31], s[54:55]
	v_mov_b32_e32 v76, v0
.LBB34_75:
	s_or_b32 exec_lo, exec_lo, s26
	s_wait_loadcnt 0x6
	v_bfe_u32 v0, v78, 16, 1
	v_cmp_u_f32_e32 vcc_lo, v78, v78
	v_cmp_u_f32_e64 s36, v79, v79
                                        ; implicit-def: $vgpr77
	s_delay_alu instid0(VALU_DEP_3) | instskip(NEXT) | instid1(VALU_DEP_1)
	v_add3_u32 v0, v78, v0, 0x7fff
	v_and_b32_e32 v1, 0xffff0000, v0
	v_lshlrev_b32_e32 v0, 16, v104
	s_delay_alu instid0(VALU_DEP_2) | instskip(SKIP_1) | instid1(SALU_CYCLE_1)
	v_cndmask_b32_e64 v1, v1, 0x7fc00000, vcc_lo
	s_and_saveexec_b32 s0, s56
	s_xor_b32 s57, exec_lo, s0
	s_cbranch_execz .LBB34_77
; %bb.76:
	s_swap_pc_i64 s[30:31], s[52:53]
	v_mov_b32_e32 v77, v0
                                        ; implicit-def: $vgpr0
                                        ; implicit-def: $vgpr1
.LBB34_77:
	s_and_not1_saveexec_b32 s26, s57
	s_cbranch_execz .LBB34_79
; %bb.78:
	s_swap_pc_i64 s[30:31], s[54:55]
	v_mov_b32_e32 v77, v0
.LBB34_79:
	s_or_b32 exec_lo, exec_lo, s26
	v_bfe_u32 v0, v79, 16, 1
                                        ; implicit-def: $vgpr78
	s_delay_alu instid0(VALU_DEP_1) | instskip(NEXT) | instid1(VALU_DEP_1)
	v_add3_u32 v0, v79, v0, 0x7fff
	v_and_b32_e32 v1, 0xffff0000, v0
	v_and_b32_e32 v0, 0xffff0000, v104
	s_delay_alu instid0(VALU_DEP_2) | instskip(SKIP_1) | instid1(SALU_CYCLE_1)
	v_cndmask_b32_e64 v1, v1, 0x7fc00000, s36
	s_and_saveexec_b32 s0, s56
	s_xor_b32 s36, exec_lo, s0
	s_cbranch_execz .LBB34_81
; %bb.80:
	s_swap_pc_i64 s[30:31], s[52:53]
	v_mov_b32_e32 v78, v0
                                        ; implicit-def: $vgpr0
                                        ; implicit-def: $vgpr1
.LBB34_81:
	s_and_not1_saveexec_b32 s26, s36
	s_cbranch_execz .LBB34_83
; %bb.82:
	s_swap_pc_i64 s[30:31], s[54:55]
	v_mov_b32_e32 v78, v0
.LBB34_83:
	s_or_b32 exec_lo, exec_lo, s26
	s_wait_loadcnt 0x5
	v_bfe_u32 v0, v84, 16, 1
	v_cmp_u_f32_e32 vcc_lo, v84, v84
	v_cmp_u_f32_e64 s36, v85, v85
                                        ; implicit-def: $vgpr79
	s_delay_alu instid0(VALU_DEP_3) | instskip(NEXT) | instid1(VALU_DEP_1)
	v_add3_u32 v0, v84, v0, 0x7fff
	v_and_b32_e32 v1, 0xffff0000, v0
	v_lshlrev_b32_e32 v0, 16, v103
	s_delay_alu instid0(VALU_DEP_2) | instskip(SKIP_1) | instid1(SALU_CYCLE_1)
	v_cndmask_b32_e64 v1, v1, 0x7fc00000, vcc_lo
	s_and_saveexec_b32 s0, s56
	s_xor_b32 s57, exec_lo, s0
	s_cbranch_execz .LBB34_85
; %bb.84:
	s_swap_pc_i64 s[30:31], s[52:53]
	v_mov_b32_e32 v79, v0
                                        ; implicit-def: $vgpr0
                                        ; implicit-def: $vgpr1
.LBB34_85:
	s_and_not1_saveexec_b32 s26, s57
	s_cbranch_execz .LBB34_87
; %bb.86:
	s_swap_pc_i64 s[30:31], s[54:55]
	v_mov_b32_e32 v79, v0
.LBB34_87:
	s_or_b32 exec_lo, exec_lo, s26
	v_bfe_u32 v0, v85, 16, 1
                                        ; implicit-def: $vgpr84
	s_delay_alu instid0(VALU_DEP_1) | instskip(NEXT) | instid1(VALU_DEP_1)
	v_add3_u32 v0, v85, v0, 0x7fff
	v_and_b32_e32 v1, 0xffff0000, v0
	v_and_b32_e32 v0, 0xffff0000, v103
	s_delay_alu instid0(VALU_DEP_2) | instskip(SKIP_1) | instid1(SALU_CYCLE_1)
	v_cndmask_b32_e64 v1, v1, 0x7fc00000, s36
	s_and_saveexec_b32 s0, s56
	s_xor_b32 s36, exec_lo, s0
	s_cbranch_execz .LBB34_89
; %bb.88:
	s_swap_pc_i64 s[30:31], s[52:53]
	v_mov_b32_e32 v84, v0
                                        ; implicit-def: $vgpr0
                                        ; implicit-def: $vgpr1
.LBB34_89:
	s_and_not1_saveexec_b32 s26, s36
	s_cbranch_execz .LBB34_91
; %bb.90:
	s_swap_pc_i64 s[30:31], s[54:55]
	v_mov_b32_e32 v84, v0
.LBB34_91:
	s_or_b32 exec_lo, exec_lo, s26
	s_wait_loadcnt 0x4
	v_bfe_u32 v0, v86, 16, 1
	v_cmp_u_f32_e32 vcc_lo, v86, v86
	v_cmp_u_f32_e64 s36, v87, v87
                                        ; implicit-def: $vgpr85
	s_delay_alu instid0(VALU_DEP_3) | instskip(NEXT) | instid1(VALU_DEP_1)
	v_add3_u32 v0, v86, v0, 0x7fff
	v_and_b32_e32 v1, 0xffff0000, v0
	v_lshlrev_b32_e32 v0, 16, v102
	s_delay_alu instid0(VALU_DEP_2) | instskip(SKIP_1) | instid1(SALU_CYCLE_1)
	v_cndmask_b32_e64 v1, v1, 0x7fc00000, vcc_lo
	s_and_saveexec_b32 s0, s56
	s_xor_b32 s57, exec_lo, s0
	s_cbranch_execz .LBB34_93
; %bb.92:
	s_swap_pc_i64 s[30:31], s[52:53]
	v_mov_b32_e32 v85, v0
                                        ; implicit-def: $vgpr0
                                        ; implicit-def: $vgpr1
.LBB34_93:
	s_and_not1_saveexec_b32 s26, s57
	s_cbranch_execz .LBB34_95
; %bb.94:
	s_swap_pc_i64 s[30:31], s[54:55]
	v_mov_b32_e32 v85, v0
.LBB34_95:
	s_or_b32 exec_lo, exec_lo, s26
	v_bfe_u32 v0, v87, 16, 1
                                        ; implicit-def: $vgpr86
	s_delay_alu instid0(VALU_DEP_1) | instskip(NEXT) | instid1(VALU_DEP_1)
	v_add3_u32 v0, v87, v0, 0x7fff
	v_and_b32_e32 v1, 0xffff0000, v0
	v_and_b32_e32 v0, 0xffff0000, v102
	s_delay_alu instid0(VALU_DEP_2) | instskip(SKIP_1) | instid1(SALU_CYCLE_1)
	v_cndmask_b32_e64 v1, v1, 0x7fc00000, s36
	s_and_saveexec_b32 s0, s56
	s_xor_b32 s36, exec_lo, s0
	s_cbranch_execz .LBB34_97
; %bb.96:
	s_swap_pc_i64 s[30:31], s[52:53]
	v_mov_b32_e32 v86, v0
                                        ; implicit-def: $vgpr0
                                        ; implicit-def: $vgpr1
.LBB34_97:
	s_and_not1_saveexec_b32 s26, s36
	s_cbranch_execz .LBB34_99
; %bb.98:
	s_swap_pc_i64 s[30:31], s[54:55]
	v_mov_b32_e32 v86, v0
.LBB34_99:
	s_or_b32 exec_lo, exec_lo, s26
	s_wait_loadcnt 0x3
	v_bfe_u32 v0, v88, 16, 1
	v_cmp_u_f32_e32 vcc_lo, v88, v88
	v_cmp_u_f32_e64 s36, v89, v89
                                        ; implicit-def: $vgpr87
	s_delay_alu instid0(VALU_DEP_3) | instskip(NEXT) | instid1(VALU_DEP_1)
	v_add3_u32 v0, v88, v0, 0x7fff
	v_and_b32_e32 v1, 0xffff0000, v0
	v_lshlrev_b32_e32 v0, 16, v101
	s_delay_alu instid0(VALU_DEP_2) | instskip(SKIP_1) | instid1(SALU_CYCLE_1)
	v_cndmask_b32_e64 v1, v1, 0x7fc00000, vcc_lo
	s_and_saveexec_b32 s0, s56
	s_xor_b32 s57, exec_lo, s0
	s_cbranch_execz .LBB34_101
; %bb.100:
	s_swap_pc_i64 s[30:31], s[52:53]
	v_mov_b32_e32 v87, v0
                                        ; implicit-def: $vgpr0
                                        ; implicit-def: $vgpr1
.LBB34_101:
	s_and_not1_saveexec_b32 s26, s57
	s_cbranch_execz .LBB34_103
; %bb.102:
	s_swap_pc_i64 s[30:31], s[54:55]
	v_mov_b32_e32 v87, v0
.LBB34_103:
	s_or_b32 exec_lo, exec_lo, s26
	v_bfe_u32 v0, v89, 16, 1
                                        ; implicit-def: $vgpr88
	s_delay_alu instid0(VALU_DEP_1) | instskip(NEXT) | instid1(VALU_DEP_1)
	v_add3_u32 v0, v89, v0, 0x7fff
	v_and_b32_e32 v1, 0xffff0000, v0
	v_and_b32_e32 v0, 0xffff0000, v101
	s_delay_alu instid0(VALU_DEP_2) | instskip(SKIP_1) | instid1(SALU_CYCLE_1)
	v_cndmask_b32_e64 v1, v1, 0x7fc00000, s36
	s_and_saveexec_b32 s0, s56
	s_xor_b32 s36, exec_lo, s0
	s_cbranch_execz .LBB34_105
; %bb.104:
	s_swap_pc_i64 s[30:31], s[52:53]
	v_mov_b32_e32 v88, v0
                                        ; implicit-def: $vgpr0
                                        ; implicit-def: $vgpr1
.LBB34_105:
	s_and_not1_saveexec_b32 s26, s36
	s_cbranch_execz .LBB34_107
; %bb.106:
	s_swap_pc_i64 s[30:31], s[54:55]
	v_mov_b32_e32 v88, v0
.LBB34_107:
	s_or_b32 exec_lo, exec_lo, s26
	s_wait_loadcnt 0x2
	v_bfe_u32 v0, v90, 16, 1
	v_cmp_u_f32_e32 vcc_lo, v90, v90
	v_cmp_u_f32_e64 s36, v91, v91
                                        ; implicit-def: $vgpr89
	s_delay_alu instid0(VALU_DEP_3) | instskip(NEXT) | instid1(VALU_DEP_1)
	v_add3_u32 v0, v90, v0, 0x7fff
	v_and_b32_e32 v1, 0xffff0000, v0
	v_lshlrev_b32_e32 v0, 16, v100
	s_delay_alu instid0(VALU_DEP_2) | instskip(SKIP_1) | instid1(SALU_CYCLE_1)
	v_cndmask_b32_e64 v1, v1, 0x7fc00000, vcc_lo
	s_and_saveexec_b32 s0, s56
	s_xor_b32 s57, exec_lo, s0
	s_cbranch_execz .LBB34_109
; %bb.108:
	s_swap_pc_i64 s[30:31], s[52:53]
	v_mov_b32_e32 v89, v0
                                        ; implicit-def: $vgpr0
                                        ; implicit-def: $vgpr1
.LBB34_109:
	s_and_not1_saveexec_b32 s26, s57
	s_cbranch_execz .LBB34_111
; %bb.110:
	s_swap_pc_i64 s[30:31], s[54:55]
	v_mov_b32_e32 v89, v0
.LBB34_111:
	s_or_b32 exec_lo, exec_lo, s26
	v_bfe_u32 v0, v91, 16, 1
                                        ; implicit-def: $vgpr90
	s_delay_alu instid0(VALU_DEP_1) | instskip(NEXT) | instid1(VALU_DEP_1)
	v_add3_u32 v0, v91, v0, 0x7fff
	v_and_b32_e32 v1, 0xffff0000, v0
	v_and_b32_e32 v0, 0xffff0000, v100
	s_delay_alu instid0(VALU_DEP_2) | instskip(SKIP_1) | instid1(SALU_CYCLE_1)
	v_cndmask_b32_e64 v1, v1, 0x7fc00000, s36
	s_and_saveexec_b32 s0, s56
	s_xor_b32 s36, exec_lo, s0
	s_cbranch_execz .LBB34_113
; %bb.112:
	s_swap_pc_i64 s[30:31], s[52:53]
	v_mov_b32_e32 v90, v0
                                        ; implicit-def: $vgpr0
                                        ; implicit-def: $vgpr1
.LBB34_113:
	s_and_not1_saveexec_b32 s26, s36
	s_cbranch_execz .LBB34_115
; %bb.114:
	s_swap_pc_i64 s[30:31], s[54:55]
	v_mov_b32_e32 v90, v0
.LBB34_115:
	s_or_b32 exec_lo, exec_lo, s26
	s_wait_loadcnt 0x1
	v_bfe_u32 v0, v92, 16, 1
	v_cmp_u_f32_e32 vcc_lo, v92, v92
	v_cmp_u_f32_e64 s36, v93, v93
                                        ; implicit-def: $vgpr91
	s_delay_alu instid0(VALU_DEP_3) | instskip(NEXT) | instid1(VALU_DEP_1)
	v_add3_u32 v0, v92, v0, 0x7fff
	v_and_b32_e32 v1, 0xffff0000, v0
	v_lshlrev_b32_e32 v0, 16, v99
	s_delay_alu instid0(VALU_DEP_2) | instskip(SKIP_1) | instid1(SALU_CYCLE_1)
	v_cndmask_b32_e64 v1, v1, 0x7fc00000, vcc_lo
	s_and_saveexec_b32 s0, s56
	s_xor_b32 s57, exec_lo, s0
	s_cbranch_execz .LBB34_117
; %bb.116:
	s_swap_pc_i64 s[30:31], s[52:53]
	v_mov_b32_e32 v91, v0
                                        ; implicit-def: $vgpr0
                                        ; implicit-def: $vgpr1
.LBB34_117:
	s_and_not1_saveexec_b32 s26, s57
	s_cbranch_execz .LBB34_119
; %bb.118:
	s_swap_pc_i64 s[30:31], s[54:55]
	v_mov_b32_e32 v91, v0
.LBB34_119:
	s_or_b32 exec_lo, exec_lo, s26
	v_bfe_u32 v0, v93, 16, 1
                                        ; implicit-def: $vgpr92
	s_delay_alu instid0(VALU_DEP_1) | instskip(NEXT) | instid1(VALU_DEP_1)
	v_add3_u32 v0, v93, v0, 0x7fff
	v_and_b32_e32 v1, 0xffff0000, v0
	v_and_b32_e32 v0, 0xffff0000, v99
	s_delay_alu instid0(VALU_DEP_2) | instskip(SKIP_1) | instid1(SALU_CYCLE_1)
	v_cndmask_b32_e64 v1, v1, 0x7fc00000, s36
	s_and_saveexec_b32 s0, s56
	s_xor_b32 s36, exec_lo, s0
	s_cbranch_execz .LBB34_121
; %bb.120:
	s_swap_pc_i64 s[30:31], s[52:53]
	v_mov_b32_e32 v92, v0
                                        ; implicit-def: $vgpr0
                                        ; implicit-def: $vgpr1
.LBB34_121:
	s_and_not1_saveexec_b32 s26, s36
	s_cbranch_execz .LBB34_123
; %bb.122:
	s_swap_pc_i64 s[30:31], s[54:55]
	v_mov_b32_e32 v92, v0
.LBB34_123:
	s_or_b32 exec_lo, exec_lo, s26
	s_wait_loadcnt 0x0
	v_bfe_u32 v0, v94, 16, 1
	v_cmp_u_f32_e32 vcc_lo, v94, v94
	v_cmp_u_f32_e64 s36, v95, v95
                                        ; implicit-def: $vgpr93
	s_delay_alu instid0(VALU_DEP_3) | instskip(NEXT) | instid1(VALU_DEP_1)
	v_add3_u32 v0, v94, v0, 0x7fff
	v_and_b32_e32 v1, 0xffff0000, v0
	v_lshlrev_b32_e32 v0, 16, v98
	s_delay_alu instid0(VALU_DEP_2) | instskip(SKIP_1) | instid1(SALU_CYCLE_1)
	v_cndmask_b32_e64 v1, v1, 0x7fc00000, vcc_lo
	s_and_saveexec_b32 s0, s56
	s_xor_b32 s57, exec_lo, s0
	s_cbranch_execz .LBB34_125
; %bb.124:
	s_swap_pc_i64 s[30:31], s[52:53]
	v_mov_b32_e32 v93, v0
                                        ; implicit-def: $vgpr0
                                        ; implicit-def: $vgpr1
.LBB34_125:
	s_and_not1_saveexec_b32 s26, s57
	s_cbranch_execz .LBB34_127
; %bb.126:
	s_swap_pc_i64 s[30:31], s[54:55]
	v_mov_b32_e32 v93, v0
.LBB34_127:
	s_or_b32 exec_lo, exec_lo, s26
	v_bfe_u32 v0, v95, 16, 1
	v_and_b32_e32 v2, 0xffff0000, v98
	s_delay_alu instid0(VALU_DEP_2) | instskip(NEXT) | instid1(VALU_DEP_1)
	v_add3_u32 v0, v95, v0, 0x7fff
	v_and_b32_e32 v0, 0xffff0000, v0
	s_delay_alu instid0(VALU_DEP_1) | instskip(SKIP_1) | instid1(SALU_CYCLE_1)
	v_cndmask_b32_e64 v1, v0, 0x7fc00000, s36
                                        ; implicit-def: $vgpr0
	s_and_saveexec_b32 s0, s56
	s_xor_b32 s36, exec_lo, s0
	s_cbranch_execz .LBB34_129
; %bb.128:
	v_mov_b32_e32 v0, v2
	s_swap_pc_i64 s[30:31], s[52:53]
                                        ; implicit-def: $vgpr2
                                        ; implicit-def: $vgpr1
.LBB34_129:
	s_and_not1_saveexec_b32 s26, s36
	s_cbranch_execz .LBB34_131
; %bb.130:
	v_mov_b32_e32 v0, v2
	s_swap_pc_i64 s[30:31], s[54:55]
.LBB34_131:
	s_or_b32 exec_lo, exec_lo, s26
	v_bfe_u32 v1, v44, 16, 1
	v_bfe_u32 v2, v43, 16, 1
	;; [unrolled: 1-line block ×4, first 2 shown]
	v_cmp_o_f32_e32 vcc_lo, v44, v44
	v_add3_u32 v1, v44, v1, 0x7fff
	v_add3_u32 v2, v43, v2, 0x7fff
	;; [unrolled: 1-line block ×4, first 2 shown]
	v_bfe_u32 v5, v56, 16, 1
	v_and_b32_e32 v1, 0xffff0000, v1
	s_delay_alu instid0(VALU_DEP_4) | instskip(NEXT) | instid1(VALU_DEP_4)
	v_dual_lshrrev_b32 v2, 16, v2 :: v_dual_lshrrev_b32 v3, 16, v3
	v_and_b32_e32 v4, 0xffff0000, v4
	v_bfe_u32 v8, v59, 16, 1
	s_delay_alu instid0(VALU_DEP_4)
	v_cndmask_b32_e32 v1, 0x7fc00000, v1, vcc_lo
	v_cmp_o_f32_e32 vcc_lo, v43, v43
	v_add3_u32 v5, v56, v5, 0x7fff
	v_bfe_u32 v6, v47, 16, 1
	v_add3_u32 v8, v59, v8, 0x7fff
	v_bfe_u32 v11, v73, 16, 1
	v_cndmask_b32_e32 v2, 0x7fc0, v2, vcc_lo
	v_cmp_o_f32_e32 vcc_lo, v46, v46
	v_bfe_u32 v7, v60, 16, 1
	v_bfe_u32 v9, v62, 16, 1
	v_add3_u32 v11, v73, v11, 0x7fff
	v_bfe_u32 v10, v61, 16, 1
	v_cndmask_b32_e32 v4, 0x7fc00000, v4, vcc_lo
	v_cmp_o_f32_e32 vcc_lo, v45, v45
	v_add3_u32 v7, v60, v7, 0x7fff
	v_lshrrev_b32_e32 v8, 16, v8
	v_add3_u32 v9, v62, v9, 0x7fff
	v_bfe_u32 v13, v76, 16, 1
	v_cndmask_b32_e32 v3, 0x7fc0, v3, vcc_lo
	v_cmp_o_f32_e32 vcc_lo, v56, v56
	v_and_b32_e32 v7, 0xffff0000, v7
	v_bfe_u32 v12, v75, 16, 1
	s_add_nc_u64 s[0:1], s[48:49], s[46:47]
	v_or_b32_e32 v3, v4, v3
	v_and_b32_e32 v4, 0xffff0000, v5
	v_bfe_u32 v5, v57, 16, 1
	v_lshrrev_b32_e32 v11, 16, v11
	s_delay_alu instid0(VALU_DEP_3) | instskip(NEXT) | instid1(VALU_DEP_3)
	v_cndmask_b32_e32 v4, 0x7fc00000, v4, vcc_lo
	v_add3_u32 v5, v57, v5, 0x7fff
	v_cmp_o_f32_e32 vcc_lo, v47, v47
	s_delay_alu instid0(VALU_DEP_2) | instskip(SKIP_2) | instid1(VALU_DEP_2)
	v_dual_lshrrev_b32 v5, 16, v5 :: v_dual_bitop2_b32 v1, v1, v2 bitop3:0x54
	v_add3_u32 v2, v47, v6, 0x7fff
	v_bfe_u32 v6, v58, 16, 1
	v_lshrrev_b32_e32 v2, 16, v2
	s_delay_alu instid0(VALU_DEP_2) | instskip(NEXT) | instid1(VALU_DEP_2)
	v_add3_u32 v6, v58, v6, 0x7fff
	v_cndmask_b32_e32 v2, 0x7fc0, v2, vcc_lo
	s_delay_alu instid0(VALU_DEP_2) | instskip(SKIP_1) | instid1(VALU_DEP_3)
	v_and_b32_e32 v6, 0xffff0000, v6
	v_cmp_o_f32_e32 vcc_lo, v58, v58
	v_or_b32_e32 v2, v4, v2
	s_delay_alu instid0(VALU_DEP_3) | instskip(SKIP_3) | instid1(VALU_DEP_2)
	v_cndmask_b32_e32 v6, 0x7fc00000, v6, vcc_lo
	v_cmp_o_f32_e32 vcc_lo, v57, v57
	v_cndmask_b32_e32 v5, 0x7fc0, v5, vcc_lo
	v_cmp_o_f32_e32 vcc_lo, v60, v60
	v_or_b32_e32 v4, v6, v5
	v_cndmask_b32_e32 v7, 0x7fc00000, v7, vcc_lo
	v_cmp_o_f32_e32 vcc_lo, v59, v59
	v_add3_u32 v5, v61, v10, 0x7fff
	v_bfe_u32 v10, v74, 16, 1
	v_cndmask_b32_e32 v8, 0x7fc0, v8, vcc_lo
	v_cmp_o_f32_e32 vcc_lo, v62, v62
	s_delay_alu instid0(VALU_DEP_4) | instskip(NEXT) | instid1(VALU_DEP_4)
	v_lshrrev_b32_e32 v5, 16, v5
	v_add3_u32 v10, v74, v10, 0x7fff
	s_delay_alu instid0(VALU_DEP_4) | instskip(SKIP_4) | instid1(VALU_DEP_4)
	v_or_b32_e32 v6, v7, v8
	v_and_b32_e32 v7, 0xffff0000, v9
	v_bfe_u32 v9, v72, 16, 1
	v_bfe_u32 v8, v63, 16, 1
	v_and_b32_e32 v10, 0xffff0000, v10
	v_cndmask_b32_e32 v7, 0x7fc00000, v7, vcc_lo
	s_delay_alu instid0(VALU_DEP_4) | instskip(SKIP_2) | instid1(VALU_DEP_3)
	v_add3_u32 v9, v72, v9, 0x7fff
	v_cmp_o_f32_e32 vcc_lo, v61, v61
	v_add3_u32 v8, v63, v8, 0x7fff
	v_and_b32_e32 v9, 0xffff0000, v9
	v_cndmask_b32_e32 v5, 0x7fc0, v5, vcc_lo
	v_cmp_o_f32_e32 vcc_lo, v72, v72
	s_delay_alu instid0(VALU_DEP_2) | instskip(NEXT) | instid1(VALU_DEP_4)
	v_dual_lshrrev_b32 v8, 16, v8 :: v_dual_bitop2_b32 v5, v7, v5 bitop3:0x54
	v_cndmask_b32_e32 v9, 0x7fc00000, v9, vcc_lo
	v_cmp_o_f32_e32 vcc_lo, v63, v63
	s_delay_alu instid0(VALU_DEP_3) | instskip(SKIP_1) | instid1(VALU_DEP_2)
	v_cndmask_b32_e32 v8, 0x7fc0, v8, vcc_lo
	v_cmp_o_f32_e32 vcc_lo, v74, v74
	v_or_b32_e32 v7, v9, v8
	v_cndmask_b32_e32 v10, 0x7fc00000, v10, vcc_lo
	v_cmp_o_f32_e32 vcc_lo, v73, v73
	v_add3_u32 v9, v75, v12, 0x7fff
	v_bfe_u32 v12, v0, 16, 1
	v_cndmask_b32_e32 v11, 0x7fc0, v11, vcc_lo
	v_cmp_o_f32_e32 vcc_lo, v76, v76
	s_delay_alu instid0(VALU_DEP_3) | instskip(NEXT) | instid1(VALU_DEP_3)
	v_add3_u32 v12, v0, v12, 0x7fff
	v_or_b32_e32 v8, v10, v11
	v_add3_u32 v10, v76, v13, 0x7fff
	v_bfe_u32 v13, v93, 16, 1
	v_bfe_u32 v11, v92, 16, 1
	v_and_b32_e32 v12, 0xffff0000, v12
	s_delay_alu instid0(VALU_DEP_3) | instskip(NEXT) | instid1(VALU_DEP_3)
	v_add3_u32 v13, v93, v13, 0x7fff
	v_add3_u32 v11, v92, v11, 0x7fff
	s_delay_alu instid0(VALU_DEP_2)
	v_lshrrev_b32_e32 v13, 16, v13
	s_clause 0x7
	global_store_b32 v97, v1, s[0:1] scale_offset
	global_store_b32 v97, v3, s[0:1] offset:2048 scale_offset
	global_store_b32 v97, v2, s[0:1] offset:4096 scale_offset
	;; [unrolled: 1-line block ×7, first 2 shown]
	s_wait_xcnt 0x7
	v_and_b32_e32 v1, 0xffff0000, v10
	s_wait_xcnt 0x6
	v_bfe_u32 v3, v78, 16, 1
	s_wait_xcnt 0x5
	v_bfe_u32 v2, v77, 16, 1
	s_wait_xcnt 0x4
	v_lshrrev_b32_e32 v4, 16, v9
	s_wait_xcnt 0x2
	v_bfe_u32 v5, v84, 16, 1
	v_cndmask_b32_e32 v1, 0x7fc00000, v1, vcc_lo
	v_add3_u32 v3, v78, v3, 0x7fff
	v_cmp_o_f32_e32 vcc_lo, v75, v75
	v_add3_u32 v2, v77, v2, 0x7fff
	v_bfe_u32 v6, v79, 16, 1
	v_add3_u32 v5, v84, v5, 0x7fff
	v_and_b32_e32 v3, 0xffff0000, v3
	v_cndmask_b32_e32 v4, 0x7fc0, v4, vcc_lo
	v_cmp_o_f32_e32 vcc_lo, v78, v78
	v_lshrrev_b32_e32 v2, 16, v2
	v_add3_u32 v6, v79, v6, 0x7fff
	v_and_b32_e32 v5, 0xffff0000, v5
	s_wait_xcnt 0x1
	v_bfe_u32 v7, v86, 16, 1
	v_cndmask_b32_e32 v3, 0x7fc00000, v3, vcc_lo
	v_cmp_o_f32_e32 vcc_lo, v77, v77
	v_lshrrev_b32_e32 v6, 16, v6
	s_wait_xcnt 0x0
	v_bfe_u32 v8, v85, 16, 1
	v_add3_u32 v7, v86, v7, 0x7fff
	v_or_b32_e32 v1, v1, v4
	v_cndmask_b32_e32 v2, 0x7fc0, v2, vcc_lo
	v_cmp_o_f32_e32 vcc_lo, v84, v84
	v_bfe_u32 v9, v89, 16, 1
	v_bfe_u32 v10, v91, 16, 1
	v_and_b32_e32 v11, 0xffff0000, v11
	v_or_b32_e32 v2, v3, v2
	v_cndmask_b32_e32 v5, 0x7fc00000, v5, vcc_lo
	v_cmp_o_f32_e32 vcc_lo, v79, v79
	v_add3_u32 v3, v85, v8, 0x7fff
	v_bfe_u32 v8, v90, 16, 1
	v_add3_u32 v9, v89, v9, 0x7fff
	v_add3_u32 v10, v91, v10, 0x7fff
	v_cndmask_b32_e32 v6, 0x7fc0, v6, vcc_lo
	v_cmp_o_f32_e32 vcc_lo, v86, v86
	v_lshrrev_b32_e32 v3, 16, v3
	v_add3_u32 v8, v90, v8, 0x7fff
	s_delay_alu instid0(VALU_DEP_4) | instskip(SKIP_4) | instid1(VALU_DEP_4)
	v_dual_lshrrev_b32 v9, 16, v9 :: v_dual_bitop2_b32 v4, v5, v6 bitop3:0x54
	v_and_b32_e32 v5, 0xffff0000, v7
	v_bfe_u32 v6, v88, 16, 1
	v_bfe_u32 v7, v87, 16, 1
	v_and_b32_e32 v8, 0xffff0000, v8
	v_dual_cndmask_b32 v5, 0x7fc00000, v5 :: v_dual_lshrrev_b32 v10, 16, v10
	s_delay_alu instid0(VALU_DEP_4) | instskip(SKIP_2) | instid1(VALU_DEP_3)
	v_add3_u32 v6, v88, v6, 0x7fff
	v_cmp_o_f32_e32 vcc_lo, v85, v85
	v_add3_u32 v7, v87, v7, 0x7fff
	v_and_b32_e32 v6, 0xffff0000, v6
	v_cndmask_b32_e32 v3, 0x7fc0, v3, vcc_lo
	v_cmp_o_f32_e32 vcc_lo, v88, v88
	s_delay_alu instid0(VALU_DEP_4) | instskip(NEXT) | instid1(VALU_DEP_3)
	v_lshrrev_b32_e32 v7, 16, v7
	v_or_b32_e32 v3, v5, v3
	v_cndmask_b32_e32 v6, 0x7fc00000, v6, vcc_lo
	v_cmp_o_f32_e32 vcc_lo, v87, v87
	s_delay_alu instid0(VALU_DEP_4) | instskip(SKIP_1) | instid1(VALU_DEP_2)
	v_cndmask_b32_e32 v7, 0x7fc0, v7, vcc_lo
	v_cmp_o_f32_e32 vcc_lo, v90, v90
	v_or_b32_e32 v5, v6, v7
	v_cndmask_b32_e32 v8, 0x7fc00000, v8, vcc_lo
	v_cmp_o_f32_e32 vcc_lo, v89, v89
	v_cndmask_b32_e32 v9, 0x7fc0, v9, vcc_lo
	v_cmp_o_f32_e32 vcc_lo, v92, v92
	s_delay_alu instid0(VALU_DEP_2) | instskip(SKIP_4) | instid1(VALU_DEP_2)
	v_or_b32_e32 v6, v8, v9
	v_cndmask_b32_e32 v11, 0x7fc00000, v11, vcc_lo
	v_cmp_o_f32_e32 vcc_lo, v91, v91
	v_cndmask_b32_e32 v10, 0x7fc0, v10, vcc_lo
	v_cmp_o_f32_e32 vcc_lo, v0, v0
	v_or_b32_e32 v7, v11, v10
	v_cndmask_b32_e32 v0, 0x7fc00000, v12, vcc_lo
	v_cmp_o_f32_e32 vcc_lo, v93, v93
	v_cndmask_b32_e32 v12, 0x7fc0, v13, vcc_lo
	s_delay_alu instid0(VALU_DEP_1)
	v_or_b32_e32 v0, v0, v12
	s_clause 0x7
	global_store_b32 v97, v1, s[0:1] offset:16384 scale_offset
	global_store_b32 v97, v2, s[0:1] offset:18432 scale_offset
	;; [unrolled: 1-line block ×8, first 2 shown]
	s_branch .LBB34_2
.LBB34_132:
	s_clause 0x1
	s_load_b32 s6, s[34:35], 0x24
	s_load_b128 s[0:3], s[34:35], 0x28
	ds_load_u8 v0, v96
	v_dual_mov_b32 v31, v42 :: v_dual_mov_b32 v1, s48
	v_dual_mov_b32 v2, s49 :: v_dual_mov_b32 v3, s50
	;; [unrolled: 1-line block ×4, first 2 shown]
	s_add_nc_u64 s[8:9], s[34:35], 56
	s_get_pc_i64 s[4:5]
	s_add_nc_u64 s[4:5], s[4:5], _ZN2at6native25elementwise_kernel_helperILb1EN12_GLOBAL__N_110CalcIgammaIfEENS0_6memory8policies11unroll_baseILi512ESt5arrayIPcLm3EE23TrivialOffsetCalculatorILi2EjESB_ILi1EjENS5_12LoadWithCastILi2EEENS5_13StoreWithCastILi1EEELi32ELi1EEEEEvT0_T1_@rel64+4
	s_wait_kmcnt 0x0
	s_bfe_u32 s7, s6, 0x80008
	v_dual_mov_b32 v8, s6 :: v_dual_mov_b32 v10, s0
	v_dual_mov_b32 v11, s1 :: v_dual_mov_b32 v12, s2
	;; [unrolled: 1-line block ×3, first 2 shown]
	s_swap_pc_i64 s[30:31], s[4:5]
	s_endpgm
	.section	.rodata,"a",@progbits
	.p2align	6, 0x0
	.amdhsa_kernel _ZN2at6native39vectorized_templated_elementwise_kernelILi2EN12_GLOBAL__N_110CalcIgammaIfEESt5arrayIPcLm3EE23TrivialOffsetCalculatorILi2EjES8_ILi1EjENS0_6memory12LoadWithCastILi2EEENSB_13StoreWithCastILi1EEEN3c108BFloat16EJSH_fEEEviT0_T1_T2_T3_T4_T5_
		.amdhsa_group_segment_fixed_size 1024
		.amdhsa_private_segment_fixed_size 448
		.amdhsa_kernarg_size 312
		.amdhsa_user_sgpr_count 4
		.amdhsa_user_sgpr_dispatch_ptr 1
		.amdhsa_user_sgpr_queue_ptr 0
		.amdhsa_user_sgpr_kernarg_segment_ptr 1
		.amdhsa_user_sgpr_dispatch_id 0
		.amdhsa_user_sgpr_kernarg_preload_length 0
		.amdhsa_user_sgpr_kernarg_preload_offset 0
		.amdhsa_user_sgpr_private_segment_size 0
		.amdhsa_wavefront_size32 1
		.amdhsa_uses_dynamic_stack 0
		.amdhsa_enable_private_segment 1
		.amdhsa_system_sgpr_workgroup_id_x 1
		.amdhsa_system_sgpr_workgroup_id_y 0
		.amdhsa_system_sgpr_workgroup_id_z 0
		.amdhsa_system_sgpr_workgroup_info 0
		.amdhsa_system_vgpr_workitem_id 2
		.amdhsa_next_free_vgpr 214
		.amdhsa_next_free_sgpr 96
		.amdhsa_named_barrier_count 0
		.amdhsa_reserve_vcc 1
		.amdhsa_float_round_mode_32 0
		.amdhsa_float_round_mode_16_64 0
		.amdhsa_float_denorm_mode_32 3
		.amdhsa_float_denorm_mode_16_64 3
		.amdhsa_fp16_overflow 0
		.amdhsa_memory_ordered 1
		.amdhsa_forward_progress 1
		.amdhsa_inst_pref_size 45
		.amdhsa_round_robin_scheduling 0
		.amdhsa_exception_fp_ieee_invalid_op 0
		.amdhsa_exception_fp_denorm_src 0
		.amdhsa_exception_fp_ieee_div_zero 0
		.amdhsa_exception_fp_ieee_overflow 0
		.amdhsa_exception_fp_ieee_underflow 0
		.amdhsa_exception_fp_ieee_inexact 0
		.amdhsa_exception_int_div_zero 0
	.end_amdhsa_kernel
	.section	.text._ZN2at6native39vectorized_templated_elementwise_kernelILi2EN12_GLOBAL__N_110CalcIgammaIfEESt5arrayIPcLm3EE23TrivialOffsetCalculatorILi2EjES8_ILi1EjENS0_6memory12LoadWithCastILi2EEENSB_13StoreWithCastILi1EEEN3c108BFloat16EJSH_fEEEviT0_T1_T2_T3_T4_T5_,"axG",@progbits,_ZN2at6native39vectorized_templated_elementwise_kernelILi2EN12_GLOBAL__N_110CalcIgammaIfEESt5arrayIPcLm3EE23TrivialOffsetCalculatorILi2EjES8_ILi1EjENS0_6memory12LoadWithCastILi2EEENSB_13StoreWithCastILi1EEEN3c108BFloat16EJSH_fEEEviT0_T1_T2_T3_T4_T5_,comdat
.Lfunc_end34:
	.size	_ZN2at6native39vectorized_templated_elementwise_kernelILi2EN12_GLOBAL__N_110CalcIgammaIfEESt5arrayIPcLm3EE23TrivialOffsetCalculatorILi2EjES8_ILi1EjENS0_6memory12LoadWithCastILi2EEENSB_13StoreWithCastILi1EEEN3c108BFloat16EJSH_fEEEviT0_T1_T2_T3_T4_T5_, .Lfunc_end34-_ZN2at6native39vectorized_templated_elementwise_kernelILi2EN12_GLOBAL__N_110CalcIgammaIfEESt5arrayIPcLm3EE23TrivialOffsetCalculatorILi2EjES8_ILi1EjENS0_6memory12LoadWithCastILi2EEENSB_13StoreWithCastILi1EEEN3c108BFloat16EJSH_fEEEviT0_T1_T2_T3_T4_T5_
                                        ; -- End function
	.set _ZN2at6native39vectorized_templated_elementwise_kernelILi2EN12_GLOBAL__N_110CalcIgammaIfEESt5arrayIPcLm3EE23TrivialOffsetCalculatorILi2EjES8_ILi1EjENS0_6memory12LoadWithCastILi2EEENSB_13StoreWithCastILi1EEEN3c108BFloat16EJSH_fEEEviT0_T1_T2_T3_T4_T5_.num_vgpr, max(114, .L_ZN12_GLOBAL__N_111calc_igammaIfEET_S1_S1_.num_vgpr, .L_ZN12_GLOBAL__N_112calc_igammacIfEET_S1_S1_.num_vgpr, .L_ZN2at6native25elementwise_kernel_helperILb1EN12_GLOBAL__N_110CalcIgammaIfEENS0_6memory8policies11unroll_baseILi512ESt5arrayIPcLm3EE23TrivialOffsetCalculatorILi2EjESB_ILi1EjENS5_12LoadWithCastILi2EEENS5_13StoreWithCastILi1EEELi32ELi1EEEEEvT0_T1_.num_vgpr)
	.set _ZN2at6native39vectorized_templated_elementwise_kernelILi2EN12_GLOBAL__N_110CalcIgammaIfEESt5arrayIPcLm3EE23TrivialOffsetCalculatorILi2EjES8_ILi1EjENS0_6memory12LoadWithCastILi2EEENSB_13StoreWithCastILi1EEEN3c108BFloat16EJSH_fEEEviT0_T1_T2_T3_T4_T5_.num_agpr, max(0, .L_ZN12_GLOBAL__N_111calc_igammaIfEET_S1_S1_.num_agpr, .L_ZN12_GLOBAL__N_112calc_igammacIfEET_S1_S1_.num_agpr, .L_ZN2at6native25elementwise_kernel_helperILb1EN12_GLOBAL__N_110CalcIgammaIfEENS0_6memory8policies11unroll_baseILi512ESt5arrayIPcLm3EE23TrivialOffsetCalculatorILi2EjESB_ILi1EjENS5_12LoadWithCastILi2EEENS5_13StoreWithCastILi1EEELi32ELi1EEEEEvT0_T1_.num_agpr)
	.set _ZN2at6native39vectorized_templated_elementwise_kernelILi2EN12_GLOBAL__N_110CalcIgammaIfEESt5arrayIPcLm3EE23TrivialOffsetCalculatorILi2EjES8_ILi1EjENS0_6memory12LoadWithCastILi2EEENSB_13StoreWithCastILi1EEEN3c108BFloat16EJSH_fEEEviT0_T1_T2_T3_T4_T5_.numbered_sgpr, max(58, .L_ZN12_GLOBAL__N_111calc_igammaIfEET_S1_S1_.numbered_sgpr, .L_ZN12_GLOBAL__N_112calc_igammacIfEET_S1_S1_.numbered_sgpr, .L_ZN2at6native25elementwise_kernel_helperILb1EN12_GLOBAL__N_110CalcIgammaIfEENS0_6memory8policies11unroll_baseILi512ESt5arrayIPcLm3EE23TrivialOffsetCalculatorILi2EjESB_ILi1EjENS5_12LoadWithCastILi2EEENS5_13StoreWithCastILi1EEELi32ELi1EEEEEvT0_T1_.numbered_sgpr)
	.set _ZN2at6native39vectorized_templated_elementwise_kernelILi2EN12_GLOBAL__N_110CalcIgammaIfEESt5arrayIPcLm3EE23TrivialOffsetCalculatorILi2EjES8_ILi1EjENS0_6memory12LoadWithCastILi2EEENSB_13StoreWithCastILi1EEEN3c108BFloat16EJSH_fEEEviT0_T1_T2_T3_T4_T5_.num_named_barrier, max(0, .L_ZN12_GLOBAL__N_111calc_igammaIfEET_S1_S1_.num_named_barrier, .L_ZN12_GLOBAL__N_112calc_igammacIfEET_S1_S1_.num_named_barrier, .L_ZN2at6native25elementwise_kernel_helperILb1EN12_GLOBAL__N_110CalcIgammaIfEENS0_6memory8policies11unroll_baseILi512ESt5arrayIPcLm3EE23TrivialOffsetCalculatorILi2EjESB_ILi1EjENS5_12LoadWithCastILi2EEENS5_13StoreWithCastILi1EEELi32ELi1EEEEEvT0_T1_.num_named_barrier)
	.set _ZN2at6native39vectorized_templated_elementwise_kernelILi2EN12_GLOBAL__N_110CalcIgammaIfEESt5arrayIPcLm3EE23TrivialOffsetCalculatorILi2EjES8_ILi1EjENS0_6memory12LoadWithCastILi2EEENSB_13StoreWithCastILi1EEEN3c108BFloat16EJSH_fEEEviT0_T1_T2_T3_T4_T5_.private_seg_size, 0+max(.L_ZN12_GLOBAL__N_111calc_igammaIfEET_S1_S1_.private_seg_size, .L_ZN12_GLOBAL__N_112calc_igammacIfEET_S1_S1_.private_seg_size, .L_ZN2at6native25elementwise_kernel_helperILb1EN12_GLOBAL__N_110CalcIgammaIfEENS0_6memory8policies11unroll_baseILi512ESt5arrayIPcLm3EE23TrivialOffsetCalculatorILi2EjESB_ILi1EjENS5_12LoadWithCastILi2EEENS5_13StoreWithCastILi1EEELi32ELi1EEEEEvT0_T1_.private_seg_size)
	.set _ZN2at6native39vectorized_templated_elementwise_kernelILi2EN12_GLOBAL__N_110CalcIgammaIfEESt5arrayIPcLm3EE23TrivialOffsetCalculatorILi2EjES8_ILi1EjENS0_6memory12LoadWithCastILi2EEENSB_13StoreWithCastILi1EEEN3c108BFloat16EJSH_fEEEviT0_T1_T2_T3_T4_T5_.uses_vcc, or(1, .L_ZN12_GLOBAL__N_111calc_igammaIfEET_S1_S1_.uses_vcc, .L_ZN12_GLOBAL__N_112calc_igammacIfEET_S1_S1_.uses_vcc, .L_ZN2at6native25elementwise_kernel_helperILb1EN12_GLOBAL__N_110CalcIgammaIfEENS0_6memory8policies11unroll_baseILi512ESt5arrayIPcLm3EE23TrivialOffsetCalculatorILi2EjESB_ILi1EjENS5_12LoadWithCastILi2EEENS5_13StoreWithCastILi1EEELi32ELi1EEEEEvT0_T1_.uses_vcc)
	.set _ZN2at6native39vectorized_templated_elementwise_kernelILi2EN12_GLOBAL__N_110CalcIgammaIfEESt5arrayIPcLm3EE23TrivialOffsetCalculatorILi2EjES8_ILi1EjENS0_6memory12LoadWithCastILi2EEENSB_13StoreWithCastILi1EEEN3c108BFloat16EJSH_fEEEviT0_T1_T2_T3_T4_T5_.uses_flat_scratch, or(0, .L_ZN12_GLOBAL__N_111calc_igammaIfEET_S1_S1_.uses_flat_scratch, .L_ZN12_GLOBAL__N_112calc_igammacIfEET_S1_S1_.uses_flat_scratch, .L_ZN2at6native25elementwise_kernel_helperILb1EN12_GLOBAL__N_110CalcIgammaIfEENS0_6memory8policies11unroll_baseILi512ESt5arrayIPcLm3EE23TrivialOffsetCalculatorILi2EjESB_ILi1EjENS5_12LoadWithCastILi2EEENS5_13StoreWithCastILi1EEELi32ELi1EEEEEvT0_T1_.uses_flat_scratch)
	.set _ZN2at6native39vectorized_templated_elementwise_kernelILi2EN12_GLOBAL__N_110CalcIgammaIfEESt5arrayIPcLm3EE23TrivialOffsetCalculatorILi2EjES8_ILi1EjENS0_6memory12LoadWithCastILi2EEENSB_13StoreWithCastILi1EEEN3c108BFloat16EJSH_fEEEviT0_T1_T2_T3_T4_T5_.has_dyn_sized_stack, or(0, .L_ZN12_GLOBAL__N_111calc_igammaIfEET_S1_S1_.has_dyn_sized_stack, .L_ZN12_GLOBAL__N_112calc_igammacIfEET_S1_S1_.has_dyn_sized_stack, .L_ZN2at6native25elementwise_kernel_helperILb1EN12_GLOBAL__N_110CalcIgammaIfEENS0_6memory8policies11unroll_baseILi512ESt5arrayIPcLm3EE23TrivialOffsetCalculatorILi2EjESB_ILi1EjENS5_12LoadWithCastILi2EEENS5_13StoreWithCastILi1EEELi32ELi1EEEEEvT0_T1_.has_dyn_sized_stack)
	.set _ZN2at6native39vectorized_templated_elementwise_kernelILi2EN12_GLOBAL__N_110CalcIgammaIfEESt5arrayIPcLm3EE23TrivialOffsetCalculatorILi2EjES8_ILi1EjENS0_6memory12LoadWithCastILi2EEENSB_13StoreWithCastILi1EEEN3c108BFloat16EJSH_fEEEviT0_T1_T2_T3_T4_T5_.has_recursion, or(0, .L_ZN12_GLOBAL__N_111calc_igammaIfEET_S1_S1_.has_recursion, .L_ZN12_GLOBAL__N_112calc_igammacIfEET_S1_S1_.has_recursion, .L_ZN2at6native25elementwise_kernel_helperILb1EN12_GLOBAL__N_110CalcIgammaIfEENS0_6memory8policies11unroll_baseILi512ESt5arrayIPcLm3EE23TrivialOffsetCalculatorILi2EjESB_ILi1EjENS5_12LoadWithCastILi2EEENS5_13StoreWithCastILi1EEELi32ELi1EEEEEvT0_T1_.has_recursion)
	.set _ZN2at6native39vectorized_templated_elementwise_kernelILi2EN12_GLOBAL__N_110CalcIgammaIfEESt5arrayIPcLm3EE23TrivialOffsetCalculatorILi2EjES8_ILi1EjENS0_6memory12LoadWithCastILi2EEENSB_13StoreWithCastILi1EEEN3c108BFloat16EJSH_fEEEviT0_T1_T2_T3_T4_T5_.has_indirect_call, or(0, .L_ZN12_GLOBAL__N_111calc_igammaIfEET_S1_S1_.has_indirect_call, .L_ZN12_GLOBAL__N_112calc_igammacIfEET_S1_S1_.has_indirect_call, .L_ZN2at6native25elementwise_kernel_helperILb1EN12_GLOBAL__N_110CalcIgammaIfEENS0_6memory8policies11unroll_baseILi512ESt5arrayIPcLm3EE23TrivialOffsetCalculatorILi2EjESB_ILi1EjENS5_12LoadWithCastILi2EEENS5_13StoreWithCastILi1EEELi32ELi1EEEEEvT0_T1_.has_indirect_call)
	.section	.AMDGPU.csdata,"",@progbits
; Kernel info:
; codeLenInByte = 5732
; TotalNumSgprs: 98
; NumVgprs: 214
; ScratchSize: 448
; MemoryBound: 0
; FloatMode: 240
; IeeeMode: 1
; LDSByteSize: 1024 bytes/workgroup (compile time only)
; SGPRBlocks: 0
; VGPRBlocks: 13
; NumSGPRsForWavesPerEU: 98
; NumVGPRsForWavesPerEU: 214
; NamedBarCnt: 0
; Occupancy: 4
; WaveLimiterHint : 0
; COMPUTE_PGM_RSRC2:SCRATCH_EN: 1
; COMPUTE_PGM_RSRC2:USER_SGPR: 4
; COMPUTE_PGM_RSRC2:TRAP_HANDLER: 0
; COMPUTE_PGM_RSRC2:TGID_X_EN: 1
; COMPUTE_PGM_RSRC2:TGID_Y_EN: 0
; COMPUTE_PGM_RSRC2:TGID_Z_EN: 0
; COMPUTE_PGM_RSRC2:TIDIG_COMP_CNT: 2
	.section	.text._ZN2at6native39vectorized_templated_elementwise_kernelILi8EN12_GLOBAL__N_110CalcIgammaIfEESt5arrayIPcLm3EE23TrivialOffsetCalculatorILi2EjES8_ILi1EjENS0_6memory12LoadWithCastILi2EEENSB_13StoreWithCastILi1EEEfJfN3c104HalfEEEEviT0_T1_T2_T3_T4_T5_,"axG",@progbits,_ZN2at6native39vectorized_templated_elementwise_kernelILi8EN12_GLOBAL__N_110CalcIgammaIfEESt5arrayIPcLm3EE23TrivialOffsetCalculatorILi2EjES8_ILi1EjENS0_6memory12LoadWithCastILi2EEENSB_13StoreWithCastILi1EEEfJfN3c104HalfEEEEviT0_T1_T2_T3_T4_T5_,comdat
	.globl	_ZN2at6native39vectorized_templated_elementwise_kernelILi8EN12_GLOBAL__N_110CalcIgammaIfEESt5arrayIPcLm3EE23TrivialOffsetCalculatorILi2EjES8_ILi1EjENS0_6memory12LoadWithCastILi2EEENSB_13StoreWithCastILi1EEEfJfN3c104HalfEEEEviT0_T1_T2_T3_T4_T5_ ; -- Begin function _ZN2at6native39vectorized_templated_elementwise_kernelILi8EN12_GLOBAL__N_110CalcIgammaIfEESt5arrayIPcLm3EE23TrivialOffsetCalculatorILi2EjES8_ILi1EjENS0_6memory12LoadWithCastILi2EEENSB_13StoreWithCastILi1EEEfJfN3c104HalfEEEEviT0_T1_T2_T3_T4_T5_
	.p2align	8
	.type	_ZN2at6native39vectorized_templated_elementwise_kernelILi8EN12_GLOBAL__N_110CalcIgammaIfEESt5arrayIPcLm3EE23TrivialOffsetCalculatorILi2EjES8_ILi1EjENS0_6memory12LoadWithCastILi2EEENSB_13StoreWithCastILi1EEEfJfN3c104HalfEEEEviT0_T1_T2_T3_T4_T5_,@function
_ZN2at6native39vectorized_templated_elementwise_kernelILi8EN12_GLOBAL__N_110CalcIgammaIfEESt5arrayIPcLm3EE23TrivialOffsetCalculatorILi2EjES8_ILi1EjENS0_6memory12LoadWithCastILi2EEENSB_13StoreWithCastILi1EEEfJfN3c104HalfEEEEviT0_T1_T2_T3_T4_T5_: ; @_ZN2at6native39vectorized_templated_elementwise_kernelILi8EN12_GLOBAL__N_110CalcIgammaIfEESt5arrayIPcLm3EE23TrivialOffsetCalculatorILi2EjES8_ILi1EjENS0_6memory12LoadWithCastILi2EEENSB_13StoreWithCastILi1EEEfJfN3c104HalfEEEEviT0_T1_T2_T3_T4_T5_
; %bb.0:
	s_mov_b64 s[34:35], s[2:3]
	s_load_b64 s[2:3], s[0:1], 0x4
	s_clause 0x2
	s_load_b64 s[4:5], s[34:35], 0x0
	s_load_b64 s[46:47], s[34:35], 0x18
	s_load_b32 s6, s[34:35], 0x38
	s_wait_xcnt 0x0
	s_bfe_u32 s1, ttmp6, 0x4000c
	s_and_b32 s0, ttmp6, 15
	s_add_co_i32 s1, s1, 1
	s_load_b128 s[36:39], s[34:35], 0x8
	s_mul_i32 s1, ttmp9, s1
	s_getreg_b32 s7, hwreg(HW_REG_IB_STS2, 6, 4)
	s_add_co_i32 s0, s0, s1
	s_mov_b32 s32, 0
	s_wait_kmcnt 0x0
	s_lshr_b32 s2, s2, 16
	s_and_b32 s1, s5, 1
	v_mov_b32_e32 v46, v0
	s_mul_i32 s2, s2, s3
	s_cmp_eq_u32 s7, 0
	s_cselect_b32 s0, ttmp9, s0
	s_delay_alu instid0(VALU_DEP_1) | instskip(SKIP_3) | instid1(VALU_DEP_3)
	v_and_b32_e32 v0, 0x3ff, v46
	v_bfe_u32 v1, v46, 10, 10
	v_bfe_u32 v3, v46, 20, 10
	s_not_b32 s0, s0
	v_mul_lo_u32 v2, s2, v0
	s_delay_alu instid0(VALU_DEP_3) | instskip(SKIP_1) | instid1(SALU_CYCLE_1)
	v_mul_u32_u24_e32 v1, s3, v1
	s_add_co_i32 s6, s6, s0
	s_lshl_b32 s0, s6, 14
	s_delay_alu instid0(SALU_CYCLE_1) | instskip(NEXT) | instid1(SALU_CYCLE_1)
	s_sub_co_i32 s54, s4, s0
	s_cmp_gt_i32 s54, 0x3fff
	s_delay_alu instid0(VALU_DEP_2)
	v_add3_u32 v47, v2, v1, v3
	v_mov_b32_e32 v1, s1
	s_mov_b32 s1, -1
	ds_store_b8 v47, v1
	s_cbranch_scc1 .LBB35_3
; %bb.1:
	s_and_b32 vcc_lo, exec_lo, s1
	s_cbranch_vccnz .LBB35_132
.LBB35_2:
	s_endpgm
.LBB35_3:
	s_ashr_i32 s1, s0, 31
	v_lshlrev_b32_e32 v120, 5, v0
	s_lshl_b64 s[48:49], s[0:1], 2
	s_lshl_b64 s[0:1], s[0:1], 1
	s_add_nc_u64 s[2:3], s[38:39], s[48:49]
	s_add_nc_u64 s[0:1], s[46:47], s[0:1]
	s_clause 0x3
	global_load_b128 v[74:77], v120, s[2:3] offset:16
	global_load_b128 v[100:103], v120, s[2:3]
	global_load_b128 v[96:99], v120, s[2:3] offset:16400
	global_load_b128 v[88:91], v120, s[2:3] offset:16384
	global_load_b128 v[116:119], v0, s[0:1] scale_offset
	s_clause 0x3
	global_load_b128 v[84:87], v120, s[2:3] offset:32784
	global_load_b128 v[92:95], v120, s[2:3] offset:32768
	;; [unrolled: 1-line block ×4, first 2 shown]
	s_clause 0x2
	global_load_b128 v[112:115], v0, s[0:1] offset:8192 scale_offset
	global_load_b128 v[108:111], v0, s[0:1] offset:16384 scale_offset
	;; [unrolled: 1-line block ×3, first 2 shown]
	s_wait_xcnt 0x0
	ds_load_u8 v0, v47
	s_get_pc_i64 s[50:51]
	s_add_nc_u64 s[50:51], s[50:51], _ZN12_GLOBAL__N_111calc_igammaIfEET_S1_S1_@rel64+4
                                        ; implicit-def: $vgpr56
	s_wait_dscnt 0x0
	v_and_b32_e32 v0, 1, v0
	s_delay_alu instid0(VALU_DEP_1)
	v_cmp_eq_u32_e32 vcc_lo, 1, v0
	ds_store_b8 v47, v0 offset:512
	s_xor_b32 s55, vcc_lo, -1
	s_wait_loadcnt 0x7
	v_cvt_f32_f16_e32 v1, v116
	s_and_saveexec_b32 s0, s55
	s_delay_alu instid0(SALU_CYCLE_1)
	s_xor_b32 s52, exec_lo, s0
	s_cbranch_execz .LBB35_5
; %bb.4:
	v_mov_b32_e32 v0, v100
	s_swap_pc_i64 s[30:31], s[50:51]
	s_delay_alu instid0(VALU_DEP_1)
	v_mov_b32_e32 v56, v0
                                        ; implicit-def: $vgpr1
.LBB35_5:
	s_or_saveexec_b32 s26, s52
	s_get_pc_i64 s[52:53]
	s_add_nc_u64 s[52:53], s[52:53], _ZN12_GLOBAL__N_112calc_igammacIfEET_S1_S1_@rel64+4
	s_xor_b32 exec_lo, exec_lo, s26
	s_cbranch_execz .LBB35_7
; %bb.6:
	v_mov_b32_e32 v0, v100
	s_swap_pc_i64 s[30:31], s[52:53]
	s_delay_alu instid0(VALU_DEP_1)
	v_mov_b32_e32 v56, v0
.LBB35_7:
	s_or_b32 exec_lo, exec_lo, s26
	v_lshrrev_b32_e32 v0, 16, v116
	s_delay_alu instid0(VALU_DEP_1) | instskip(SKIP_1) | instid1(SALU_CYCLE_1)
	v_cvt_f32_f16_e32 v1, v0
	s_and_saveexec_b32 s0, s55
	s_xor_b32 s56, exec_lo, s0
	s_cbranch_execz .LBB35_9
; %bb.8:
	v_mov_b32_e32 v0, v101
	s_swap_pc_i64 s[30:31], s[50:51]
	s_delay_alu instid0(VALU_DEP_1)
	v_mov_b32_e32 v57, v0
                                        ; implicit-def: $vgpr1
.LBB35_9:
	s_and_not1_saveexec_b32 s26, s56
	s_cbranch_execz .LBB35_11
; %bb.10:
	v_mov_b32_e32 v0, v101
	s_swap_pc_i64 s[30:31], s[52:53]
	s_delay_alu instid0(VALU_DEP_1)
	v_mov_b32_e32 v57, v0
.LBB35_11:
	s_or_b32 exec_lo, exec_lo, s26
	v_cvt_f32_f16_e32 v1, v117
	s_and_saveexec_b32 s0, s55
	s_delay_alu instid0(SALU_CYCLE_1)
	s_xor_b32 s56, exec_lo, s0
	s_cbranch_execz .LBB35_13
; %bb.12:
	v_mov_b32_e32 v0, v102
	s_swap_pc_i64 s[30:31], s[50:51]
	s_delay_alu instid0(VALU_DEP_1)
	v_mov_b32_e32 v58, v0
                                        ; implicit-def: $vgpr1
.LBB35_13:
	s_and_not1_saveexec_b32 s26, s56
	s_cbranch_execz .LBB35_15
; %bb.14:
	v_mov_b32_e32 v0, v102
	s_swap_pc_i64 s[30:31], s[52:53]
	s_delay_alu instid0(VALU_DEP_1)
	v_mov_b32_e32 v58, v0
.LBB35_15:
	s_or_b32 exec_lo, exec_lo, s26
	v_lshrrev_b32_e32 v0, 16, v117
	s_delay_alu instid0(VALU_DEP_1) | instskip(SKIP_1) | instid1(SALU_CYCLE_1)
	v_cvt_f32_f16_e32 v1, v0
	s_and_saveexec_b32 s0, s55
	s_xor_b32 s56, exec_lo, s0
	s_cbranch_execz .LBB35_17
; %bb.16:
	v_mov_b32_e32 v0, v103
	s_swap_pc_i64 s[30:31], s[50:51]
	s_delay_alu instid0(VALU_DEP_1)
	v_mov_b32_e32 v59, v0
                                        ; implicit-def: $vgpr103
                                        ; implicit-def: $vgpr1
.LBB35_17:
	s_and_not1_saveexec_b32 s26, s56
	s_cbranch_execz .LBB35_19
; %bb.18:
	v_mov_b32_e32 v0, v103
	s_swap_pc_i64 s[30:31], s[52:53]
	s_delay_alu instid0(VALU_DEP_1)
	v_mov_b32_e32 v59, v0
.LBB35_19:
	s_or_b32 exec_lo, exec_lo, s26
	v_cvt_f32_f16_e32 v1, v118
                                        ; implicit-def: $vgpr72
	s_and_saveexec_b32 s0, s55
	s_delay_alu instid0(SALU_CYCLE_1)
	s_xor_b32 s56, exec_lo, s0
	s_cbranch_execz .LBB35_21
; %bb.20:
	v_mov_b32_e32 v0, v74
	s_swap_pc_i64 s[30:31], s[50:51]
	s_delay_alu instid0(VALU_DEP_1)
	v_mov_b32_e32 v72, v0
                                        ; implicit-def: $vgpr1
.LBB35_21:
	s_and_not1_saveexec_b32 s26, s56
	s_cbranch_execz .LBB35_23
; %bb.22:
	v_mov_b32_e32 v0, v74
	s_swap_pc_i64 s[30:31], s[52:53]
	s_delay_alu instid0(VALU_DEP_1)
	v_mov_b32_e32 v72, v0
.LBB35_23:
	s_or_b32 exec_lo, exec_lo, s26
	v_lshrrev_b32_e32 v0, 16, v118
	s_delay_alu instid0(VALU_DEP_1) | instskip(SKIP_1) | instid1(SALU_CYCLE_1)
	v_cvt_f32_f16_e32 v1, v0
	s_and_saveexec_b32 s0, s55
	s_xor_b32 s56, exec_lo, s0
	s_cbranch_execz .LBB35_25
; %bb.24:
	v_mov_b32_e32 v0, v75
	s_swap_pc_i64 s[30:31], s[50:51]
	s_delay_alu instid0(VALU_DEP_1)
	v_mov_b32_e32 v73, v0
                                        ; implicit-def: $vgpr1
.LBB35_25:
	s_and_not1_saveexec_b32 s26, s56
	s_cbranch_execz .LBB35_27
; %bb.26:
	v_mov_b32_e32 v0, v75
	s_swap_pc_i64 s[30:31], s[52:53]
	s_delay_alu instid0(VALU_DEP_1)
	v_mov_b32_e32 v73, v0
.LBB35_27:
	s_or_b32 exec_lo, exec_lo, s26
	v_cvt_f32_f16_e32 v1, v119
	s_and_saveexec_b32 s0, s55
	s_delay_alu instid0(SALU_CYCLE_1)
	s_xor_b32 s56, exec_lo, s0
	s_cbranch_execz .LBB35_29
; %bb.28:
	v_mov_b32_e32 v0, v76
	s_swap_pc_i64 s[30:31], s[50:51]
	s_delay_alu instid0(VALU_DEP_1)
	v_mov_b32_e32 v74, v0
                                        ; implicit-def: $vgpr1
.LBB35_29:
	s_and_not1_saveexec_b32 s26, s56
	s_cbranch_execz .LBB35_31
; %bb.30:
	v_mov_b32_e32 v0, v76
	s_swap_pc_i64 s[30:31], s[52:53]
	s_delay_alu instid0(VALU_DEP_1)
	v_mov_b32_e32 v74, v0
.LBB35_31:
	s_or_b32 exec_lo, exec_lo, s26
	v_lshrrev_b32_e32 v0, 16, v119
	s_delay_alu instid0(VALU_DEP_1) | instskip(SKIP_1) | instid1(SALU_CYCLE_1)
	v_cvt_f32_f16_e32 v1, v0
	s_and_saveexec_b32 s0, s55
	s_xor_b32 s56, exec_lo, s0
	s_cbranch_execz .LBB35_33
; %bb.32:
	v_mov_b32_e32 v0, v77
	s_swap_pc_i64 s[30:31], s[50:51]
	s_delay_alu instid0(VALU_DEP_1)
	v_mov_b32_e32 v75, v0
                                        ; implicit-def: $vgpr77
                                        ; implicit-def: $vgpr1
.LBB35_33:
	s_and_not1_saveexec_b32 s26, s56
	s_cbranch_execz .LBB35_35
; %bb.34:
	v_mov_b32_e32 v0, v77
	s_swap_pc_i64 s[30:31], s[52:53]
	s_delay_alu instid0(VALU_DEP_1)
	v_mov_b32_e32 v75, v0
.LBB35_35:
	s_or_b32 exec_lo, exec_lo, s26
	s_wait_loadcnt 0x2
	v_cvt_f32_f16_e32 v1, v112
                                        ; implicit-def: $vgpr76
	s_and_saveexec_b32 s0, s55
	s_delay_alu instid0(SALU_CYCLE_1)
	s_xor_b32 s56, exec_lo, s0
	s_cbranch_execz .LBB35_37
; %bb.36:
	v_mov_b32_e32 v0, v88
	s_swap_pc_i64 s[30:31], s[50:51]
	s_delay_alu instid0(VALU_DEP_1)
	v_mov_b32_e32 v76, v0
                                        ; implicit-def: $vgpr1
.LBB35_37:
	s_and_not1_saveexec_b32 s26, s56
	s_cbranch_execz .LBB35_39
; %bb.38:
	v_mov_b32_e32 v0, v88
	s_swap_pc_i64 s[30:31], s[52:53]
	s_delay_alu instid0(VALU_DEP_1)
	v_mov_b32_e32 v76, v0
.LBB35_39:
	s_or_b32 exec_lo, exec_lo, s26
	v_lshrrev_b32_e32 v0, 16, v112
	s_delay_alu instid0(VALU_DEP_1) | instskip(SKIP_1) | instid1(SALU_CYCLE_1)
	v_cvt_f32_f16_e32 v1, v0
	s_and_saveexec_b32 s0, s55
	s_xor_b32 s56, exec_lo, s0
	s_cbranch_execz .LBB35_41
; %bb.40:
	v_mov_b32_e32 v0, v89
	s_swap_pc_i64 s[30:31], s[50:51]
	s_delay_alu instid0(VALU_DEP_1)
	v_mov_b32_e32 v77, v0
                                        ; implicit-def: $vgpr1
.LBB35_41:
	s_and_not1_saveexec_b32 s26, s56
	s_cbranch_execz .LBB35_43
; %bb.42:
	v_mov_b32_e32 v0, v89
	s_swap_pc_i64 s[30:31], s[52:53]
	s_delay_alu instid0(VALU_DEP_1)
	v_mov_b32_e32 v77, v0
.LBB35_43:
	s_or_b32 exec_lo, exec_lo, s26
	v_cvt_f32_f16_e32 v1, v113
	s_and_saveexec_b32 s0, s55
	s_delay_alu instid0(SALU_CYCLE_1)
	s_xor_b32 s56, exec_lo, s0
	s_cbranch_execz .LBB35_45
; %bb.44:
	v_mov_b32_e32 v0, v90
	s_swap_pc_i64 s[30:31], s[50:51]
	s_delay_alu instid0(VALU_DEP_1)
	v_mov_b32_e32 v78, v0
                                        ; implicit-def: $vgpr1
.LBB35_45:
	s_and_not1_saveexec_b32 s26, s56
	s_cbranch_execz .LBB35_47
; %bb.46:
	v_mov_b32_e32 v0, v90
	s_swap_pc_i64 s[30:31], s[52:53]
	s_delay_alu instid0(VALU_DEP_1)
	v_mov_b32_e32 v78, v0
.LBB35_47:
	s_or_b32 exec_lo, exec_lo, s26
	v_lshrrev_b32_e32 v0, 16, v113
	s_delay_alu instid0(VALU_DEP_1) | instskip(SKIP_1) | instid1(SALU_CYCLE_1)
	v_cvt_f32_f16_e32 v1, v0
	s_and_saveexec_b32 s0, s55
	s_xor_b32 s56, exec_lo, s0
	s_cbranch_execz .LBB35_49
; %bb.48:
	v_mov_b32_e32 v0, v91
	s_swap_pc_i64 s[30:31], s[50:51]
	s_delay_alu instid0(VALU_DEP_1)
	v_mov_b32_e32 v79, v0
                                        ; implicit-def: $vgpr91
                                        ; implicit-def: $vgpr1
.LBB35_49:
	s_and_not1_saveexec_b32 s26, s56
	s_cbranch_execz .LBB35_51
; %bb.50:
	v_mov_b32_e32 v0, v91
	s_swap_pc_i64 s[30:31], s[52:53]
	s_delay_alu instid0(VALU_DEP_1)
	v_mov_b32_e32 v79, v0
.LBB35_51:
	s_or_b32 exec_lo, exec_lo, s26
	v_cvt_f32_f16_e32 v1, v114
                                        ; implicit-def: $vgpr88
	s_and_saveexec_b32 s0, s55
	s_delay_alu instid0(SALU_CYCLE_1)
	s_xor_b32 s56, exec_lo, s0
	s_cbranch_execz .LBB35_53
; %bb.52:
	v_mov_b32_e32 v0, v96
	s_swap_pc_i64 s[30:31], s[50:51]
	s_delay_alu instid0(VALU_DEP_1)
	v_mov_b32_e32 v88, v0
                                        ; implicit-def: $vgpr1
.LBB35_53:
	s_and_not1_saveexec_b32 s26, s56
	s_cbranch_execz .LBB35_55
; %bb.54:
	v_mov_b32_e32 v0, v96
	s_swap_pc_i64 s[30:31], s[52:53]
	s_delay_alu instid0(VALU_DEP_1)
	v_mov_b32_e32 v88, v0
.LBB35_55:
	s_or_b32 exec_lo, exec_lo, s26
	v_lshrrev_b32_e32 v0, 16, v114
	s_delay_alu instid0(VALU_DEP_1) | instskip(SKIP_1) | instid1(SALU_CYCLE_1)
	v_cvt_f32_f16_e32 v1, v0
	s_and_saveexec_b32 s0, s55
	s_xor_b32 s56, exec_lo, s0
	s_cbranch_execz .LBB35_57
; %bb.56:
	v_mov_b32_e32 v0, v97
	s_swap_pc_i64 s[30:31], s[50:51]
	s_delay_alu instid0(VALU_DEP_1)
	v_mov_b32_e32 v89, v0
                                        ; implicit-def: $vgpr1
.LBB35_57:
	s_and_not1_saveexec_b32 s26, s56
	s_cbranch_execz .LBB35_59
; %bb.58:
	v_mov_b32_e32 v0, v97
	s_swap_pc_i64 s[30:31], s[52:53]
	s_delay_alu instid0(VALU_DEP_1)
	v_mov_b32_e32 v89, v0
.LBB35_59:
	s_or_b32 exec_lo, exec_lo, s26
	v_cvt_f32_f16_e32 v1, v115
	s_and_saveexec_b32 s0, s55
	s_delay_alu instid0(SALU_CYCLE_1)
	s_xor_b32 s56, exec_lo, s0
	s_cbranch_execz .LBB35_61
; %bb.60:
	v_mov_b32_e32 v0, v98
	s_swap_pc_i64 s[30:31], s[50:51]
	s_delay_alu instid0(VALU_DEP_1)
	v_mov_b32_e32 v90, v0
                                        ; implicit-def: $vgpr1
.LBB35_61:
	s_and_not1_saveexec_b32 s26, s56
	s_cbranch_execz .LBB35_63
; %bb.62:
	v_mov_b32_e32 v0, v98
	s_swap_pc_i64 s[30:31], s[52:53]
	s_delay_alu instid0(VALU_DEP_1)
	v_mov_b32_e32 v90, v0
.LBB35_63:
	s_or_b32 exec_lo, exec_lo, s26
	v_lshrrev_b32_e32 v0, 16, v115
	s_delay_alu instid0(VALU_DEP_1) | instskip(SKIP_1) | instid1(SALU_CYCLE_1)
	v_cvt_f32_f16_e32 v1, v0
	s_and_saveexec_b32 s0, s55
	s_xor_b32 s56, exec_lo, s0
	s_cbranch_execz .LBB35_65
; %bb.64:
	v_mov_b32_e32 v0, v99
	s_swap_pc_i64 s[30:31], s[50:51]
	s_delay_alu instid0(VALU_DEP_1)
	v_mov_b32_e32 v91, v0
                                        ; implicit-def: $vgpr99
                                        ; implicit-def: $vgpr1
.LBB35_65:
	s_and_not1_saveexec_b32 s26, s56
	s_cbranch_execz .LBB35_67
; %bb.66:
	v_mov_b32_e32 v0, v99
	s_swap_pc_i64 s[30:31], s[52:53]
	s_delay_alu instid0(VALU_DEP_1)
	v_mov_b32_e32 v91, v0
.LBB35_67:
	s_or_b32 exec_lo, exec_lo, s26
	s_wait_loadcnt 0x1
	v_cvt_f32_f16_e32 v1, v108
                                        ; implicit-def: $vgpr96
	s_and_saveexec_b32 s0, s55
	s_delay_alu instid0(SALU_CYCLE_1)
	s_xor_b32 s56, exec_lo, s0
	s_cbranch_execz .LBB35_69
; %bb.68:
	v_mov_b32_e32 v0, v92
	s_swap_pc_i64 s[30:31], s[50:51]
	s_delay_alu instid0(VALU_DEP_1)
	v_mov_b32_e32 v96, v0
                                        ; implicit-def: $vgpr1
.LBB35_69:
	s_and_not1_saveexec_b32 s26, s56
	s_cbranch_execz .LBB35_71
; %bb.70:
	v_mov_b32_e32 v0, v92
	s_swap_pc_i64 s[30:31], s[52:53]
	s_delay_alu instid0(VALU_DEP_1)
	v_mov_b32_e32 v96, v0
.LBB35_71:
	s_or_b32 exec_lo, exec_lo, s26
	v_lshrrev_b32_e32 v0, 16, v108
	s_delay_alu instid0(VALU_DEP_1) | instskip(SKIP_1) | instid1(SALU_CYCLE_1)
	v_cvt_f32_f16_e32 v1, v0
	s_and_saveexec_b32 s0, s55
	s_xor_b32 s56, exec_lo, s0
	s_cbranch_execz .LBB35_73
; %bb.72:
	v_mov_b32_e32 v0, v93
	s_swap_pc_i64 s[30:31], s[50:51]
	s_delay_alu instid0(VALU_DEP_1)
	v_mov_b32_e32 v97, v0
                                        ; implicit-def: $vgpr1
.LBB35_73:
	s_and_not1_saveexec_b32 s26, s56
	s_cbranch_execz .LBB35_75
; %bb.74:
	v_mov_b32_e32 v0, v93
	s_swap_pc_i64 s[30:31], s[52:53]
	s_delay_alu instid0(VALU_DEP_1)
	v_mov_b32_e32 v97, v0
.LBB35_75:
	s_or_b32 exec_lo, exec_lo, s26
	v_cvt_f32_f16_e32 v1, v109
	s_and_saveexec_b32 s0, s55
	s_delay_alu instid0(SALU_CYCLE_1)
	s_xor_b32 s56, exec_lo, s0
	s_cbranch_execz .LBB35_77
; %bb.76:
	v_mov_b32_e32 v0, v94
	s_swap_pc_i64 s[30:31], s[50:51]
	s_delay_alu instid0(VALU_DEP_1)
	v_mov_b32_e32 v98, v0
                                        ; implicit-def: $vgpr1
.LBB35_77:
	s_and_not1_saveexec_b32 s26, s56
	s_cbranch_execz .LBB35_79
; %bb.78:
	v_mov_b32_e32 v0, v94
	s_swap_pc_i64 s[30:31], s[52:53]
	s_delay_alu instid0(VALU_DEP_1)
	v_mov_b32_e32 v98, v0
.LBB35_79:
	s_or_b32 exec_lo, exec_lo, s26
	v_lshrrev_b32_e32 v0, 16, v109
	s_delay_alu instid0(VALU_DEP_1) | instskip(SKIP_1) | instid1(SALU_CYCLE_1)
	v_cvt_f32_f16_e32 v1, v0
	s_and_saveexec_b32 s0, s55
	s_xor_b32 s56, exec_lo, s0
	s_cbranch_execz .LBB35_81
; %bb.80:
	v_mov_b32_e32 v0, v95
	s_swap_pc_i64 s[30:31], s[50:51]
	s_delay_alu instid0(VALU_DEP_1)
	v_mov_b32_e32 v99, v0
                                        ; implicit-def: $vgpr95
                                        ; implicit-def: $vgpr1
.LBB35_81:
	s_and_not1_saveexec_b32 s26, s56
	s_cbranch_execz .LBB35_83
; %bb.82:
	v_mov_b32_e32 v0, v95
	s_swap_pc_i64 s[30:31], s[52:53]
	s_delay_alu instid0(VALU_DEP_1)
	v_mov_b32_e32 v99, v0
.LBB35_83:
	s_or_b32 exec_lo, exec_lo, s26
	v_cvt_f32_f16_e32 v1, v110
                                        ; implicit-def: $vgpr92
	s_and_saveexec_b32 s0, s55
	s_delay_alu instid0(SALU_CYCLE_1)
	s_xor_b32 s56, exec_lo, s0
	s_cbranch_execz .LBB35_85
; %bb.84:
	v_mov_b32_e32 v0, v84
	s_swap_pc_i64 s[30:31], s[50:51]
	s_delay_alu instid0(VALU_DEP_1)
	v_mov_b32_e32 v92, v0
                                        ; implicit-def: $vgpr1
.LBB35_85:
	s_and_not1_saveexec_b32 s26, s56
	s_cbranch_execz .LBB35_87
; %bb.86:
	v_mov_b32_e32 v0, v84
	s_swap_pc_i64 s[30:31], s[52:53]
	s_delay_alu instid0(VALU_DEP_1)
	v_mov_b32_e32 v92, v0
.LBB35_87:
	s_or_b32 exec_lo, exec_lo, s26
	v_lshrrev_b32_e32 v0, 16, v110
	s_delay_alu instid0(VALU_DEP_1) | instskip(SKIP_1) | instid1(SALU_CYCLE_1)
	v_cvt_f32_f16_e32 v1, v0
	s_and_saveexec_b32 s0, s55
	s_xor_b32 s56, exec_lo, s0
	s_cbranch_execz .LBB35_89
; %bb.88:
	v_mov_b32_e32 v0, v85
	s_swap_pc_i64 s[30:31], s[50:51]
	s_delay_alu instid0(VALU_DEP_1)
	v_mov_b32_e32 v93, v0
                                        ; implicit-def: $vgpr1
.LBB35_89:
	s_and_not1_saveexec_b32 s26, s56
	s_cbranch_execz .LBB35_91
; %bb.90:
	v_mov_b32_e32 v0, v85
	s_swap_pc_i64 s[30:31], s[52:53]
	s_delay_alu instid0(VALU_DEP_1)
	v_mov_b32_e32 v93, v0
.LBB35_91:
	s_or_b32 exec_lo, exec_lo, s26
	v_cvt_f32_f16_e32 v1, v111
	s_and_saveexec_b32 s0, s55
	s_delay_alu instid0(SALU_CYCLE_1)
	s_xor_b32 s56, exec_lo, s0
	s_cbranch_execz .LBB35_93
; %bb.92:
	v_mov_b32_e32 v0, v86
	s_swap_pc_i64 s[30:31], s[50:51]
	s_delay_alu instid0(VALU_DEP_1)
	v_mov_b32_e32 v94, v0
                                        ; implicit-def: $vgpr1
.LBB35_93:
	s_and_not1_saveexec_b32 s26, s56
	s_cbranch_execz .LBB35_95
; %bb.94:
	v_mov_b32_e32 v0, v86
	s_swap_pc_i64 s[30:31], s[52:53]
	s_delay_alu instid0(VALU_DEP_1)
	v_mov_b32_e32 v94, v0
.LBB35_95:
	s_or_b32 exec_lo, exec_lo, s26
	v_lshrrev_b32_e32 v0, 16, v111
	s_delay_alu instid0(VALU_DEP_1) | instskip(SKIP_1) | instid1(SALU_CYCLE_1)
	v_cvt_f32_f16_e32 v1, v0
	s_and_saveexec_b32 s0, s55
	s_xor_b32 s56, exec_lo, s0
	s_cbranch_execz .LBB35_97
; %bb.96:
	v_mov_b32_e32 v0, v87
	s_swap_pc_i64 s[30:31], s[50:51]
	s_delay_alu instid0(VALU_DEP_1)
	v_mov_b32_e32 v95, v0
                                        ; implicit-def: $vgpr87
                                        ; implicit-def: $vgpr1
.LBB35_97:
	s_and_not1_saveexec_b32 s26, s56
	s_cbranch_execz .LBB35_99
; %bb.98:
	v_mov_b32_e32 v0, v87
	s_swap_pc_i64 s[30:31], s[52:53]
	s_delay_alu instid0(VALU_DEP_1)
	v_mov_b32_e32 v95, v0
.LBB35_99:
	s_or_b32 exec_lo, exec_lo, s26
	s_wait_loadcnt 0x0
	v_cvt_f32_f16_e32 v1, v104
                                        ; implicit-def: $vgpr84
	s_and_saveexec_b32 s0, s55
	s_delay_alu instid0(SALU_CYCLE_1)
	s_xor_b32 s56, exec_lo, s0
	s_cbranch_execz .LBB35_101
; %bb.100:
	v_mov_b32_e32 v0, v60
	s_swap_pc_i64 s[30:31], s[50:51]
	s_delay_alu instid0(VALU_DEP_1)
	v_mov_b32_e32 v84, v0
                                        ; implicit-def: $vgpr1
.LBB35_101:
	s_and_not1_saveexec_b32 s26, s56
	s_cbranch_execz .LBB35_103
; %bb.102:
	v_mov_b32_e32 v0, v60
	s_swap_pc_i64 s[30:31], s[52:53]
	s_delay_alu instid0(VALU_DEP_1)
	v_mov_b32_e32 v84, v0
.LBB35_103:
	s_or_b32 exec_lo, exec_lo, s26
	v_lshrrev_b32_e32 v0, 16, v104
	s_delay_alu instid0(VALU_DEP_1) | instskip(SKIP_1) | instid1(SALU_CYCLE_1)
	v_cvt_f32_f16_e32 v1, v0
	s_and_saveexec_b32 s0, s55
	s_xor_b32 s56, exec_lo, s0
	s_cbranch_execz .LBB35_105
; %bb.104:
	v_mov_b32_e32 v0, v61
	s_swap_pc_i64 s[30:31], s[50:51]
	s_delay_alu instid0(VALU_DEP_1)
	v_mov_b32_e32 v85, v0
                                        ; implicit-def: $vgpr1
.LBB35_105:
	s_and_not1_saveexec_b32 s26, s56
	s_cbranch_execz .LBB35_107
; %bb.106:
	v_mov_b32_e32 v0, v61
	s_swap_pc_i64 s[30:31], s[52:53]
	s_delay_alu instid0(VALU_DEP_1)
	v_mov_b32_e32 v85, v0
.LBB35_107:
	s_or_b32 exec_lo, exec_lo, s26
	v_cvt_f32_f16_e32 v1, v105
	s_and_saveexec_b32 s0, s55
	s_delay_alu instid0(SALU_CYCLE_1)
	s_xor_b32 s56, exec_lo, s0
	s_cbranch_execz .LBB35_109
; %bb.108:
	v_mov_b32_e32 v0, v62
	s_swap_pc_i64 s[30:31], s[50:51]
	s_delay_alu instid0(VALU_DEP_1)
	v_mov_b32_e32 v86, v0
                                        ; implicit-def: $vgpr1
.LBB35_109:
	s_and_not1_saveexec_b32 s26, s56
	s_cbranch_execz .LBB35_111
; %bb.110:
	v_mov_b32_e32 v0, v62
	s_swap_pc_i64 s[30:31], s[52:53]
	s_delay_alu instid0(VALU_DEP_1)
	v_mov_b32_e32 v86, v0
.LBB35_111:
	s_or_b32 exec_lo, exec_lo, s26
	v_lshrrev_b32_e32 v0, 16, v105
	s_delay_alu instid0(VALU_DEP_1) | instskip(SKIP_1) | instid1(SALU_CYCLE_1)
	v_cvt_f32_f16_e32 v1, v0
	s_and_saveexec_b32 s0, s55
	s_xor_b32 s56, exec_lo, s0
	s_cbranch_execz .LBB35_113
; %bb.112:
	v_mov_b32_e32 v0, v63
	s_swap_pc_i64 s[30:31], s[50:51]
	s_delay_alu instid0(VALU_DEP_1)
	v_mov_b32_e32 v87, v0
                                        ; implicit-def: $vgpr63
                                        ; implicit-def: $vgpr1
.LBB35_113:
	s_and_not1_saveexec_b32 s26, s56
	s_cbranch_execz .LBB35_115
; %bb.114:
	v_mov_b32_e32 v0, v63
	s_swap_pc_i64 s[30:31], s[52:53]
	s_delay_alu instid0(VALU_DEP_1)
	v_mov_b32_e32 v87, v0
.LBB35_115:
	s_or_b32 exec_lo, exec_lo, s26
	v_cvt_f32_f16_e32 v1, v106
                                        ; implicit-def: $vgpr60
	s_and_saveexec_b32 s0, s55
	s_delay_alu instid0(SALU_CYCLE_1)
	s_xor_b32 s56, exec_lo, s0
	s_cbranch_execz .LBB35_117
; %bb.116:
	v_mov_b32_e32 v0, v42
	s_swap_pc_i64 s[30:31], s[50:51]
	s_delay_alu instid0(VALU_DEP_1)
	v_mov_b32_e32 v60, v0
                                        ; implicit-def: $vgpr1
.LBB35_117:
	s_and_not1_saveexec_b32 s26, s56
	s_cbranch_execz .LBB35_119
; %bb.118:
	v_mov_b32_e32 v0, v42
	s_swap_pc_i64 s[30:31], s[52:53]
	s_delay_alu instid0(VALU_DEP_1)
	v_mov_b32_e32 v60, v0
.LBB35_119:
	s_or_b32 exec_lo, exec_lo, s26
	v_lshrrev_b32_e32 v0, 16, v106
	s_delay_alu instid0(VALU_DEP_1) | instskip(SKIP_1) | instid1(SALU_CYCLE_1)
	v_cvt_f32_f16_e32 v1, v0
	s_and_saveexec_b32 s0, s55
	s_xor_b32 s56, exec_lo, s0
	s_cbranch_execz .LBB35_121
; %bb.120:
	v_mov_b32_e32 v0, v43
	s_swap_pc_i64 s[30:31], s[50:51]
	s_delay_alu instid0(VALU_DEP_1)
	v_mov_b32_e32 v61, v0
                                        ; implicit-def: $vgpr1
.LBB35_121:
	s_and_not1_saveexec_b32 s26, s56
	s_cbranch_execz .LBB35_123
; %bb.122:
	v_mov_b32_e32 v0, v43
	s_swap_pc_i64 s[30:31], s[52:53]
	s_delay_alu instid0(VALU_DEP_1)
	v_mov_b32_e32 v61, v0
.LBB35_123:
	s_or_b32 exec_lo, exec_lo, s26
	v_cvt_f32_f16_e32 v1, v107
	s_and_saveexec_b32 s0, s55
	s_delay_alu instid0(SALU_CYCLE_1)
	s_xor_b32 s56, exec_lo, s0
	s_cbranch_execz .LBB35_125
; %bb.124:
	v_mov_b32_e32 v0, v44
	s_swap_pc_i64 s[30:31], s[50:51]
	s_delay_alu instid0(VALU_DEP_1)
	v_mov_b32_e32 v62, v0
                                        ; implicit-def: $vgpr1
.LBB35_125:
	s_and_not1_saveexec_b32 s26, s56
	s_cbranch_execz .LBB35_127
; %bb.126:
	v_mov_b32_e32 v0, v44
	s_swap_pc_i64 s[30:31], s[52:53]
	s_delay_alu instid0(VALU_DEP_1)
	v_mov_b32_e32 v62, v0
.LBB35_127:
	s_or_b32 exec_lo, exec_lo, s26
	v_lshrrev_b32_e32 v0, 16, v107
	s_delay_alu instid0(VALU_DEP_1) | instskip(SKIP_1) | instid1(SALU_CYCLE_1)
	v_cvt_f32_f16_e32 v1, v0
	s_and_saveexec_b32 s0, s55
	s_xor_b32 s55, exec_lo, s0
	s_cbranch_execz .LBB35_129
; %bb.128:
	v_mov_b32_e32 v0, v45
	s_swap_pc_i64 s[30:31], s[50:51]
	s_delay_alu instid0(VALU_DEP_1)
	v_mov_b32_e32 v63, v0
                                        ; implicit-def: $vgpr45
                                        ; implicit-def: $vgpr1
.LBB35_129:
	s_and_not1_saveexec_b32 s26, s55
	s_cbranch_execz .LBB35_131
; %bb.130:
	v_mov_b32_e32 v0, v45
	s_swap_pc_i64 s[30:31], s[52:53]
	s_delay_alu instid0(VALU_DEP_1)
	v_mov_b32_e32 v63, v0
.LBB35_131:
	s_or_b32 exec_lo, exec_lo, s26
	s_add_nc_u64 s[2:3], s[36:37], s[48:49]
	s_clause 0x7
	global_store_b128 v120, v[56:59], s[2:3]
	global_store_b128 v120, v[72:75], s[2:3] offset:16
	global_store_b128 v120, v[76:79], s[2:3] offset:16384
	;; [unrolled: 1-line block ×7, first 2 shown]
	s_branch .LBB35_2
.LBB35_132:
	s_clause 0x1
	s_load_b32 s6, s[34:35], 0x24
	s_load_b128 s[0:3], s[34:35], 0x28
	ds_load_u8 v0, v47
	v_dual_mov_b32 v31, v46 :: v_dual_mov_b32 v1, s36
	v_dual_mov_b32 v2, s37 :: v_dual_mov_b32 v3, s38
	;; [unrolled: 1-line block ×4, first 2 shown]
	s_add_nc_u64 s[8:9], s[34:35], 56
	s_get_pc_i64 s[4:5]
	s_add_nc_u64 s[4:5], s[4:5], _ZN2at6native25elementwise_kernel_helperILb1EN12_GLOBAL__N_110CalcIgammaIfEENS0_6memory8policies11unroll_baseILi512ESt5arrayIPcLm3EE23TrivialOffsetCalculatorILi2EjESB_ILi1EjENS5_12LoadWithCastILi2EEENS5_13StoreWithCastILi1EEELi32ELi1EEEEEvT0_T1_@rel64+4
	s_wait_kmcnt 0x0
	s_bfe_u32 s7, s6, 0x80008
	v_dual_mov_b32 v8, s6 :: v_dual_mov_b32 v10, s0
	v_dual_mov_b32 v11, s1 :: v_dual_mov_b32 v12, s2
	;; [unrolled: 1-line block ×3, first 2 shown]
	s_swap_pc_i64 s[30:31], s[4:5]
	s_endpgm
	.section	.rodata,"a",@progbits
	.p2align	6, 0x0
	.amdhsa_kernel _ZN2at6native39vectorized_templated_elementwise_kernelILi8EN12_GLOBAL__N_110CalcIgammaIfEESt5arrayIPcLm3EE23TrivialOffsetCalculatorILi2EjES8_ILi1EjENS0_6memory12LoadWithCastILi2EEENSB_13StoreWithCastILi1EEEfJfN3c104HalfEEEEviT0_T1_T2_T3_T4_T5_
		.amdhsa_group_segment_fixed_size 1024
		.amdhsa_private_segment_fixed_size 448
		.amdhsa_kernarg_size 312
		.amdhsa_user_sgpr_count 4
		.amdhsa_user_sgpr_dispatch_ptr 1
		.amdhsa_user_sgpr_queue_ptr 0
		.amdhsa_user_sgpr_kernarg_segment_ptr 1
		.amdhsa_user_sgpr_dispatch_id 0
		.amdhsa_user_sgpr_kernarg_preload_length 0
		.amdhsa_user_sgpr_kernarg_preload_offset 0
		.amdhsa_user_sgpr_private_segment_size 0
		.amdhsa_wavefront_size32 1
		.amdhsa_uses_dynamic_stack 0
		.amdhsa_enable_private_segment 1
		.amdhsa_system_sgpr_workgroup_id_x 1
		.amdhsa_system_sgpr_workgroup_id_y 0
		.amdhsa_system_sgpr_workgroup_id_z 0
		.amdhsa_system_sgpr_workgroup_info 0
		.amdhsa_system_vgpr_workitem_id 2
		.amdhsa_next_free_vgpr 214
		.amdhsa_next_free_sgpr 96
		.amdhsa_named_barrier_count 0
		.amdhsa_reserve_vcc 1
		.amdhsa_float_round_mode_32 0
		.amdhsa_float_round_mode_16_64 0
		.amdhsa_float_denorm_mode_32 3
		.amdhsa_float_denorm_mode_16_64 3
		.amdhsa_fp16_overflow 0
		.amdhsa_memory_ordered 1
		.amdhsa_forward_progress 1
		.amdhsa_inst_pref_size 23
		.amdhsa_round_robin_scheduling 0
		.amdhsa_exception_fp_ieee_invalid_op 0
		.amdhsa_exception_fp_denorm_src 0
		.amdhsa_exception_fp_ieee_div_zero 0
		.amdhsa_exception_fp_ieee_overflow 0
		.amdhsa_exception_fp_ieee_underflow 0
		.amdhsa_exception_fp_ieee_inexact 0
		.amdhsa_exception_int_div_zero 0
	.end_amdhsa_kernel
	.section	.text._ZN2at6native39vectorized_templated_elementwise_kernelILi8EN12_GLOBAL__N_110CalcIgammaIfEESt5arrayIPcLm3EE23TrivialOffsetCalculatorILi2EjES8_ILi1EjENS0_6memory12LoadWithCastILi2EEENSB_13StoreWithCastILi1EEEfJfN3c104HalfEEEEviT0_T1_T2_T3_T4_T5_,"axG",@progbits,_ZN2at6native39vectorized_templated_elementwise_kernelILi8EN12_GLOBAL__N_110CalcIgammaIfEESt5arrayIPcLm3EE23TrivialOffsetCalculatorILi2EjES8_ILi1EjENS0_6memory12LoadWithCastILi2EEENSB_13StoreWithCastILi1EEEfJfN3c104HalfEEEEviT0_T1_T2_T3_T4_T5_,comdat
.Lfunc_end35:
	.size	_ZN2at6native39vectorized_templated_elementwise_kernelILi8EN12_GLOBAL__N_110CalcIgammaIfEESt5arrayIPcLm3EE23TrivialOffsetCalculatorILi2EjES8_ILi1EjENS0_6memory12LoadWithCastILi2EEENSB_13StoreWithCastILi1EEEfJfN3c104HalfEEEEviT0_T1_T2_T3_T4_T5_, .Lfunc_end35-_ZN2at6native39vectorized_templated_elementwise_kernelILi8EN12_GLOBAL__N_110CalcIgammaIfEESt5arrayIPcLm3EE23TrivialOffsetCalculatorILi2EjES8_ILi1EjENS0_6memory12LoadWithCastILi2EEENSB_13StoreWithCastILi1EEEfJfN3c104HalfEEEEviT0_T1_T2_T3_T4_T5_
                                        ; -- End function
	.set _ZN2at6native39vectorized_templated_elementwise_kernelILi8EN12_GLOBAL__N_110CalcIgammaIfEESt5arrayIPcLm3EE23TrivialOffsetCalculatorILi2EjES8_ILi1EjENS0_6memory12LoadWithCastILi2EEENSB_13StoreWithCastILi1EEEfJfN3c104HalfEEEEviT0_T1_T2_T3_T4_T5_.num_vgpr, max(121, .L_ZN12_GLOBAL__N_111calc_igammaIfEET_S1_S1_.num_vgpr, .L_ZN12_GLOBAL__N_112calc_igammacIfEET_S1_S1_.num_vgpr, .L_ZN2at6native25elementwise_kernel_helperILb1EN12_GLOBAL__N_110CalcIgammaIfEENS0_6memory8policies11unroll_baseILi512ESt5arrayIPcLm3EE23TrivialOffsetCalculatorILi2EjESB_ILi1EjENS5_12LoadWithCastILi2EEENS5_13StoreWithCastILi1EEELi32ELi1EEEEEvT0_T1_.num_vgpr)
	.set _ZN2at6native39vectorized_templated_elementwise_kernelILi8EN12_GLOBAL__N_110CalcIgammaIfEESt5arrayIPcLm3EE23TrivialOffsetCalculatorILi2EjES8_ILi1EjENS0_6memory12LoadWithCastILi2EEENSB_13StoreWithCastILi1EEEfJfN3c104HalfEEEEviT0_T1_T2_T3_T4_T5_.num_agpr, max(0, .L_ZN12_GLOBAL__N_111calc_igammaIfEET_S1_S1_.num_agpr, .L_ZN12_GLOBAL__N_112calc_igammacIfEET_S1_S1_.num_agpr, .L_ZN2at6native25elementwise_kernel_helperILb1EN12_GLOBAL__N_110CalcIgammaIfEENS0_6memory8policies11unroll_baseILi512ESt5arrayIPcLm3EE23TrivialOffsetCalculatorILi2EjESB_ILi1EjENS5_12LoadWithCastILi2EEENS5_13StoreWithCastILi1EEELi32ELi1EEEEEvT0_T1_.num_agpr)
	.set _ZN2at6native39vectorized_templated_elementwise_kernelILi8EN12_GLOBAL__N_110CalcIgammaIfEESt5arrayIPcLm3EE23TrivialOffsetCalculatorILi2EjES8_ILi1EjENS0_6memory12LoadWithCastILi2EEENSB_13StoreWithCastILi1EEEfJfN3c104HalfEEEEviT0_T1_T2_T3_T4_T5_.numbered_sgpr, max(57, .L_ZN12_GLOBAL__N_111calc_igammaIfEET_S1_S1_.numbered_sgpr, .L_ZN12_GLOBAL__N_112calc_igammacIfEET_S1_S1_.numbered_sgpr, .L_ZN2at6native25elementwise_kernel_helperILb1EN12_GLOBAL__N_110CalcIgammaIfEENS0_6memory8policies11unroll_baseILi512ESt5arrayIPcLm3EE23TrivialOffsetCalculatorILi2EjESB_ILi1EjENS5_12LoadWithCastILi2EEENS5_13StoreWithCastILi1EEELi32ELi1EEEEEvT0_T1_.numbered_sgpr)
	.set _ZN2at6native39vectorized_templated_elementwise_kernelILi8EN12_GLOBAL__N_110CalcIgammaIfEESt5arrayIPcLm3EE23TrivialOffsetCalculatorILi2EjES8_ILi1EjENS0_6memory12LoadWithCastILi2EEENSB_13StoreWithCastILi1EEEfJfN3c104HalfEEEEviT0_T1_T2_T3_T4_T5_.num_named_barrier, max(0, .L_ZN12_GLOBAL__N_111calc_igammaIfEET_S1_S1_.num_named_barrier, .L_ZN12_GLOBAL__N_112calc_igammacIfEET_S1_S1_.num_named_barrier, .L_ZN2at6native25elementwise_kernel_helperILb1EN12_GLOBAL__N_110CalcIgammaIfEENS0_6memory8policies11unroll_baseILi512ESt5arrayIPcLm3EE23TrivialOffsetCalculatorILi2EjESB_ILi1EjENS5_12LoadWithCastILi2EEENS5_13StoreWithCastILi1EEELi32ELi1EEEEEvT0_T1_.num_named_barrier)
	.set _ZN2at6native39vectorized_templated_elementwise_kernelILi8EN12_GLOBAL__N_110CalcIgammaIfEESt5arrayIPcLm3EE23TrivialOffsetCalculatorILi2EjES8_ILi1EjENS0_6memory12LoadWithCastILi2EEENSB_13StoreWithCastILi1EEEfJfN3c104HalfEEEEviT0_T1_T2_T3_T4_T5_.private_seg_size, 0+max(.L_ZN12_GLOBAL__N_111calc_igammaIfEET_S1_S1_.private_seg_size, .L_ZN12_GLOBAL__N_112calc_igammacIfEET_S1_S1_.private_seg_size, .L_ZN2at6native25elementwise_kernel_helperILb1EN12_GLOBAL__N_110CalcIgammaIfEENS0_6memory8policies11unroll_baseILi512ESt5arrayIPcLm3EE23TrivialOffsetCalculatorILi2EjESB_ILi1EjENS5_12LoadWithCastILi2EEENS5_13StoreWithCastILi1EEELi32ELi1EEEEEvT0_T1_.private_seg_size)
	.set _ZN2at6native39vectorized_templated_elementwise_kernelILi8EN12_GLOBAL__N_110CalcIgammaIfEESt5arrayIPcLm3EE23TrivialOffsetCalculatorILi2EjES8_ILi1EjENS0_6memory12LoadWithCastILi2EEENSB_13StoreWithCastILi1EEEfJfN3c104HalfEEEEviT0_T1_T2_T3_T4_T5_.uses_vcc, or(1, .L_ZN12_GLOBAL__N_111calc_igammaIfEET_S1_S1_.uses_vcc, .L_ZN12_GLOBAL__N_112calc_igammacIfEET_S1_S1_.uses_vcc, .L_ZN2at6native25elementwise_kernel_helperILb1EN12_GLOBAL__N_110CalcIgammaIfEENS0_6memory8policies11unroll_baseILi512ESt5arrayIPcLm3EE23TrivialOffsetCalculatorILi2EjESB_ILi1EjENS5_12LoadWithCastILi2EEENS5_13StoreWithCastILi1EEELi32ELi1EEEEEvT0_T1_.uses_vcc)
	.set _ZN2at6native39vectorized_templated_elementwise_kernelILi8EN12_GLOBAL__N_110CalcIgammaIfEESt5arrayIPcLm3EE23TrivialOffsetCalculatorILi2EjES8_ILi1EjENS0_6memory12LoadWithCastILi2EEENSB_13StoreWithCastILi1EEEfJfN3c104HalfEEEEviT0_T1_T2_T3_T4_T5_.uses_flat_scratch, or(0, .L_ZN12_GLOBAL__N_111calc_igammaIfEET_S1_S1_.uses_flat_scratch, .L_ZN12_GLOBAL__N_112calc_igammacIfEET_S1_S1_.uses_flat_scratch, .L_ZN2at6native25elementwise_kernel_helperILb1EN12_GLOBAL__N_110CalcIgammaIfEENS0_6memory8policies11unroll_baseILi512ESt5arrayIPcLm3EE23TrivialOffsetCalculatorILi2EjESB_ILi1EjENS5_12LoadWithCastILi2EEENS5_13StoreWithCastILi1EEELi32ELi1EEEEEvT0_T1_.uses_flat_scratch)
	.set _ZN2at6native39vectorized_templated_elementwise_kernelILi8EN12_GLOBAL__N_110CalcIgammaIfEESt5arrayIPcLm3EE23TrivialOffsetCalculatorILi2EjES8_ILi1EjENS0_6memory12LoadWithCastILi2EEENSB_13StoreWithCastILi1EEEfJfN3c104HalfEEEEviT0_T1_T2_T3_T4_T5_.has_dyn_sized_stack, or(0, .L_ZN12_GLOBAL__N_111calc_igammaIfEET_S1_S1_.has_dyn_sized_stack, .L_ZN12_GLOBAL__N_112calc_igammacIfEET_S1_S1_.has_dyn_sized_stack, .L_ZN2at6native25elementwise_kernel_helperILb1EN12_GLOBAL__N_110CalcIgammaIfEENS0_6memory8policies11unroll_baseILi512ESt5arrayIPcLm3EE23TrivialOffsetCalculatorILi2EjESB_ILi1EjENS5_12LoadWithCastILi2EEENS5_13StoreWithCastILi1EEELi32ELi1EEEEEvT0_T1_.has_dyn_sized_stack)
	.set _ZN2at6native39vectorized_templated_elementwise_kernelILi8EN12_GLOBAL__N_110CalcIgammaIfEESt5arrayIPcLm3EE23TrivialOffsetCalculatorILi2EjES8_ILi1EjENS0_6memory12LoadWithCastILi2EEENSB_13StoreWithCastILi1EEEfJfN3c104HalfEEEEviT0_T1_T2_T3_T4_T5_.has_recursion, or(0, .L_ZN12_GLOBAL__N_111calc_igammaIfEET_S1_S1_.has_recursion, .L_ZN12_GLOBAL__N_112calc_igammacIfEET_S1_S1_.has_recursion, .L_ZN2at6native25elementwise_kernel_helperILb1EN12_GLOBAL__N_110CalcIgammaIfEENS0_6memory8policies11unroll_baseILi512ESt5arrayIPcLm3EE23TrivialOffsetCalculatorILi2EjESB_ILi1EjENS5_12LoadWithCastILi2EEENS5_13StoreWithCastILi1EEELi32ELi1EEEEEvT0_T1_.has_recursion)
	.set _ZN2at6native39vectorized_templated_elementwise_kernelILi8EN12_GLOBAL__N_110CalcIgammaIfEESt5arrayIPcLm3EE23TrivialOffsetCalculatorILi2EjES8_ILi1EjENS0_6memory12LoadWithCastILi2EEENSB_13StoreWithCastILi1EEEfJfN3c104HalfEEEEviT0_T1_T2_T3_T4_T5_.has_indirect_call, or(0, .L_ZN12_GLOBAL__N_111calc_igammaIfEET_S1_S1_.has_indirect_call, .L_ZN12_GLOBAL__N_112calc_igammacIfEET_S1_S1_.has_indirect_call, .L_ZN2at6native25elementwise_kernel_helperILb1EN12_GLOBAL__N_110CalcIgammaIfEENS0_6memory8policies11unroll_baseILi512ESt5arrayIPcLm3EE23TrivialOffsetCalculatorILi2EjESB_ILi1EjENS5_12LoadWithCastILi2EEENS5_13StoreWithCastILi1EEELi32ELi1EEEEEvT0_T1_.has_indirect_call)
	.section	.AMDGPU.csdata,"",@progbits
; Kernel info:
; codeLenInByte = 2856
; TotalNumSgprs: 98
; NumVgprs: 214
; ScratchSize: 448
; MemoryBound: 0
; FloatMode: 240
; IeeeMode: 1
; LDSByteSize: 1024 bytes/workgroup (compile time only)
; SGPRBlocks: 0
; VGPRBlocks: 13
; NumSGPRsForWavesPerEU: 98
; NumVGPRsForWavesPerEU: 214
; NamedBarCnt: 0
; Occupancy: 4
; WaveLimiterHint : 0
; COMPUTE_PGM_RSRC2:SCRATCH_EN: 1
; COMPUTE_PGM_RSRC2:USER_SGPR: 4
; COMPUTE_PGM_RSRC2:TRAP_HANDLER: 0
; COMPUTE_PGM_RSRC2:TGID_X_EN: 1
; COMPUTE_PGM_RSRC2:TGID_Y_EN: 0
; COMPUTE_PGM_RSRC2:TGID_Z_EN: 0
; COMPUTE_PGM_RSRC2:TIDIG_COMP_CNT: 2
	.section	.text._ZN2at6native39vectorized_templated_elementwise_kernelILi4EN12_GLOBAL__N_110CalcIgammaIfEESt5arrayIPcLm3EE23TrivialOffsetCalculatorILi2EjES8_ILi1EjENS0_6memory12LoadWithCastILi2EEENSB_13StoreWithCastILi1EEEfJfN3c104HalfEEEEviT0_T1_T2_T3_T4_T5_,"axG",@progbits,_ZN2at6native39vectorized_templated_elementwise_kernelILi4EN12_GLOBAL__N_110CalcIgammaIfEESt5arrayIPcLm3EE23TrivialOffsetCalculatorILi2EjES8_ILi1EjENS0_6memory12LoadWithCastILi2EEENSB_13StoreWithCastILi1EEEfJfN3c104HalfEEEEviT0_T1_T2_T3_T4_T5_,comdat
	.globl	_ZN2at6native39vectorized_templated_elementwise_kernelILi4EN12_GLOBAL__N_110CalcIgammaIfEESt5arrayIPcLm3EE23TrivialOffsetCalculatorILi2EjES8_ILi1EjENS0_6memory12LoadWithCastILi2EEENSB_13StoreWithCastILi1EEEfJfN3c104HalfEEEEviT0_T1_T2_T3_T4_T5_ ; -- Begin function _ZN2at6native39vectorized_templated_elementwise_kernelILi4EN12_GLOBAL__N_110CalcIgammaIfEESt5arrayIPcLm3EE23TrivialOffsetCalculatorILi2EjES8_ILi1EjENS0_6memory12LoadWithCastILi2EEENSB_13StoreWithCastILi1EEEfJfN3c104HalfEEEEviT0_T1_T2_T3_T4_T5_
	.p2align	8
	.type	_ZN2at6native39vectorized_templated_elementwise_kernelILi4EN12_GLOBAL__N_110CalcIgammaIfEESt5arrayIPcLm3EE23TrivialOffsetCalculatorILi2EjES8_ILi1EjENS0_6memory12LoadWithCastILi2EEENSB_13StoreWithCastILi1EEEfJfN3c104HalfEEEEviT0_T1_T2_T3_T4_T5_,@function
_ZN2at6native39vectorized_templated_elementwise_kernelILi4EN12_GLOBAL__N_110CalcIgammaIfEESt5arrayIPcLm3EE23TrivialOffsetCalculatorILi2EjES8_ILi1EjENS0_6memory12LoadWithCastILi2EEENSB_13StoreWithCastILi1EEEfJfN3c104HalfEEEEviT0_T1_T2_T3_T4_T5_: ; @_ZN2at6native39vectorized_templated_elementwise_kernelILi4EN12_GLOBAL__N_110CalcIgammaIfEESt5arrayIPcLm3EE23TrivialOffsetCalculatorILi2EjES8_ILi1EjENS0_6memory12LoadWithCastILi2EEENSB_13StoreWithCastILi1EEEfJfN3c104HalfEEEEviT0_T1_T2_T3_T4_T5_
; %bb.0:
	s_mov_b64 s[34:35], s[2:3]
	s_load_b64 s[2:3], s[0:1], 0x4
	s_clause 0x2
	s_load_b64 s[4:5], s[34:35], 0x0
	s_load_b64 s[46:47], s[34:35], 0x18
	s_load_b32 s6, s[34:35], 0x38
	s_wait_xcnt 0x0
	s_bfe_u32 s1, ttmp6, 0x4000c
	s_and_b32 s0, ttmp6, 15
	s_add_co_i32 s1, s1, 1
	s_load_b128 s[36:39], s[34:35], 0x8
	s_mul_i32 s1, ttmp9, s1
	s_getreg_b32 s7, hwreg(HW_REG_IB_STS2, 6, 4)
	s_add_co_i32 s0, s0, s1
	s_mov_b32 s32, 0
	s_wait_kmcnt 0x0
	s_lshr_b32 s2, s2, 16
	s_and_b32 s1, s5, 1
	v_mov_b32_e32 v46, v0
	s_mul_i32 s2, s2, s3
	s_cmp_eq_u32 s7, 0
	s_cselect_b32 s0, ttmp9, s0
	s_delay_alu instid0(VALU_DEP_1) | instskip(SKIP_3) | instid1(VALU_DEP_3)
	v_and_b32_e32 v114, 0x3ff, v46
	v_bfe_u32 v0, v46, 10, 10
	v_bfe_u32 v2, v46, 20, 10
	s_not_b32 s0, s0
	v_mul_lo_u32 v1, s2, v114
	s_delay_alu instid0(VALU_DEP_3) | instskip(SKIP_1) | instid1(SALU_CYCLE_1)
	v_mul_u32_u24_e32 v0, s3, v0
	s_add_co_i32 s6, s6, s0
	s_lshl_b32 s0, s6, 14
	s_delay_alu instid0(SALU_CYCLE_1) | instskip(NEXT) | instid1(SALU_CYCLE_1)
	s_sub_co_i32 s54, s4, s0
	s_cmp_gt_i32 s54, 0x3fff
	s_delay_alu instid0(VALU_DEP_2)
	v_add3_u32 v47, v1, v0, v2
	v_mov_b32_e32 v0, s1
	s_mov_b32 s1, -1
	ds_store_b8 v47, v0
	s_cbranch_scc1 .LBB36_3
; %bb.1:
	s_and_b32 vcc_lo, exec_lo, s1
	s_cbranch_vccnz .LBB36_132
.LBB36_2:
	s_endpgm
.LBB36_3:
	s_ashr_i32 s1, s0, 31
	s_get_pc_i64 s[50:51]
	s_add_nc_u64 s[50:51], s[50:51], _ZN12_GLOBAL__N_111calc_igammaIfEET_S1_S1_@rel64+4
	s_lshl_b64 s[48:49], s[0:1], 2
	s_lshl_b64 s[0:1], s[0:1], 1
	s_add_nc_u64 s[2:3], s[38:39], s[48:49]
	s_add_nc_u64 s[0:1], s[46:47], s[0:1]
	s_clause 0xf
	global_load_b128 v[72:75], v114, s[2:3] scale_offset
	global_load_b128 v[100:103], v114, s[2:3] offset:8192 scale_offset
	global_load_b128 v[86:89], v114, s[2:3] offset:16384 scale_offset
	global_load_b128 v[96:99], v114, s[2:3] offset:24576 scale_offset
	global_load_b128 v[92:95], v114, s[2:3] offset:32768 scale_offset
	global_load_b128 v[76:79], v114, s[2:3] offset:40960 scale_offset
	global_load_b128 v[60:63], v114, s[2:3] offset:49152 scale_offset
	global_load_b128 v[42:45], v114, s[2:3] offset:57344 scale_offset
	global_load_b64 v[58:59], v114, s[0:1] scale_offset
	global_load_b64 v[84:85], v114, s[0:1] offset:4096 scale_offset
	global_load_b64 v[112:113], v114, s[0:1] offset:8192 scale_offset
	;; [unrolled: 1-line block ×7, first 2 shown]
	ds_load_u8 v0, v47
                                        ; implicit-def: $vgpr56
	s_wait_dscnt 0x0
	v_and_b32_e32 v0, 1, v0
	s_delay_alu instid0(VALU_DEP_1)
	v_cmp_eq_u32_e32 vcc_lo, 1, v0
	ds_store_b8 v47, v0 offset:512
	s_xor_b32 s55, vcc_lo, -1
	s_wait_loadcnt 0x7
	v_cvt_f32_f16_e32 v1, v58
	s_wait_xcnt 0x0
	s_and_saveexec_b32 s0, s55
	s_delay_alu instid0(SALU_CYCLE_1)
	s_xor_b32 s52, exec_lo, s0
	s_cbranch_execz .LBB36_5
; %bb.4:
	v_mov_b32_e32 v0, v72
	s_swap_pc_i64 s[30:31], s[50:51]
	s_delay_alu instid0(VALU_DEP_1)
	v_mov_b32_e32 v56, v0
                                        ; implicit-def: $vgpr1
.LBB36_5:
	s_or_saveexec_b32 s26, s52
	s_get_pc_i64 s[52:53]
	s_add_nc_u64 s[52:53], s[52:53], _ZN12_GLOBAL__N_112calc_igammacIfEET_S1_S1_@rel64+4
	s_xor_b32 exec_lo, exec_lo, s26
	s_cbranch_execz .LBB36_7
; %bb.6:
	v_mov_b32_e32 v0, v72
	s_swap_pc_i64 s[30:31], s[52:53]
	s_delay_alu instid0(VALU_DEP_1)
	v_mov_b32_e32 v56, v0
.LBB36_7:
	s_or_b32 exec_lo, exec_lo, s26
	v_lshrrev_b32_e32 v0, 16, v58
	s_delay_alu instid0(VALU_DEP_1) | instskip(SKIP_1) | instid1(SALU_CYCLE_1)
	v_cvt_f32_f16_e32 v1, v0
	s_and_saveexec_b32 s0, s55
	s_xor_b32 s56, exec_lo, s0
	s_cbranch_execz .LBB36_9
; %bb.8:
	v_mov_b32_e32 v0, v73
	s_swap_pc_i64 s[30:31], s[50:51]
	s_delay_alu instid0(VALU_DEP_1)
	v_mov_b32_e32 v57, v0
                                        ; implicit-def: $vgpr1
.LBB36_9:
	s_and_not1_saveexec_b32 s26, s56
	s_cbranch_execz .LBB36_11
; %bb.10:
	v_mov_b32_e32 v0, v73
	s_swap_pc_i64 s[30:31], s[52:53]
	s_delay_alu instid0(VALU_DEP_1)
	v_mov_b32_e32 v57, v0
.LBB36_11:
	s_or_b32 exec_lo, exec_lo, s26
	v_cvt_f32_f16_e32 v1, v59
	s_and_saveexec_b32 s0, s55
	s_delay_alu instid0(SALU_CYCLE_1)
	s_xor_b32 s56, exec_lo, s0
	s_cbranch_execz .LBB36_13
; %bb.12:
	v_mov_b32_e32 v0, v74
	s_swap_pc_i64 s[30:31], s[50:51]
	s_delay_alu instid0(VALU_DEP_1)
	v_mov_b32_e32 v58, v0
                                        ; implicit-def: $vgpr1
.LBB36_13:
	s_and_not1_saveexec_b32 s26, s56
	s_cbranch_execz .LBB36_15
; %bb.14:
	v_mov_b32_e32 v0, v74
	s_swap_pc_i64 s[30:31], s[52:53]
	s_delay_alu instid0(VALU_DEP_1)
	v_mov_b32_e32 v58, v0
.LBB36_15:
	s_or_b32 exec_lo, exec_lo, s26
	v_lshrrev_b32_e32 v0, 16, v59
	s_delay_alu instid0(VALU_DEP_1) | instskip(SKIP_1) | instid1(SALU_CYCLE_1)
	v_cvt_f32_f16_e32 v1, v0
	s_and_saveexec_b32 s0, s55
	s_xor_b32 s56, exec_lo, s0
	s_cbranch_execz .LBB36_17
; %bb.16:
	v_mov_b32_e32 v0, v75
	s_swap_pc_i64 s[30:31], s[50:51]
	s_delay_alu instid0(VALU_DEP_1)
	v_mov_b32_e32 v59, v0
                                        ; implicit-def: $vgpr75
                                        ; implicit-def: $vgpr1
.LBB36_17:
	s_and_not1_saveexec_b32 s26, s56
	s_cbranch_execz .LBB36_19
; %bb.18:
	v_mov_b32_e32 v0, v75
	s_swap_pc_i64 s[30:31], s[52:53]
	s_delay_alu instid0(VALU_DEP_1)
	v_mov_b32_e32 v59, v0
.LBB36_19:
	s_or_b32 exec_lo, exec_lo, s26
	s_wait_loadcnt 0x6
	v_cvt_f32_f16_e32 v1, v84
                                        ; implicit-def: $vgpr72
	s_and_saveexec_b32 s0, s55
	s_delay_alu instid0(SALU_CYCLE_1)
	s_xor_b32 s56, exec_lo, s0
	s_cbranch_execz .LBB36_21
; %bb.20:
	v_mov_b32_e32 v0, v100
	s_swap_pc_i64 s[30:31], s[50:51]
	s_delay_alu instid0(VALU_DEP_1)
	v_mov_b32_e32 v72, v0
                                        ; implicit-def: $vgpr1
.LBB36_21:
	s_and_not1_saveexec_b32 s26, s56
	s_cbranch_execz .LBB36_23
; %bb.22:
	v_mov_b32_e32 v0, v100
	s_swap_pc_i64 s[30:31], s[52:53]
	s_delay_alu instid0(VALU_DEP_1)
	v_mov_b32_e32 v72, v0
.LBB36_23:
	s_or_b32 exec_lo, exec_lo, s26
	v_lshrrev_b32_e32 v0, 16, v84
	s_delay_alu instid0(VALU_DEP_1) | instskip(SKIP_1) | instid1(SALU_CYCLE_1)
	v_cvt_f32_f16_e32 v1, v0
	s_and_saveexec_b32 s0, s55
	s_xor_b32 s56, exec_lo, s0
	s_cbranch_execz .LBB36_25
; %bb.24:
	v_mov_b32_e32 v0, v101
	s_swap_pc_i64 s[30:31], s[50:51]
	s_delay_alu instid0(VALU_DEP_1)
	v_mov_b32_e32 v73, v0
                                        ; implicit-def: $vgpr1
.LBB36_25:
	s_and_not1_saveexec_b32 s26, s56
	s_cbranch_execz .LBB36_27
; %bb.26:
	v_mov_b32_e32 v0, v101
	s_swap_pc_i64 s[30:31], s[52:53]
	s_delay_alu instid0(VALU_DEP_1)
	v_mov_b32_e32 v73, v0
.LBB36_27:
	s_or_b32 exec_lo, exec_lo, s26
	v_cvt_f32_f16_e32 v1, v85
	s_and_saveexec_b32 s0, s55
	s_delay_alu instid0(SALU_CYCLE_1)
	s_xor_b32 s56, exec_lo, s0
	s_cbranch_execz .LBB36_29
; %bb.28:
	v_mov_b32_e32 v0, v102
	s_swap_pc_i64 s[30:31], s[50:51]
	s_delay_alu instid0(VALU_DEP_1)
	v_mov_b32_e32 v74, v0
                                        ; implicit-def: $vgpr1
.LBB36_29:
	s_and_not1_saveexec_b32 s26, s56
	s_cbranch_execz .LBB36_31
; %bb.30:
	v_mov_b32_e32 v0, v102
	s_swap_pc_i64 s[30:31], s[52:53]
	s_delay_alu instid0(VALU_DEP_1)
	v_mov_b32_e32 v74, v0
.LBB36_31:
	s_or_b32 exec_lo, exec_lo, s26
	v_lshrrev_b32_e32 v0, 16, v85
	s_delay_alu instid0(VALU_DEP_1) | instskip(SKIP_1) | instid1(SALU_CYCLE_1)
	v_cvt_f32_f16_e32 v1, v0
	s_and_saveexec_b32 s0, s55
	s_xor_b32 s56, exec_lo, s0
	s_cbranch_execz .LBB36_33
; %bb.32:
	v_mov_b32_e32 v0, v103
	s_swap_pc_i64 s[30:31], s[50:51]
	s_delay_alu instid0(VALU_DEP_1)
	v_mov_b32_e32 v75, v0
                                        ; implicit-def: $vgpr103
                                        ; implicit-def: $vgpr1
.LBB36_33:
	s_and_not1_saveexec_b32 s26, s56
	s_cbranch_execz .LBB36_35
; %bb.34:
	v_mov_b32_e32 v0, v103
	s_swap_pc_i64 s[30:31], s[52:53]
	s_delay_alu instid0(VALU_DEP_1)
	v_mov_b32_e32 v75, v0
.LBB36_35:
	s_or_b32 exec_lo, exec_lo, s26
	s_wait_loadcnt 0x5
	v_cvt_f32_f16_e32 v1, v112
                                        ; implicit-def: $vgpr84
	s_and_saveexec_b32 s0, s55
	s_delay_alu instid0(SALU_CYCLE_1)
	s_xor_b32 s56, exec_lo, s0
	s_cbranch_execz .LBB36_37
; %bb.36:
	v_mov_b32_e32 v0, v86
	s_swap_pc_i64 s[30:31], s[50:51]
	s_delay_alu instid0(VALU_DEP_1)
	v_mov_b32_e32 v84, v0
                                        ; implicit-def: $vgpr1
.LBB36_37:
	s_and_not1_saveexec_b32 s26, s56
	s_cbranch_execz .LBB36_39
; %bb.38:
	v_mov_b32_e32 v0, v86
	s_swap_pc_i64 s[30:31], s[52:53]
	s_delay_alu instid0(VALU_DEP_1)
	v_mov_b32_e32 v84, v0
.LBB36_39:
	s_or_b32 exec_lo, exec_lo, s26
	v_lshrrev_b32_e32 v0, 16, v112
	s_delay_alu instid0(VALU_DEP_1) | instskip(SKIP_1) | instid1(SALU_CYCLE_1)
	v_cvt_f32_f16_e32 v1, v0
	s_and_saveexec_b32 s0, s55
	s_xor_b32 s56, exec_lo, s0
	s_cbranch_execz .LBB36_41
; %bb.40:
	v_mov_b32_e32 v0, v87
	s_swap_pc_i64 s[30:31], s[50:51]
	s_delay_alu instid0(VALU_DEP_1)
	v_mov_b32_e32 v85, v0
                                        ; implicit-def: $vgpr1
.LBB36_41:
	s_and_not1_saveexec_b32 s26, s56
	s_cbranch_execz .LBB36_43
; %bb.42:
	v_mov_b32_e32 v0, v87
	s_swap_pc_i64 s[30:31], s[52:53]
	s_delay_alu instid0(VALU_DEP_1)
	v_mov_b32_e32 v85, v0
.LBB36_43:
	s_or_b32 exec_lo, exec_lo, s26
	v_cvt_f32_f16_e32 v1, v113
	s_and_saveexec_b32 s0, s55
	s_delay_alu instid0(SALU_CYCLE_1)
	s_xor_b32 s56, exec_lo, s0
	s_cbranch_execz .LBB36_45
; %bb.44:
	v_mov_b32_e32 v0, v88
	s_swap_pc_i64 s[30:31], s[50:51]
	s_delay_alu instid0(VALU_DEP_1)
	v_mov_b32_e32 v86, v0
                                        ; implicit-def: $vgpr1
.LBB36_45:
	s_and_not1_saveexec_b32 s26, s56
	s_cbranch_execz .LBB36_47
; %bb.46:
	v_mov_b32_e32 v0, v88
	s_swap_pc_i64 s[30:31], s[52:53]
	s_delay_alu instid0(VALU_DEP_1)
	v_mov_b32_e32 v86, v0
.LBB36_47:
	s_or_b32 exec_lo, exec_lo, s26
	v_lshrrev_b32_e32 v0, 16, v113
	s_delay_alu instid0(VALU_DEP_1) | instskip(SKIP_1) | instid1(SALU_CYCLE_1)
	v_cvt_f32_f16_e32 v1, v0
	s_and_saveexec_b32 s0, s55
	s_xor_b32 s56, exec_lo, s0
	s_cbranch_execz .LBB36_49
; %bb.48:
	v_mov_b32_e32 v0, v89
	s_swap_pc_i64 s[30:31], s[50:51]
	s_delay_alu instid0(VALU_DEP_1)
	v_mov_b32_e32 v87, v0
                                        ; implicit-def: $vgpr89
                                        ; implicit-def: $vgpr1
.LBB36_49:
	s_and_not1_saveexec_b32 s26, s56
	s_cbranch_execz .LBB36_51
; %bb.50:
	v_mov_b32_e32 v0, v89
	s_swap_pc_i64 s[30:31], s[52:53]
	s_delay_alu instid0(VALU_DEP_1)
	v_mov_b32_e32 v87, v0
.LBB36_51:
	s_or_b32 exec_lo, exec_lo, s26
	s_wait_loadcnt 0x4
	v_cvt_f32_f16_e32 v1, v90
                                        ; implicit-def: $vgpr88
	s_and_saveexec_b32 s0, s55
	s_delay_alu instid0(SALU_CYCLE_1)
	s_xor_b32 s56, exec_lo, s0
	s_cbranch_execz .LBB36_53
; %bb.52:
	v_mov_b32_e32 v0, v96
	s_swap_pc_i64 s[30:31], s[50:51]
	s_delay_alu instid0(VALU_DEP_1)
	v_mov_b32_e32 v88, v0
                                        ; implicit-def: $vgpr1
.LBB36_53:
	s_and_not1_saveexec_b32 s26, s56
	s_cbranch_execz .LBB36_55
; %bb.54:
	v_mov_b32_e32 v0, v96
	s_swap_pc_i64 s[30:31], s[52:53]
	s_delay_alu instid0(VALU_DEP_1)
	v_mov_b32_e32 v88, v0
.LBB36_55:
	s_or_b32 exec_lo, exec_lo, s26
	v_lshrrev_b32_e32 v0, 16, v90
	s_delay_alu instid0(VALU_DEP_1) | instskip(SKIP_1) | instid1(SALU_CYCLE_1)
	v_cvt_f32_f16_e32 v1, v0
	s_and_saveexec_b32 s0, s55
	s_xor_b32 s56, exec_lo, s0
	s_cbranch_execz .LBB36_57
; %bb.56:
	v_mov_b32_e32 v0, v97
	s_swap_pc_i64 s[30:31], s[50:51]
	s_delay_alu instid0(VALU_DEP_1)
	v_mov_b32_e32 v89, v0
                                        ; implicit-def: $vgpr1
.LBB36_57:
	s_and_not1_saveexec_b32 s26, s56
	s_cbranch_execz .LBB36_59
; %bb.58:
	v_mov_b32_e32 v0, v97
	s_swap_pc_i64 s[30:31], s[52:53]
	s_delay_alu instid0(VALU_DEP_1)
	v_mov_b32_e32 v89, v0
.LBB36_59:
	s_or_b32 exec_lo, exec_lo, s26
	v_cvt_f32_f16_e32 v1, v91
	s_and_saveexec_b32 s0, s55
	s_delay_alu instid0(SALU_CYCLE_1)
	s_xor_b32 s56, exec_lo, s0
	s_cbranch_execz .LBB36_61
; %bb.60:
	v_mov_b32_e32 v0, v98
	s_swap_pc_i64 s[30:31], s[50:51]
	s_delay_alu instid0(VALU_DEP_1)
	v_mov_b32_e32 v90, v0
                                        ; implicit-def: $vgpr1
.LBB36_61:
	s_and_not1_saveexec_b32 s26, s56
	s_cbranch_execz .LBB36_63
; %bb.62:
	v_mov_b32_e32 v0, v98
	s_swap_pc_i64 s[30:31], s[52:53]
	s_delay_alu instid0(VALU_DEP_1)
	v_mov_b32_e32 v90, v0
.LBB36_63:
	s_or_b32 exec_lo, exec_lo, s26
	v_lshrrev_b32_e32 v0, 16, v91
	s_delay_alu instid0(VALU_DEP_1) | instskip(SKIP_1) | instid1(SALU_CYCLE_1)
	v_cvt_f32_f16_e32 v1, v0
	s_and_saveexec_b32 s0, s55
	s_xor_b32 s56, exec_lo, s0
	s_cbranch_execz .LBB36_65
; %bb.64:
	v_mov_b32_e32 v0, v99
	s_swap_pc_i64 s[30:31], s[50:51]
	s_delay_alu instid0(VALU_DEP_1)
	v_mov_b32_e32 v91, v0
                                        ; implicit-def: $vgpr99
                                        ; implicit-def: $vgpr1
.LBB36_65:
	s_and_not1_saveexec_b32 s26, s56
	s_cbranch_execz .LBB36_67
; %bb.66:
	v_mov_b32_e32 v0, v99
	s_swap_pc_i64 s[30:31], s[52:53]
	s_delay_alu instid0(VALU_DEP_1)
	v_mov_b32_e32 v91, v0
.LBB36_67:
	s_or_b32 exec_lo, exec_lo, s26
	s_wait_loadcnt 0x3
	v_cvt_f32_f16_e32 v1, v110
                                        ; implicit-def: $vgpr96
	s_and_saveexec_b32 s0, s55
	s_delay_alu instid0(SALU_CYCLE_1)
	s_xor_b32 s56, exec_lo, s0
	s_cbranch_execz .LBB36_69
; %bb.68:
	v_mov_b32_e32 v0, v92
	s_swap_pc_i64 s[30:31], s[50:51]
	s_delay_alu instid0(VALU_DEP_1)
	v_mov_b32_e32 v96, v0
                                        ; implicit-def: $vgpr1
.LBB36_69:
	s_and_not1_saveexec_b32 s26, s56
	s_cbranch_execz .LBB36_71
; %bb.70:
	v_mov_b32_e32 v0, v92
	s_swap_pc_i64 s[30:31], s[52:53]
	s_delay_alu instid0(VALU_DEP_1)
	v_mov_b32_e32 v96, v0
.LBB36_71:
	s_or_b32 exec_lo, exec_lo, s26
	v_lshrrev_b32_e32 v0, 16, v110
	s_delay_alu instid0(VALU_DEP_1) | instskip(SKIP_1) | instid1(SALU_CYCLE_1)
	v_cvt_f32_f16_e32 v1, v0
	s_and_saveexec_b32 s0, s55
	s_xor_b32 s56, exec_lo, s0
	s_cbranch_execz .LBB36_73
; %bb.72:
	v_mov_b32_e32 v0, v93
	s_swap_pc_i64 s[30:31], s[50:51]
	s_delay_alu instid0(VALU_DEP_1)
	v_mov_b32_e32 v97, v0
                                        ; implicit-def: $vgpr1
.LBB36_73:
	s_and_not1_saveexec_b32 s26, s56
	s_cbranch_execz .LBB36_75
; %bb.74:
	v_mov_b32_e32 v0, v93
	s_swap_pc_i64 s[30:31], s[52:53]
	s_delay_alu instid0(VALU_DEP_1)
	v_mov_b32_e32 v97, v0
.LBB36_75:
	s_or_b32 exec_lo, exec_lo, s26
	v_cvt_f32_f16_e32 v1, v111
	s_and_saveexec_b32 s0, s55
	s_delay_alu instid0(SALU_CYCLE_1)
	s_xor_b32 s56, exec_lo, s0
	s_cbranch_execz .LBB36_77
; %bb.76:
	v_mov_b32_e32 v0, v94
	s_swap_pc_i64 s[30:31], s[50:51]
	s_delay_alu instid0(VALU_DEP_1)
	v_mov_b32_e32 v98, v0
                                        ; implicit-def: $vgpr1
.LBB36_77:
	s_and_not1_saveexec_b32 s26, s56
	s_cbranch_execz .LBB36_79
; %bb.78:
	v_mov_b32_e32 v0, v94
	s_swap_pc_i64 s[30:31], s[52:53]
	s_delay_alu instid0(VALU_DEP_1)
	v_mov_b32_e32 v98, v0
.LBB36_79:
	s_or_b32 exec_lo, exec_lo, s26
	v_lshrrev_b32_e32 v0, 16, v111
	s_delay_alu instid0(VALU_DEP_1) | instskip(SKIP_1) | instid1(SALU_CYCLE_1)
	v_cvt_f32_f16_e32 v1, v0
	s_and_saveexec_b32 s0, s55
	s_xor_b32 s56, exec_lo, s0
	s_cbranch_execz .LBB36_81
; %bb.80:
	v_mov_b32_e32 v0, v95
	s_swap_pc_i64 s[30:31], s[50:51]
	s_delay_alu instid0(VALU_DEP_1)
	v_mov_b32_e32 v99, v0
                                        ; implicit-def: $vgpr95
                                        ; implicit-def: $vgpr1
.LBB36_81:
	s_and_not1_saveexec_b32 s26, s56
	s_cbranch_execz .LBB36_83
; %bb.82:
	v_mov_b32_e32 v0, v95
	s_swap_pc_i64 s[30:31], s[52:53]
	s_delay_alu instid0(VALU_DEP_1)
	v_mov_b32_e32 v99, v0
.LBB36_83:
	s_or_b32 exec_lo, exec_lo, s26
	s_wait_loadcnt 0x2
	v_cvt_f32_f16_e32 v1, v108
                                        ; implicit-def: $vgpr92
	s_and_saveexec_b32 s0, s55
	s_delay_alu instid0(SALU_CYCLE_1)
	s_xor_b32 s56, exec_lo, s0
	s_cbranch_execz .LBB36_85
; %bb.84:
	v_mov_b32_e32 v0, v76
	s_swap_pc_i64 s[30:31], s[50:51]
	s_delay_alu instid0(VALU_DEP_1)
	v_mov_b32_e32 v92, v0
                                        ; implicit-def: $vgpr1
.LBB36_85:
	s_and_not1_saveexec_b32 s26, s56
	s_cbranch_execz .LBB36_87
; %bb.86:
	v_mov_b32_e32 v0, v76
	s_swap_pc_i64 s[30:31], s[52:53]
	s_delay_alu instid0(VALU_DEP_1)
	v_mov_b32_e32 v92, v0
.LBB36_87:
	s_or_b32 exec_lo, exec_lo, s26
	v_lshrrev_b32_e32 v0, 16, v108
	s_delay_alu instid0(VALU_DEP_1) | instskip(SKIP_1) | instid1(SALU_CYCLE_1)
	v_cvt_f32_f16_e32 v1, v0
	s_and_saveexec_b32 s0, s55
	s_xor_b32 s56, exec_lo, s0
	s_cbranch_execz .LBB36_89
; %bb.88:
	v_mov_b32_e32 v0, v77
	s_swap_pc_i64 s[30:31], s[50:51]
	s_delay_alu instid0(VALU_DEP_1)
	v_mov_b32_e32 v93, v0
                                        ; implicit-def: $vgpr1
.LBB36_89:
	s_and_not1_saveexec_b32 s26, s56
	s_cbranch_execz .LBB36_91
; %bb.90:
	v_mov_b32_e32 v0, v77
	s_swap_pc_i64 s[30:31], s[52:53]
	s_delay_alu instid0(VALU_DEP_1)
	v_mov_b32_e32 v93, v0
.LBB36_91:
	s_or_b32 exec_lo, exec_lo, s26
	v_cvt_f32_f16_e32 v1, v109
	s_and_saveexec_b32 s0, s55
	s_delay_alu instid0(SALU_CYCLE_1)
	s_xor_b32 s56, exec_lo, s0
	s_cbranch_execz .LBB36_93
; %bb.92:
	v_mov_b32_e32 v0, v78
	s_swap_pc_i64 s[30:31], s[50:51]
	s_delay_alu instid0(VALU_DEP_1)
	v_mov_b32_e32 v94, v0
                                        ; implicit-def: $vgpr1
.LBB36_93:
	s_and_not1_saveexec_b32 s26, s56
	s_cbranch_execz .LBB36_95
; %bb.94:
	v_mov_b32_e32 v0, v78
	s_swap_pc_i64 s[30:31], s[52:53]
	s_delay_alu instid0(VALU_DEP_1)
	v_mov_b32_e32 v94, v0
.LBB36_95:
	s_or_b32 exec_lo, exec_lo, s26
	v_lshrrev_b32_e32 v0, 16, v109
	s_delay_alu instid0(VALU_DEP_1) | instskip(SKIP_1) | instid1(SALU_CYCLE_1)
	v_cvt_f32_f16_e32 v1, v0
	s_and_saveexec_b32 s0, s55
	s_xor_b32 s56, exec_lo, s0
	s_cbranch_execz .LBB36_97
; %bb.96:
	v_mov_b32_e32 v0, v79
	s_swap_pc_i64 s[30:31], s[50:51]
	s_delay_alu instid0(VALU_DEP_1)
	v_mov_b32_e32 v95, v0
                                        ; implicit-def: $vgpr79
                                        ; implicit-def: $vgpr1
.LBB36_97:
	s_and_not1_saveexec_b32 s26, s56
	s_cbranch_execz .LBB36_99
; %bb.98:
	v_mov_b32_e32 v0, v79
	s_swap_pc_i64 s[30:31], s[52:53]
	s_delay_alu instid0(VALU_DEP_1)
	v_mov_b32_e32 v95, v0
.LBB36_99:
	s_or_b32 exec_lo, exec_lo, s26
	s_wait_loadcnt 0x1
	v_cvt_f32_f16_e32 v1, v106
                                        ; implicit-def: $vgpr76
	s_and_saveexec_b32 s0, s55
	s_delay_alu instid0(SALU_CYCLE_1)
	s_xor_b32 s56, exec_lo, s0
	s_cbranch_execz .LBB36_101
; %bb.100:
	v_mov_b32_e32 v0, v60
	s_swap_pc_i64 s[30:31], s[50:51]
	s_delay_alu instid0(VALU_DEP_1)
	v_mov_b32_e32 v76, v0
                                        ; implicit-def: $vgpr1
.LBB36_101:
	s_and_not1_saveexec_b32 s26, s56
	s_cbranch_execz .LBB36_103
; %bb.102:
	v_mov_b32_e32 v0, v60
	s_swap_pc_i64 s[30:31], s[52:53]
	s_delay_alu instid0(VALU_DEP_1)
	v_mov_b32_e32 v76, v0
.LBB36_103:
	s_or_b32 exec_lo, exec_lo, s26
	v_lshrrev_b32_e32 v0, 16, v106
	s_delay_alu instid0(VALU_DEP_1) | instskip(SKIP_1) | instid1(SALU_CYCLE_1)
	v_cvt_f32_f16_e32 v1, v0
	s_and_saveexec_b32 s0, s55
	s_xor_b32 s56, exec_lo, s0
	s_cbranch_execz .LBB36_105
; %bb.104:
	v_mov_b32_e32 v0, v61
	s_swap_pc_i64 s[30:31], s[50:51]
	s_delay_alu instid0(VALU_DEP_1)
	v_mov_b32_e32 v77, v0
                                        ; implicit-def: $vgpr1
.LBB36_105:
	s_and_not1_saveexec_b32 s26, s56
	s_cbranch_execz .LBB36_107
; %bb.106:
	v_mov_b32_e32 v0, v61
	s_swap_pc_i64 s[30:31], s[52:53]
	s_delay_alu instid0(VALU_DEP_1)
	v_mov_b32_e32 v77, v0
.LBB36_107:
	s_or_b32 exec_lo, exec_lo, s26
	v_cvt_f32_f16_e32 v1, v107
	s_and_saveexec_b32 s0, s55
	s_delay_alu instid0(SALU_CYCLE_1)
	s_xor_b32 s56, exec_lo, s0
	s_cbranch_execz .LBB36_109
; %bb.108:
	v_mov_b32_e32 v0, v62
	s_swap_pc_i64 s[30:31], s[50:51]
	s_delay_alu instid0(VALU_DEP_1)
	v_mov_b32_e32 v78, v0
                                        ; implicit-def: $vgpr1
.LBB36_109:
	s_and_not1_saveexec_b32 s26, s56
	s_cbranch_execz .LBB36_111
; %bb.110:
	v_mov_b32_e32 v0, v62
	s_swap_pc_i64 s[30:31], s[52:53]
	s_delay_alu instid0(VALU_DEP_1)
	v_mov_b32_e32 v78, v0
.LBB36_111:
	s_or_b32 exec_lo, exec_lo, s26
	v_lshrrev_b32_e32 v0, 16, v107
	s_delay_alu instid0(VALU_DEP_1) | instskip(SKIP_1) | instid1(SALU_CYCLE_1)
	v_cvt_f32_f16_e32 v1, v0
	s_and_saveexec_b32 s0, s55
	s_xor_b32 s56, exec_lo, s0
	s_cbranch_execz .LBB36_113
; %bb.112:
	v_mov_b32_e32 v0, v63
	s_swap_pc_i64 s[30:31], s[50:51]
	s_delay_alu instid0(VALU_DEP_1)
	v_mov_b32_e32 v79, v0
                                        ; implicit-def: $vgpr63
                                        ; implicit-def: $vgpr1
.LBB36_113:
	s_and_not1_saveexec_b32 s26, s56
	s_cbranch_execz .LBB36_115
; %bb.114:
	v_mov_b32_e32 v0, v63
	s_swap_pc_i64 s[30:31], s[52:53]
	s_delay_alu instid0(VALU_DEP_1)
	v_mov_b32_e32 v79, v0
.LBB36_115:
	s_or_b32 exec_lo, exec_lo, s26
	s_wait_loadcnt 0x0
	v_cvt_f32_f16_e32 v1, v104
                                        ; implicit-def: $vgpr60
	s_and_saveexec_b32 s0, s55
	s_delay_alu instid0(SALU_CYCLE_1)
	s_xor_b32 s56, exec_lo, s0
	s_cbranch_execz .LBB36_117
; %bb.116:
	v_mov_b32_e32 v0, v42
	s_swap_pc_i64 s[30:31], s[50:51]
	s_delay_alu instid0(VALU_DEP_1)
	v_mov_b32_e32 v60, v0
                                        ; implicit-def: $vgpr1
.LBB36_117:
	s_and_not1_saveexec_b32 s26, s56
	s_cbranch_execz .LBB36_119
; %bb.118:
	v_mov_b32_e32 v0, v42
	s_swap_pc_i64 s[30:31], s[52:53]
	s_delay_alu instid0(VALU_DEP_1)
	v_mov_b32_e32 v60, v0
.LBB36_119:
	s_or_b32 exec_lo, exec_lo, s26
	v_lshrrev_b32_e32 v0, 16, v104
	s_delay_alu instid0(VALU_DEP_1) | instskip(SKIP_1) | instid1(SALU_CYCLE_1)
	v_cvt_f32_f16_e32 v1, v0
	s_and_saveexec_b32 s0, s55
	s_xor_b32 s56, exec_lo, s0
	s_cbranch_execz .LBB36_121
; %bb.120:
	v_mov_b32_e32 v0, v43
	s_swap_pc_i64 s[30:31], s[50:51]
	s_delay_alu instid0(VALU_DEP_1)
	v_mov_b32_e32 v61, v0
                                        ; implicit-def: $vgpr1
.LBB36_121:
	s_and_not1_saveexec_b32 s26, s56
	s_cbranch_execz .LBB36_123
; %bb.122:
	v_mov_b32_e32 v0, v43
	s_swap_pc_i64 s[30:31], s[52:53]
	s_delay_alu instid0(VALU_DEP_1)
	v_mov_b32_e32 v61, v0
.LBB36_123:
	s_or_b32 exec_lo, exec_lo, s26
	v_cvt_f32_f16_e32 v1, v105
	s_and_saveexec_b32 s0, s55
	s_delay_alu instid0(SALU_CYCLE_1)
	s_xor_b32 s56, exec_lo, s0
	s_cbranch_execz .LBB36_125
; %bb.124:
	v_mov_b32_e32 v0, v44
	s_swap_pc_i64 s[30:31], s[50:51]
	s_delay_alu instid0(VALU_DEP_1)
	v_mov_b32_e32 v62, v0
                                        ; implicit-def: $vgpr1
.LBB36_125:
	s_and_not1_saveexec_b32 s26, s56
	s_cbranch_execz .LBB36_127
; %bb.126:
	v_mov_b32_e32 v0, v44
	s_swap_pc_i64 s[30:31], s[52:53]
	s_delay_alu instid0(VALU_DEP_1)
	v_mov_b32_e32 v62, v0
.LBB36_127:
	s_or_b32 exec_lo, exec_lo, s26
	v_lshrrev_b32_e32 v0, 16, v105
	s_delay_alu instid0(VALU_DEP_1) | instskip(SKIP_1) | instid1(SALU_CYCLE_1)
	v_cvt_f32_f16_e32 v1, v0
	s_and_saveexec_b32 s0, s55
	s_xor_b32 s55, exec_lo, s0
	s_cbranch_execz .LBB36_129
; %bb.128:
	v_mov_b32_e32 v0, v45
	s_swap_pc_i64 s[30:31], s[50:51]
	s_delay_alu instid0(VALU_DEP_1)
	v_mov_b32_e32 v63, v0
                                        ; implicit-def: $vgpr45
                                        ; implicit-def: $vgpr1
.LBB36_129:
	s_and_not1_saveexec_b32 s26, s55
	s_cbranch_execz .LBB36_131
; %bb.130:
	v_mov_b32_e32 v0, v45
	s_swap_pc_i64 s[30:31], s[52:53]
	s_delay_alu instid0(VALU_DEP_1)
	v_mov_b32_e32 v63, v0
.LBB36_131:
	s_or_b32 exec_lo, exec_lo, s26
	s_add_nc_u64 s[2:3], s[36:37], s[48:49]
	s_clause 0x7
	global_store_b128 v114, v[56:59], s[2:3] scale_offset
	global_store_b128 v114, v[72:75], s[2:3] offset:8192 scale_offset
	global_store_b128 v114, v[84:87], s[2:3] offset:16384 scale_offset
	global_store_b128 v114, v[88:91], s[2:3] offset:24576 scale_offset
	global_store_b128 v114, v[96:99], s[2:3] offset:32768 scale_offset
	global_store_b128 v114, v[92:95], s[2:3] offset:40960 scale_offset
	global_store_b128 v114, v[76:79], s[2:3] offset:49152 scale_offset
	global_store_b128 v114, v[60:63], s[2:3] offset:57344 scale_offset
	s_branch .LBB36_2
.LBB36_132:
	s_clause 0x1
	s_load_b32 s6, s[34:35], 0x24
	s_load_b128 s[0:3], s[34:35], 0x28
	ds_load_u8 v0, v47
	v_dual_mov_b32 v31, v46 :: v_dual_mov_b32 v1, s36
	v_dual_mov_b32 v2, s37 :: v_dual_mov_b32 v3, s38
	;; [unrolled: 1-line block ×4, first 2 shown]
	s_add_nc_u64 s[8:9], s[34:35], 56
	s_get_pc_i64 s[4:5]
	s_add_nc_u64 s[4:5], s[4:5], _ZN2at6native25elementwise_kernel_helperILb1EN12_GLOBAL__N_110CalcIgammaIfEENS0_6memory8policies11unroll_baseILi512ESt5arrayIPcLm3EE23TrivialOffsetCalculatorILi2EjESB_ILi1EjENS5_12LoadWithCastILi2EEENS5_13StoreWithCastILi1EEELi32ELi1EEEEEvT0_T1_@rel64+4
	s_wait_kmcnt 0x0
	s_bfe_u32 s7, s6, 0x80008
	v_dual_mov_b32 v8, s6 :: v_dual_mov_b32 v10, s0
	v_dual_mov_b32 v11, s1 :: v_dual_mov_b32 v12, s2
	;; [unrolled: 1-line block ×3, first 2 shown]
	s_swap_pc_i64 s[30:31], s[4:5]
	s_endpgm
	.section	.rodata,"a",@progbits
	.p2align	6, 0x0
	.amdhsa_kernel _ZN2at6native39vectorized_templated_elementwise_kernelILi4EN12_GLOBAL__N_110CalcIgammaIfEESt5arrayIPcLm3EE23TrivialOffsetCalculatorILi2EjES8_ILi1EjENS0_6memory12LoadWithCastILi2EEENSB_13StoreWithCastILi1EEEfJfN3c104HalfEEEEviT0_T1_T2_T3_T4_T5_
		.amdhsa_group_segment_fixed_size 1024
		.amdhsa_private_segment_fixed_size 448
		.amdhsa_kernarg_size 312
		.amdhsa_user_sgpr_count 4
		.amdhsa_user_sgpr_dispatch_ptr 1
		.amdhsa_user_sgpr_queue_ptr 0
		.amdhsa_user_sgpr_kernarg_segment_ptr 1
		.amdhsa_user_sgpr_dispatch_id 0
		.amdhsa_user_sgpr_kernarg_preload_length 0
		.amdhsa_user_sgpr_kernarg_preload_offset 0
		.amdhsa_user_sgpr_private_segment_size 0
		.amdhsa_wavefront_size32 1
		.amdhsa_uses_dynamic_stack 0
		.amdhsa_enable_private_segment 1
		.amdhsa_system_sgpr_workgroup_id_x 1
		.amdhsa_system_sgpr_workgroup_id_y 0
		.amdhsa_system_sgpr_workgroup_id_z 0
		.amdhsa_system_sgpr_workgroup_info 0
		.amdhsa_system_vgpr_workitem_id 2
		.amdhsa_next_free_vgpr 214
		.amdhsa_next_free_sgpr 96
		.amdhsa_named_barrier_count 0
		.amdhsa_reserve_vcc 1
		.amdhsa_float_round_mode_32 0
		.amdhsa_float_round_mode_16_64 0
		.amdhsa_float_denorm_mode_32 3
		.amdhsa_float_denorm_mode_16_64 3
		.amdhsa_fp16_overflow 0
		.amdhsa_memory_ordered 1
		.amdhsa_forward_progress 1
		.amdhsa_inst_pref_size 23
		.amdhsa_round_robin_scheduling 0
		.amdhsa_exception_fp_ieee_invalid_op 0
		.amdhsa_exception_fp_denorm_src 0
		.amdhsa_exception_fp_ieee_div_zero 0
		.amdhsa_exception_fp_ieee_overflow 0
		.amdhsa_exception_fp_ieee_underflow 0
		.amdhsa_exception_fp_ieee_inexact 0
		.amdhsa_exception_int_div_zero 0
	.end_amdhsa_kernel
	.section	.text._ZN2at6native39vectorized_templated_elementwise_kernelILi4EN12_GLOBAL__N_110CalcIgammaIfEESt5arrayIPcLm3EE23TrivialOffsetCalculatorILi2EjES8_ILi1EjENS0_6memory12LoadWithCastILi2EEENSB_13StoreWithCastILi1EEEfJfN3c104HalfEEEEviT0_T1_T2_T3_T4_T5_,"axG",@progbits,_ZN2at6native39vectorized_templated_elementwise_kernelILi4EN12_GLOBAL__N_110CalcIgammaIfEESt5arrayIPcLm3EE23TrivialOffsetCalculatorILi2EjES8_ILi1EjENS0_6memory12LoadWithCastILi2EEENSB_13StoreWithCastILi1EEEfJfN3c104HalfEEEEviT0_T1_T2_T3_T4_T5_,comdat
.Lfunc_end36:
	.size	_ZN2at6native39vectorized_templated_elementwise_kernelILi4EN12_GLOBAL__N_110CalcIgammaIfEESt5arrayIPcLm3EE23TrivialOffsetCalculatorILi2EjES8_ILi1EjENS0_6memory12LoadWithCastILi2EEENSB_13StoreWithCastILi1EEEfJfN3c104HalfEEEEviT0_T1_T2_T3_T4_T5_, .Lfunc_end36-_ZN2at6native39vectorized_templated_elementwise_kernelILi4EN12_GLOBAL__N_110CalcIgammaIfEESt5arrayIPcLm3EE23TrivialOffsetCalculatorILi2EjES8_ILi1EjENS0_6memory12LoadWithCastILi2EEENSB_13StoreWithCastILi1EEEfJfN3c104HalfEEEEviT0_T1_T2_T3_T4_T5_
                                        ; -- End function
	.set _ZN2at6native39vectorized_templated_elementwise_kernelILi4EN12_GLOBAL__N_110CalcIgammaIfEESt5arrayIPcLm3EE23TrivialOffsetCalculatorILi2EjES8_ILi1EjENS0_6memory12LoadWithCastILi2EEENSB_13StoreWithCastILi1EEEfJfN3c104HalfEEEEviT0_T1_T2_T3_T4_T5_.num_vgpr, max(115, .L_ZN12_GLOBAL__N_111calc_igammaIfEET_S1_S1_.num_vgpr, .L_ZN12_GLOBAL__N_112calc_igammacIfEET_S1_S1_.num_vgpr, .L_ZN2at6native25elementwise_kernel_helperILb1EN12_GLOBAL__N_110CalcIgammaIfEENS0_6memory8policies11unroll_baseILi512ESt5arrayIPcLm3EE23TrivialOffsetCalculatorILi2EjESB_ILi1EjENS5_12LoadWithCastILi2EEENS5_13StoreWithCastILi1EEELi32ELi1EEEEEvT0_T1_.num_vgpr)
	.set _ZN2at6native39vectorized_templated_elementwise_kernelILi4EN12_GLOBAL__N_110CalcIgammaIfEESt5arrayIPcLm3EE23TrivialOffsetCalculatorILi2EjES8_ILi1EjENS0_6memory12LoadWithCastILi2EEENSB_13StoreWithCastILi1EEEfJfN3c104HalfEEEEviT0_T1_T2_T3_T4_T5_.num_agpr, max(0, .L_ZN12_GLOBAL__N_111calc_igammaIfEET_S1_S1_.num_agpr, .L_ZN12_GLOBAL__N_112calc_igammacIfEET_S1_S1_.num_agpr, .L_ZN2at6native25elementwise_kernel_helperILb1EN12_GLOBAL__N_110CalcIgammaIfEENS0_6memory8policies11unroll_baseILi512ESt5arrayIPcLm3EE23TrivialOffsetCalculatorILi2EjESB_ILi1EjENS5_12LoadWithCastILi2EEENS5_13StoreWithCastILi1EEELi32ELi1EEEEEvT0_T1_.num_agpr)
	.set _ZN2at6native39vectorized_templated_elementwise_kernelILi4EN12_GLOBAL__N_110CalcIgammaIfEESt5arrayIPcLm3EE23TrivialOffsetCalculatorILi2EjES8_ILi1EjENS0_6memory12LoadWithCastILi2EEENSB_13StoreWithCastILi1EEEfJfN3c104HalfEEEEviT0_T1_T2_T3_T4_T5_.numbered_sgpr, max(57, .L_ZN12_GLOBAL__N_111calc_igammaIfEET_S1_S1_.numbered_sgpr, .L_ZN12_GLOBAL__N_112calc_igammacIfEET_S1_S1_.numbered_sgpr, .L_ZN2at6native25elementwise_kernel_helperILb1EN12_GLOBAL__N_110CalcIgammaIfEENS0_6memory8policies11unroll_baseILi512ESt5arrayIPcLm3EE23TrivialOffsetCalculatorILi2EjESB_ILi1EjENS5_12LoadWithCastILi2EEENS5_13StoreWithCastILi1EEELi32ELi1EEEEEvT0_T1_.numbered_sgpr)
	.set _ZN2at6native39vectorized_templated_elementwise_kernelILi4EN12_GLOBAL__N_110CalcIgammaIfEESt5arrayIPcLm3EE23TrivialOffsetCalculatorILi2EjES8_ILi1EjENS0_6memory12LoadWithCastILi2EEENSB_13StoreWithCastILi1EEEfJfN3c104HalfEEEEviT0_T1_T2_T3_T4_T5_.num_named_barrier, max(0, .L_ZN12_GLOBAL__N_111calc_igammaIfEET_S1_S1_.num_named_barrier, .L_ZN12_GLOBAL__N_112calc_igammacIfEET_S1_S1_.num_named_barrier, .L_ZN2at6native25elementwise_kernel_helperILb1EN12_GLOBAL__N_110CalcIgammaIfEENS0_6memory8policies11unroll_baseILi512ESt5arrayIPcLm3EE23TrivialOffsetCalculatorILi2EjESB_ILi1EjENS5_12LoadWithCastILi2EEENS5_13StoreWithCastILi1EEELi32ELi1EEEEEvT0_T1_.num_named_barrier)
	.set _ZN2at6native39vectorized_templated_elementwise_kernelILi4EN12_GLOBAL__N_110CalcIgammaIfEESt5arrayIPcLm3EE23TrivialOffsetCalculatorILi2EjES8_ILi1EjENS0_6memory12LoadWithCastILi2EEENSB_13StoreWithCastILi1EEEfJfN3c104HalfEEEEviT0_T1_T2_T3_T4_T5_.private_seg_size, 0+max(.L_ZN12_GLOBAL__N_111calc_igammaIfEET_S1_S1_.private_seg_size, .L_ZN12_GLOBAL__N_112calc_igammacIfEET_S1_S1_.private_seg_size, .L_ZN2at6native25elementwise_kernel_helperILb1EN12_GLOBAL__N_110CalcIgammaIfEENS0_6memory8policies11unroll_baseILi512ESt5arrayIPcLm3EE23TrivialOffsetCalculatorILi2EjESB_ILi1EjENS5_12LoadWithCastILi2EEENS5_13StoreWithCastILi1EEELi32ELi1EEEEEvT0_T1_.private_seg_size)
	.set _ZN2at6native39vectorized_templated_elementwise_kernelILi4EN12_GLOBAL__N_110CalcIgammaIfEESt5arrayIPcLm3EE23TrivialOffsetCalculatorILi2EjES8_ILi1EjENS0_6memory12LoadWithCastILi2EEENSB_13StoreWithCastILi1EEEfJfN3c104HalfEEEEviT0_T1_T2_T3_T4_T5_.uses_vcc, or(1, .L_ZN12_GLOBAL__N_111calc_igammaIfEET_S1_S1_.uses_vcc, .L_ZN12_GLOBAL__N_112calc_igammacIfEET_S1_S1_.uses_vcc, .L_ZN2at6native25elementwise_kernel_helperILb1EN12_GLOBAL__N_110CalcIgammaIfEENS0_6memory8policies11unroll_baseILi512ESt5arrayIPcLm3EE23TrivialOffsetCalculatorILi2EjESB_ILi1EjENS5_12LoadWithCastILi2EEENS5_13StoreWithCastILi1EEELi32ELi1EEEEEvT0_T1_.uses_vcc)
	.set _ZN2at6native39vectorized_templated_elementwise_kernelILi4EN12_GLOBAL__N_110CalcIgammaIfEESt5arrayIPcLm3EE23TrivialOffsetCalculatorILi2EjES8_ILi1EjENS0_6memory12LoadWithCastILi2EEENSB_13StoreWithCastILi1EEEfJfN3c104HalfEEEEviT0_T1_T2_T3_T4_T5_.uses_flat_scratch, or(0, .L_ZN12_GLOBAL__N_111calc_igammaIfEET_S1_S1_.uses_flat_scratch, .L_ZN12_GLOBAL__N_112calc_igammacIfEET_S1_S1_.uses_flat_scratch, .L_ZN2at6native25elementwise_kernel_helperILb1EN12_GLOBAL__N_110CalcIgammaIfEENS0_6memory8policies11unroll_baseILi512ESt5arrayIPcLm3EE23TrivialOffsetCalculatorILi2EjESB_ILi1EjENS5_12LoadWithCastILi2EEENS5_13StoreWithCastILi1EEELi32ELi1EEEEEvT0_T1_.uses_flat_scratch)
	.set _ZN2at6native39vectorized_templated_elementwise_kernelILi4EN12_GLOBAL__N_110CalcIgammaIfEESt5arrayIPcLm3EE23TrivialOffsetCalculatorILi2EjES8_ILi1EjENS0_6memory12LoadWithCastILi2EEENSB_13StoreWithCastILi1EEEfJfN3c104HalfEEEEviT0_T1_T2_T3_T4_T5_.has_dyn_sized_stack, or(0, .L_ZN12_GLOBAL__N_111calc_igammaIfEET_S1_S1_.has_dyn_sized_stack, .L_ZN12_GLOBAL__N_112calc_igammacIfEET_S1_S1_.has_dyn_sized_stack, .L_ZN2at6native25elementwise_kernel_helperILb1EN12_GLOBAL__N_110CalcIgammaIfEENS0_6memory8policies11unroll_baseILi512ESt5arrayIPcLm3EE23TrivialOffsetCalculatorILi2EjESB_ILi1EjENS5_12LoadWithCastILi2EEENS5_13StoreWithCastILi1EEELi32ELi1EEEEEvT0_T1_.has_dyn_sized_stack)
	.set _ZN2at6native39vectorized_templated_elementwise_kernelILi4EN12_GLOBAL__N_110CalcIgammaIfEESt5arrayIPcLm3EE23TrivialOffsetCalculatorILi2EjES8_ILi1EjENS0_6memory12LoadWithCastILi2EEENSB_13StoreWithCastILi1EEEfJfN3c104HalfEEEEviT0_T1_T2_T3_T4_T5_.has_recursion, or(0, .L_ZN12_GLOBAL__N_111calc_igammaIfEET_S1_S1_.has_recursion, .L_ZN12_GLOBAL__N_112calc_igammacIfEET_S1_S1_.has_recursion, .L_ZN2at6native25elementwise_kernel_helperILb1EN12_GLOBAL__N_110CalcIgammaIfEENS0_6memory8policies11unroll_baseILi512ESt5arrayIPcLm3EE23TrivialOffsetCalculatorILi2EjESB_ILi1EjENS5_12LoadWithCastILi2EEENS5_13StoreWithCastILi1EEELi32ELi1EEEEEvT0_T1_.has_recursion)
	.set _ZN2at6native39vectorized_templated_elementwise_kernelILi4EN12_GLOBAL__N_110CalcIgammaIfEESt5arrayIPcLm3EE23TrivialOffsetCalculatorILi2EjES8_ILi1EjENS0_6memory12LoadWithCastILi2EEENSB_13StoreWithCastILi1EEEfJfN3c104HalfEEEEviT0_T1_T2_T3_T4_T5_.has_indirect_call, or(0, .L_ZN12_GLOBAL__N_111calc_igammaIfEET_S1_S1_.has_indirect_call, .L_ZN12_GLOBAL__N_112calc_igammacIfEET_S1_S1_.has_indirect_call, .L_ZN2at6native25elementwise_kernel_helperILb1EN12_GLOBAL__N_110CalcIgammaIfEENS0_6memory8policies11unroll_baseILi512ESt5arrayIPcLm3EE23TrivialOffsetCalculatorILi2EjESB_ILi1EjENS5_12LoadWithCastILi2EEENS5_13StoreWithCastILi1EEELi32ELi1EEEEEvT0_T1_.has_indirect_call)
	.section	.AMDGPU.csdata,"",@progbits
; Kernel info:
; codeLenInByte = 2908
; TotalNumSgprs: 98
; NumVgprs: 214
; ScratchSize: 448
; MemoryBound: 0
; FloatMode: 240
; IeeeMode: 1
; LDSByteSize: 1024 bytes/workgroup (compile time only)
; SGPRBlocks: 0
; VGPRBlocks: 13
; NumSGPRsForWavesPerEU: 98
; NumVGPRsForWavesPerEU: 214
; NamedBarCnt: 0
; Occupancy: 4
; WaveLimiterHint : 0
; COMPUTE_PGM_RSRC2:SCRATCH_EN: 1
; COMPUTE_PGM_RSRC2:USER_SGPR: 4
; COMPUTE_PGM_RSRC2:TRAP_HANDLER: 0
; COMPUTE_PGM_RSRC2:TGID_X_EN: 1
; COMPUTE_PGM_RSRC2:TGID_Y_EN: 0
; COMPUTE_PGM_RSRC2:TGID_Z_EN: 0
; COMPUTE_PGM_RSRC2:TIDIG_COMP_CNT: 2
	.section	.text._ZN2at6native39vectorized_templated_elementwise_kernelILi2EN12_GLOBAL__N_110CalcIgammaIfEESt5arrayIPcLm3EE23TrivialOffsetCalculatorILi2EjES8_ILi1EjENS0_6memory12LoadWithCastILi2EEENSB_13StoreWithCastILi1EEEfJfN3c104HalfEEEEviT0_T1_T2_T3_T4_T5_,"axG",@progbits,_ZN2at6native39vectorized_templated_elementwise_kernelILi2EN12_GLOBAL__N_110CalcIgammaIfEESt5arrayIPcLm3EE23TrivialOffsetCalculatorILi2EjES8_ILi1EjENS0_6memory12LoadWithCastILi2EEENSB_13StoreWithCastILi1EEEfJfN3c104HalfEEEEviT0_T1_T2_T3_T4_T5_,comdat
	.globl	_ZN2at6native39vectorized_templated_elementwise_kernelILi2EN12_GLOBAL__N_110CalcIgammaIfEESt5arrayIPcLm3EE23TrivialOffsetCalculatorILi2EjES8_ILi1EjENS0_6memory12LoadWithCastILi2EEENSB_13StoreWithCastILi1EEEfJfN3c104HalfEEEEviT0_T1_T2_T3_T4_T5_ ; -- Begin function _ZN2at6native39vectorized_templated_elementwise_kernelILi2EN12_GLOBAL__N_110CalcIgammaIfEESt5arrayIPcLm3EE23TrivialOffsetCalculatorILi2EjES8_ILi1EjENS0_6memory12LoadWithCastILi2EEENSB_13StoreWithCastILi1EEEfJfN3c104HalfEEEEviT0_T1_T2_T3_T4_T5_
	.p2align	8
	.type	_ZN2at6native39vectorized_templated_elementwise_kernelILi2EN12_GLOBAL__N_110CalcIgammaIfEESt5arrayIPcLm3EE23TrivialOffsetCalculatorILi2EjES8_ILi1EjENS0_6memory12LoadWithCastILi2EEENSB_13StoreWithCastILi1EEEfJfN3c104HalfEEEEviT0_T1_T2_T3_T4_T5_,@function
_ZN2at6native39vectorized_templated_elementwise_kernelILi2EN12_GLOBAL__N_110CalcIgammaIfEESt5arrayIPcLm3EE23TrivialOffsetCalculatorILi2EjES8_ILi1EjENS0_6memory12LoadWithCastILi2EEENSB_13StoreWithCastILi1EEEfJfN3c104HalfEEEEviT0_T1_T2_T3_T4_T5_: ; @_ZN2at6native39vectorized_templated_elementwise_kernelILi2EN12_GLOBAL__N_110CalcIgammaIfEESt5arrayIPcLm3EE23TrivialOffsetCalculatorILi2EjES8_ILi1EjENS0_6memory12LoadWithCastILi2EEENSB_13StoreWithCastILi1EEEfJfN3c104HalfEEEEviT0_T1_T2_T3_T4_T5_
; %bb.0:
	s_mov_b64 s[34:35], s[2:3]
	s_load_b64 s[2:3], s[0:1], 0x4
	s_clause 0x2
	s_load_b64 s[4:5], s[34:35], 0x0
	s_load_b64 s[46:47], s[34:35], 0x18
	s_load_b32 s6, s[34:35], 0x38
	s_wait_xcnt 0x0
	s_bfe_u32 s1, ttmp6, 0x4000c
	s_and_b32 s0, ttmp6, 15
	s_add_co_i32 s1, s1, 1
	s_load_b128 s[36:39], s[34:35], 0x8
	s_mul_i32 s1, ttmp9, s1
	s_getreg_b32 s7, hwreg(HW_REG_IB_STS2, 6, 4)
	s_add_co_i32 s0, s0, s1
	s_mov_b32 s32, 0
	s_wait_kmcnt 0x0
	s_lshr_b32 s2, s2, 16
	s_and_b32 s1, s5, 1
	v_mov_b32_e32 v96, v0
	s_mul_i32 s2, s2, s3
	s_cmp_eq_u32 s7, 0
	s_cselect_b32 s0, ttmp9, s0
	s_delay_alu instid0(VALU_DEP_1) | instskip(SKIP_3) | instid1(VALU_DEP_3)
	v_and_b32_e32 v98, 0x3ff, v96
	v_bfe_u32 v0, v96, 10, 10
	v_bfe_u32 v2, v96, 20, 10
	s_not_b32 s0, s0
	v_mul_lo_u32 v1, s2, v98
	s_delay_alu instid0(VALU_DEP_3) | instskip(SKIP_1) | instid1(SALU_CYCLE_1)
	v_mul_u32_u24_e32 v0, s3, v0
	s_add_co_i32 s6, s6, s0
	s_lshl_b32 s0, s6, 14
	s_delay_alu instid0(SALU_CYCLE_1) | instskip(NEXT) | instid1(SALU_CYCLE_1)
	s_sub_co_i32 s54, s4, s0
	s_cmp_gt_i32 s54, 0x3fff
	s_delay_alu instid0(VALU_DEP_2)
	v_add3_u32 v97, v1, v0, v2
	v_mov_b32_e32 v0, s1
	s_mov_b32 s1, -1
	ds_store_b8 v97, v0
	s_cbranch_scc1 .LBB37_3
; %bb.1:
	s_and_b32 vcc_lo, exec_lo, s1
	s_cbranch_vccnz .LBB37_132
.LBB37_2:
	s_endpgm
.LBB37_3:
	s_ashr_i32 s1, s0, 31
	s_get_pc_i64 s[50:51]
	s_add_nc_u64 s[50:51], s[50:51], _ZN12_GLOBAL__N_111calc_igammaIfEET_S1_S1_@rel64+4
	s_lshl_b64 s[48:49], s[0:1], 2
	s_lshl_b64 s[0:1], s[0:1], 1
	s_add_nc_u64 s[2:3], s[38:39], s[48:49]
	s_add_nc_u64 s[0:1], s[46:47], s[0:1]
	s_clause 0x1f
	global_load_b64 v[56:57], v98, s[2:3] scale_offset
	global_load_b64 v[60:61], v98, s[2:3] offset:4096 scale_offset
	global_load_b64 v[72:73], v98, s[2:3] offset:8192 scale_offset
	;; [unrolled: 1-line block ×15, first 2 shown]
	global_load_b32 v45, v98, s[0:1] scale_offset
	global_load_b32 v113, v98, s[0:1] offset:2048 scale_offset
	global_load_b32 v112, v98, s[0:1] offset:4096 scale_offset
	;; [unrolled: 1-line block ×10, first 2 shown]
	; meta instruction
	global_load_b32 v103, v98, s[0:1] offset:22528 scale_offset
	global_load_b32 v102, v98, s[0:1] offset:24576 scale_offset
	;; [unrolled: 1-line block ×5, first 2 shown]
	ds_load_u8 v0, v97
                                        ; implicit-def: $vgpr44
	s_wait_dscnt 0x0
	v_and_b32_e32 v0, 1, v0
	s_delay_alu instid0(VALU_DEP_1)
	v_cmp_eq_u32_e32 vcc_lo, 1, v0
	ds_store_b8 v97, v0 offset:512
	s_xor_b32 s55, vcc_lo, -1
	s_wait_loadcnt 0xf
	v_cvt_f32_f16_e32 v1, v45
	s_wait_xcnt 0x0
	s_and_saveexec_b32 s0, s55
	s_delay_alu instid0(SALU_CYCLE_1)
	s_xor_b32 s52, exec_lo, s0
	s_cbranch_execz .LBB37_5
; %bb.4:
	v_mov_b32_e32 v0, v56
	s_swap_pc_i64 s[30:31], s[50:51]
	s_delay_alu instid0(VALU_DEP_1)
	v_mov_b32_e32 v44, v0
                                        ; implicit-def: $vgpr1
.LBB37_5:
	s_or_saveexec_b32 s26, s52
	s_get_pc_i64 s[52:53]
	s_add_nc_u64 s[52:53], s[52:53], _ZN12_GLOBAL__N_112calc_igammacIfEET_S1_S1_@rel64+4
	s_xor_b32 exec_lo, exec_lo, s26
	s_cbranch_execz .LBB37_7
; %bb.6:
	v_mov_b32_e32 v0, v56
	s_swap_pc_i64 s[30:31], s[52:53]
	s_delay_alu instid0(VALU_DEP_1)
	v_mov_b32_e32 v44, v0
.LBB37_7:
	s_or_b32 exec_lo, exec_lo, s26
	v_lshrrev_b32_e32 v0, 16, v45
	s_delay_alu instid0(VALU_DEP_1) | instskip(SKIP_1) | instid1(SALU_CYCLE_1)
	v_cvt_f32_f16_e32 v1, v0
	s_and_saveexec_b32 s0, s55
	s_xor_b32 s56, exec_lo, s0
	s_cbranch_execz .LBB37_9
; %bb.8:
	v_mov_b32_e32 v0, v57
	s_swap_pc_i64 s[30:31], s[50:51]
	s_delay_alu instid0(VALU_DEP_1)
	v_mov_b32_e32 v45, v0
                                        ; implicit-def: $vgpr57
                                        ; implicit-def: $vgpr1
.LBB37_9:
	s_and_not1_saveexec_b32 s26, s56
	s_cbranch_execz .LBB37_11
; %bb.10:
	v_mov_b32_e32 v0, v57
	s_swap_pc_i64 s[30:31], s[52:53]
	s_delay_alu instid0(VALU_DEP_1)
	v_mov_b32_e32 v45, v0
.LBB37_11:
	s_or_b32 exec_lo, exec_lo, s26
	s_wait_loadcnt 0xe
	v_cvt_f32_f16_e32 v1, v113
                                        ; implicit-def: $vgpr56
	s_and_saveexec_b32 s0, s55
	s_delay_alu instid0(SALU_CYCLE_1)
	s_xor_b32 s56, exec_lo, s0
	s_cbranch_execz .LBB37_13
; %bb.12:
	v_mov_b32_e32 v0, v60
	s_swap_pc_i64 s[30:31], s[50:51]
	s_delay_alu instid0(VALU_DEP_1)
	v_mov_b32_e32 v56, v0
                                        ; implicit-def: $vgpr1
.LBB37_13:
	s_and_not1_saveexec_b32 s26, s56
	s_cbranch_execz .LBB37_15
; %bb.14:
	v_mov_b32_e32 v0, v60
	s_swap_pc_i64 s[30:31], s[52:53]
	s_delay_alu instid0(VALU_DEP_1)
	v_mov_b32_e32 v56, v0
.LBB37_15:
	s_or_b32 exec_lo, exec_lo, s26
	v_lshrrev_b32_e32 v0, 16, v113
	s_delay_alu instid0(VALU_DEP_1) | instskip(SKIP_1) | instid1(SALU_CYCLE_1)
	v_cvt_f32_f16_e32 v1, v0
	s_and_saveexec_b32 s0, s55
	s_xor_b32 s56, exec_lo, s0
	s_cbranch_execz .LBB37_17
; %bb.16:
	v_mov_b32_e32 v0, v61
	s_swap_pc_i64 s[30:31], s[50:51]
	s_delay_alu instid0(VALU_DEP_1)
	v_mov_b32_e32 v57, v0
                                        ; implicit-def: $vgpr61
                                        ; implicit-def: $vgpr1
.LBB37_17:
	s_and_not1_saveexec_b32 s26, s56
	s_cbranch_execz .LBB37_19
; %bb.18:
	v_mov_b32_e32 v0, v61
	s_swap_pc_i64 s[30:31], s[52:53]
	s_delay_alu instid0(VALU_DEP_1)
	v_mov_b32_e32 v57, v0
.LBB37_19:
	s_or_b32 exec_lo, exec_lo, s26
	s_wait_loadcnt 0xd
	v_cvt_f32_f16_e32 v1, v112
                                        ; implicit-def: $vgpr60
	s_and_saveexec_b32 s0, s55
	s_delay_alu instid0(SALU_CYCLE_1)
	s_xor_b32 s56, exec_lo, s0
	s_cbranch_execz .LBB37_21
; %bb.20:
	v_mov_b32_e32 v0, v72
	s_swap_pc_i64 s[30:31], s[50:51]
	s_delay_alu instid0(VALU_DEP_1)
	v_mov_b32_e32 v60, v0
                                        ; implicit-def: $vgpr1
.LBB37_21:
	s_and_not1_saveexec_b32 s26, s56
	s_cbranch_execz .LBB37_23
; %bb.22:
	v_mov_b32_e32 v0, v72
	s_swap_pc_i64 s[30:31], s[52:53]
	s_delay_alu instid0(VALU_DEP_1)
	v_mov_b32_e32 v60, v0
.LBB37_23:
	s_or_b32 exec_lo, exec_lo, s26
	v_lshrrev_b32_e32 v0, 16, v112
	s_delay_alu instid0(VALU_DEP_1) | instskip(SKIP_1) | instid1(SALU_CYCLE_1)
	v_cvt_f32_f16_e32 v1, v0
	s_and_saveexec_b32 s0, s55
	s_xor_b32 s56, exec_lo, s0
	s_cbranch_execz .LBB37_25
; %bb.24:
	v_mov_b32_e32 v0, v73
	s_swap_pc_i64 s[30:31], s[50:51]
	s_delay_alu instid0(VALU_DEP_1)
	v_mov_b32_e32 v61, v0
                                        ; implicit-def: $vgpr73
                                        ; implicit-def: $vgpr1
.LBB37_25:
	s_and_not1_saveexec_b32 s26, s56
	s_cbranch_execz .LBB37_27
; %bb.26:
	v_mov_b32_e32 v0, v73
	s_swap_pc_i64 s[30:31], s[52:53]
	s_delay_alu instid0(VALU_DEP_1)
	v_mov_b32_e32 v61, v0
.LBB37_27:
	s_or_b32 exec_lo, exec_lo, s26
	s_wait_loadcnt 0xc
	v_cvt_f32_f16_e32 v1, v111
                                        ; implicit-def: $vgpr72
	s_and_saveexec_b32 s0, s55
	s_delay_alu instid0(SALU_CYCLE_1)
	s_xor_b32 s56, exec_lo, s0
	s_cbranch_execz .LBB37_29
; %bb.28:
	v_mov_b32_e32 v0, v76
	s_swap_pc_i64 s[30:31], s[50:51]
	s_delay_alu instid0(VALU_DEP_1)
	v_mov_b32_e32 v72, v0
                                        ; implicit-def: $vgpr1
.LBB37_29:
	s_and_not1_saveexec_b32 s26, s56
	s_cbranch_execz .LBB37_31
; %bb.30:
	v_mov_b32_e32 v0, v76
	s_swap_pc_i64 s[30:31], s[52:53]
	s_delay_alu instid0(VALU_DEP_1)
	v_mov_b32_e32 v72, v0
.LBB37_31:
	s_or_b32 exec_lo, exec_lo, s26
	v_lshrrev_b32_e32 v0, 16, v111
	s_delay_alu instid0(VALU_DEP_1) | instskip(SKIP_1) | instid1(SALU_CYCLE_1)
	v_cvt_f32_f16_e32 v1, v0
	s_and_saveexec_b32 s0, s55
	s_xor_b32 s56, exec_lo, s0
	s_cbranch_execz .LBB37_33
; %bb.32:
	v_mov_b32_e32 v0, v77
	s_swap_pc_i64 s[30:31], s[50:51]
	s_delay_alu instid0(VALU_DEP_1)
	v_mov_b32_e32 v73, v0
                                        ; implicit-def: $vgpr77
                                        ; implicit-def: $vgpr1
.LBB37_33:
	s_and_not1_saveexec_b32 s26, s56
	s_cbranch_execz .LBB37_35
; %bb.34:
	v_mov_b32_e32 v0, v77
	s_swap_pc_i64 s[30:31], s[52:53]
	s_delay_alu instid0(VALU_DEP_1)
	v_mov_b32_e32 v73, v0
.LBB37_35:
	s_or_b32 exec_lo, exec_lo, s26
	s_wait_loadcnt 0xb
	v_cvt_f32_f16_e32 v1, v110
                                        ; implicit-def: $vgpr76
	s_and_saveexec_b32 s0, s55
	s_delay_alu instid0(SALU_CYCLE_1)
	s_xor_b32 s56, exec_lo, s0
	s_cbranch_execz .LBB37_37
; %bb.36:
	v_mov_b32_e32 v0, v84
	s_swap_pc_i64 s[30:31], s[50:51]
	s_delay_alu instid0(VALU_DEP_1)
	v_mov_b32_e32 v76, v0
                                        ; implicit-def: $vgpr1
.LBB37_37:
	s_and_not1_saveexec_b32 s26, s56
	s_cbranch_execz .LBB37_39
; %bb.38:
	v_mov_b32_e32 v0, v84
	s_swap_pc_i64 s[30:31], s[52:53]
	s_delay_alu instid0(VALU_DEP_1)
	v_mov_b32_e32 v76, v0
.LBB37_39:
	s_or_b32 exec_lo, exec_lo, s26
	v_lshrrev_b32_e32 v0, 16, v110
	s_delay_alu instid0(VALU_DEP_1) | instskip(SKIP_1) | instid1(SALU_CYCLE_1)
	v_cvt_f32_f16_e32 v1, v0
	s_and_saveexec_b32 s0, s55
	s_xor_b32 s56, exec_lo, s0
	s_cbranch_execz .LBB37_41
; %bb.40:
	v_mov_b32_e32 v0, v85
	s_swap_pc_i64 s[30:31], s[50:51]
	s_delay_alu instid0(VALU_DEP_1)
	v_mov_b32_e32 v77, v0
                                        ; implicit-def: $vgpr85
                                        ; implicit-def: $vgpr1
.LBB37_41:
	s_and_not1_saveexec_b32 s26, s56
	s_cbranch_execz .LBB37_43
; %bb.42:
	v_mov_b32_e32 v0, v85
	s_swap_pc_i64 s[30:31], s[52:53]
	s_delay_alu instid0(VALU_DEP_1)
	v_mov_b32_e32 v77, v0
.LBB37_43:
	s_or_b32 exec_lo, exec_lo, s26
	s_wait_loadcnt 0xa
	v_cvt_f32_f16_e32 v1, v109
                                        ; implicit-def: $vgpr84
	s_and_saveexec_b32 s0, s55
	s_delay_alu instid0(SALU_CYCLE_1)
	s_xor_b32 s56, exec_lo, s0
	s_cbranch_execz .LBB37_45
; %bb.44:
	v_mov_b32_e32 v0, v88
	s_swap_pc_i64 s[30:31], s[50:51]
	s_delay_alu instid0(VALU_DEP_1)
	v_mov_b32_e32 v84, v0
                                        ; implicit-def: $vgpr1
.LBB37_45:
	s_and_not1_saveexec_b32 s26, s56
	s_cbranch_execz .LBB37_47
; %bb.46:
	v_mov_b32_e32 v0, v88
	s_swap_pc_i64 s[30:31], s[52:53]
	s_delay_alu instid0(VALU_DEP_1)
	v_mov_b32_e32 v84, v0
.LBB37_47:
	s_or_b32 exec_lo, exec_lo, s26
	v_lshrrev_b32_e32 v0, 16, v109
	s_delay_alu instid0(VALU_DEP_1) | instskip(SKIP_1) | instid1(SALU_CYCLE_1)
	v_cvt_f32_f16_e32 v1, v0
	s_and_saveexec_b32 s0, s55
	s_xor_b32 s56, exec_lo, s0
	s_cbranch_execz .LBB37_49
; %bb.48:
	v_mov_b32_e32 v0, v89
	s_swap_pc_i64 s[30:31], s[50:51]
	s_delay_alu instid0(VALU_DEP_1)
	v_mov_b32_e32 v85, v0
                                        ; implicit-def: $vgpr89
                                        ; implicit-def: $vgpr1
.LBB37_49:
	s_and_not1_saveexec_b32 s26, s56
	s_cbranch_execz .LBB37_51
; %bb.50:
	v_mov_b32_e32 v0, v89
	s_swap_pc_i64 s[30:31], s[52:53]
	s_delay_alu instid0(VALU_DEP_1)
	v_mov_b32_e32 v85, v0
.LBB37_51:
	s_or_b32 exec_lo, exec_lo, s26
	s_wait_loadcnt 0x9
	v_cvt_f32_f16_e32 v1, v108
                                        ; implicit-def: $vgpr88
	s_and_saveexec_b32 s0, s55
	s_delay_alu instid0(SALU_CYCLE_1)
	s_xor_b32 s56, exec_lo, s0
	s_cbranch_execz .LBB37_53
; %bb.52:
	v_mov_b32_e32 v0, v92
	s_swap_pc_i64 s[30:31], s[50:51]
	s_delay_alu instid0(VALU_DEP_1)
	v_mov_b32_e32 v88, v0
                                        ; implicit-def: $vgpr1
.LBB37_53:
	s_and_not1_saveexec_b32 s26, s56
	s_cbranch_execz .LBB37_55
; %bb.54:
	v_mov_b32_e32 v0, v92
	s_swap_pc_i64 s[30:31], s[52:53]
	s_delay_alu instid0(VALU_DEP_1)
	v_mov_b32_e32 v88, v0
.LBB37_55:
	s_or_b32 exec_lo, exec_lo, s26
	v_lshrrev_b32_e32 v0, 16, v108
	s_delay_alu instid0(VALU_DEP_1) | instskip(SKIP_1) | instid1(SALU_CYCLE_1)
	v_cvt_f32_f16_e32 v1, v0
	s_and_saveexec_b32 s0, s55
	s_xor_b32 s56, exec_lo, s0
	s_cbranch_execz .LBB37_57
; %bb.56:
	v_mov_b32_e32 v0, v93
	s_swap_pc_i64 s[30:31], s[50:51]
	s_delay_alu instid0(VALU_DEP_1)
	v_mov_b32_e32 v89, v0
                                        ; implicit-def: $vgpr93
                                        ; implicit-def: $vgpr1
.LBB37_57:
	s_and_not1_saveexec_b32 s26, s56
	s_cbranch_execz .LBB37_59
; %bb.58:
	v_mov_b32_e32 v0, v93
	s_swap_pc_i64 s[30:31], s[52:53]
	s_delay_alu instid0(VALU_DEP_1)
	v_mov_b32_e32 v89, v0
.LBB37_59:
	s_or_b32 exec_lo, exec_lo, s26
	s_wait_loadcnt 0x8
	v_cvt_f32_f16_e32 v1, v107
                                        ; implicit-def: $vgpr92
	s_and_saveexec_b32 s0, s55
	s_delay_alu instid0(SALU_CYCLE_1)
	s_xor_b32 s56, exec_lo, s0
	s_cbranch_execz .LBB37_61
; %bb.60:
	v_mov_b32_e32 v0, v94
	s_swap_pc_i64 s[30:31], s[50:51]
	s_delay_alu instid0(VALU_DEP_1)
	v_mov_b32_e32 v92, v0
                                        ; implicit-def: $vgpr1
.LBB37_61:
	s_and_not1_saveexec_b32 s26, s56
	s_cbranch_execz .LBB37_63
; %bb.62:
	v_mov_b32_e32 v0, v94
	s_swap_pc_i64 s[30:31], s[52:53]
	s_delay_alu instid0(VALU_DEP_1)
	v_mov_b32_e32 v92, v0
.LBB37_63:
	s_or_b32 exec_lo, exec_lo, s26
	v_lshrrev_b32_e32 v0, 16, v107
	s_delay_alu instid0(VALU_DEP_1) | instskip(SKIP_1) | instid1(SALU_CYCLE_1)
	v_cvt_f32_f16_e32 v1, v0
	s_and_saveexec_b32 s0, s55
	s_xor_b32 s56, exec_lo, s0
	s_cbranch_execz .LBB37_65
; %bb.64:
	v_mov_b32_e32 v0, v95
	s_swap_pc_i64 s[30:31], s[50:51]
	s_delay_alu instid0(VALU_DEP_1)
	v_mov_b32_e32 v93, v0
                                        ; implicit-def: $vgpr95
                                        ; implicit-def: $vgpr1
.LBB37_65:
	s_and_not1_saveexec_b32 s26, s56
	s_cbranch_execz .LBB37_67
; %bb.66:
	v_mov_b32_e32 v0, v95
	s_swap_pc_i64 s[30:31], s[52:53]
	s_delay_alu instid0(VALU_DEP_1)
	v_mov_b32_e32 v93, v0
.LBB37_67:
	s_or_b32 exec_lo, exec_lo, s26
	s_wait_loadcnt 0x7
	v_cvt_f32_f16_e32 v1, v106
                                        ; implicit-def: $vgpr94
	s_and_saveexec_b32 s0, s55
	s_delay_alu instid0(SALU_CYCLE_1)
	s_xor_b32 s56, exec_lo, s0
	s_cbranch_execz .LBB37_69
; %bb.68:
	v_mov_b32_e32 v0, v90
	s_swap_pc_i64 s[30:31], s[50:51]
	s_delay_alu instid0(VALU_DEP_1)
	v_mov_b32_e32 v94, v0
                                        ; implicit-def: $vgpr1
.LBB37_69:
	s_and_not1_saveexec_b32 s26, s56
	s_cbranch_execz .LBB37_71
; %bb.70:
	v_mov_b32_e32 v0, v90
	s_swap_pc_i64 s[30:31], s[52:53]
	s_delay_alu instid0(VALU_DEP_1)
	v_mov_b32_e32 v94, v0
.LBB37_71:
	s_or_b32 exec_lo, exec_lo, s26
	v_lshrrev_b32_e32 v0, 16, v106
	s_delay_alu instid0(VALU_DEP_1) | instskip(SKIP_1) | instid1(SALU_CYCLE_1)
	v_cvt_f32_f16_e32 v1, v0
	s_and_saveexec_b32 s0, s55
	s_xor_b32 s56, exec_lo, s0
	s_cbranch_execz .LBB37_73
; %bb.72:
	v_mov_b32_e32 v0, v91
	s_swap_pc_i64 s[30:31], s[50:51]
	s_delay_alu instid0(VALU_DEP_1)
	v_mov_b32_e32 v95, v0
                                        ; implicit-def: $vgpr91
                                        ; implicit-def: $vgpr1
.LBB37_73:
	s_and_not1_saveexec_b32 s26, s56
	s_cbranch_execz .LBB37_75
; %bb.74:
	v_mov_b32_e32 v0, v91
	s_swap_pc_i64 s[30:31], s[52:53]
	s_delay_alu instid0(VALU_DEP_1)
	v_mov_b32_e32 v95, v0
.LBB37_75:
	s_or_b32 exec_lo, exec_lo, s26
	s_wait_loadcnt 0x6
	v_cvt_f32_f16_e32 v1, v105
                                        ; implicit-def: $vgpr90
	s_and_saveexec_b32 s0, s55
	s_delay_alu instid0(SALU_CYCLE_1)
	s_xor_b32 s56, exec_lo, s0
	s_cbranch_execz .LBB37_77
; %bb.76:
	v_mov_b32_e32 v0, v86
	s_swap_pc_i64 s[30:31], s[50:51]
	s_delay_alu instid0(VALU_DEP_1)
	v_mov_b32_e32 v90, v0
                                        ; implicit-def: $vgpr1
.LBB37_77:
	s_and_not1_saveexec_b32 s26, s56
	s_cbranch_execz .LBB37_79
; %bb.78:
	v_mov_b32_e32 v0, v86
	s_swap_pc_i64 s[30:31], s[52:53]
	s_delay_alu instid0(VALU_DEP_1)
	v_mov_b32_e32 v90, v0
.LBB37_79:
	s_or_b32 exec_lo, exec_lo, s26
	v_lshrrev_b32_e32 v0, 16, v105
	s_delay_alu instid0(VALU_DEP_1) | instskip(SKIP_1) | instid1(SALU_CYCLE_1)
	v_cvt_f32_f16_e32 v1, v0
	s_and_saveexec_b32 s0, s55
	s_xor_b32 s56, exec_lo, s0
	s_cbranch_execz .LBB37_81
; %bb.80:
	v_mov_b32_e32 v0, v87
	s_swap_pc_i64 s[30:31], s[50:51]
	s_delay_alu instid0(VALU_DEP_1)
	v_mov_b32_e32 v91, v0
                                        ; implicit-def: $vgpr87
                                        ; implicit-def: $vgpr1
.LBB37_81:
	s_and_not1_saveexec_b32 s26, s56
	s_cbranch_execz .LBB37_83
; %bb.82:
	v_mov_b32_e32 v0, v87
	s_swap_pc_i64 s[30:31], s[52:53]
	s_delay_alu instid0(VALU_DEP_1)
	v_mov_b32_e32 v91, v0
.LBB37_83:
	s_or_b32 exec_lo, exec_lo, s26
	s_wait_loadcnt 0x5
	v_cvt_f32_f16_e32 v1, v104
                                        ; implicit-def: $vgpr86
	s_and_saveexec_b32 s0, s55
	s_delay_alu instid0(SALU_CYCLE_1)
	s_xor_b32 s56, exec_lo, s0
	s_cbranch_execz .LBB37_85
; %bb.84:
	v_mov_b32_e32 v0, v78
	s_swap_pc_i64 s[30:31], s[50:51]
	s_delay_alu instid0(VALU_DEP_1)
	v_mov_b32_e32 v86, v0
                                        ; implicit-def: $vgpr1
.LBB37_85:
	s_and_not1_saveexec_b32 s26, s56
	s_cbranch_execz .LBB37_87
; %bb.86:
	v_mov_b32_e32 v0, v78
	s_swap_pc_i64 s[30:31], s[52:53]
	s_delay_alu instid0(VALU_DEP_1)
	v_mov_b32_e32 v86, v0
.LBB37_87:
	s_or_b32 exec_lo, exec_lo, s26
	v_lshrrev_b32_e32 v0, 16, v104
	s_delay_alu instid0(VALU_DEP_1) | instskip(SKIP_1) | instid1(SALU_CYCLE_1)
	v_cvt_f32_f16_e32 v1, v0
	s_and_saveexec_b32 s0, s55
	s_xor_b32 s56, exec_lo, s0
	s_cbranch_execz .LBB37_89
; %bb.88:
	v_mov_b32_e32 v0, v79
	s_swap_pc_i64 s[30:31], s[50:51]
	s_delay_alu instid0(VALU_DEP_1)
	v_mov_b32_e32 v87, v0
                                        ; implicit-def: $vgpr79
                                        ; implicit-def: $vgpr1
.LBB37_89:
	s_and_not1_saveexec_b32 s26, s56
	s_cbranch_execz .LBB37_91
; %bb.90:
	v_mov_b32_e32 v0, v79
	s_swap_pc_i64 s[30:31], s[52:53]
	s_delay_alu instid0(VALU_DEP_1)
	v_mov_b32_e32 v87, v0
.LBB37_91:
	s_or_b32 exec_lo, exec_lo, s26
	s_wait_loadcnt 0x4
	v_cvt_f32_f16_e32 v1, v103
                                        ; implicit-def: $vgpr78
	s_and_saveexec_b32 s0, s55
	s_delay_alu instid0(SALU_CYCLE_1)
	s_xor_b32 s56, exec_lo, s0
	s_cbranch_execz .LBB37_93
; %bb.92:
	v_mov_b32_e32 v0, v74
	s_swap_pc_i64 s[30:31], s[50:51]
	s_delay_alu instid0(VALU_DEP_1)
	v_mov_b32_e32 v78, v0
                                        ; implicit-def: $vgpr1
.LBB37_93:
	s_and_not1_saveexec_b32 s26, s56
	s_cbranch_execz .LBB37_95
; %bb.94:
	v_mov_b32_e32 v0, v74
	s_swap_pc_i64 s[30:31], s[52:53]
	s_delay_alu instid0(VALU_DEP_1)
	v_mov_b32_e32 v78, v0
.LBB37_95:
	s_or_b32 exec_lo, exec_lo, s26
	v_lshrrev_b32_e32 v0, 16, v103
	s_delay_alu instid0(VALU_DEP_1) | instskip(SKIP_1) | instid1(SALU_CYCLE_1)
	v_cvt_f32_f16_e32 v1, v0
	s_and_saveexec_b32 s0, s55
	s_xor_b32 s56, exec_lo, s0
	s_cbranch_execz .LBB37_97
; %bb.96:
	v_mov_b32_e32 v0, v75
	s_swap_pc_i64 s[30:31], s[50:51]
	s_delay_alu instid0(VALU_DEP_1)
	v_mov_b32_e32 v79, v0
                                        ; implicit-def: $vgpr75
                                        ; implicit-def: $vgpr1
.LBB37_97:
	s_and_not1_saveexec_b32 s26, s56
	s_cbranch_execz .LBB37_99
; %bb.98:
	v_mov_b32_e32 v0, v75
	s_swap_pc_i64 s[30:31], s[52:53]
	s_delay_alu instid0(VALU_DEP_1)
	v_mov_b32_e32 v79, v0
.LBB37_99:
	s_or_b32 exec_lo, exec_lo, s26
	s_wait_loadcnt 0x3
	v_cvt_f32_f16_e32 v1, v102
                                        ; implicit-def: $vgpr74
	s_and_saveexec_b32 s0, s55
	s_delay_alu instid0(SALU_CYCLE_1)
	s_xor_b32 s56, exec_lo, s0
	s_cbranch_execz .LBB37_101
; %bb.100:
	v_mov_b32_e32 v0, v62
	s_swap_pc_i64 s[30:31], s[50:51]
	s_delay_alu instid0(VALU_DEP_1)
	v_mov_b32_e32 v74, v0
                                        ; implicit-def: $vgpr1
.LBB37_101:
	s_and_not1_saveexec_b32 s26, s56
	s_cbranch_execz .LBB37_103
; %bb.102:
	v_mov_b32_e32 v0, v62
	s_swap_pc_i64 s[30:31], s[52:53]
	s_delay_alu instid0(VALU_DEP_1)
	v_mov_b32_e32 v74, v0
.LBB37_103:
	s_or_b32 exec_lo, exec_lo, s26
	v_lshrrev_b32_e32 v0, 16, v102
	s_delay_alu instid0(VALU_DEP_1) | instskip(SKIP_1) | instid1(SALU_CYCLE_1)
	v_cvt_f32_f16_e32 v1, v0
	s_and_saveexec_b32 s0, s55
	s_xor_b32 s56, exec_lo, s0
	s_cbranch_execz .LBB37_105
; %bb.104:
	v_mov_b32_e32 v0, v63
	s_swap_pc_i64 s[30:31], s[50:51]
	s_delay_alu instid0(VALU_DEP_1)
	v_mov_b32_e32 v75, v0
                                        ; implicit-def: $vgpr63
                                        ; implicit-def: $vgpr1
.LBB37_105:
	s_and_not1_saveexec_b32 s26, s56
	s_cbranch_execz .LBB37_107
; %bb.106:
	v_mov_b32_e32 v0, v63
	s_swap_pc_i64 s[30:31], s[52:53]
	s_delay_alu instid0(VALU_DEP_1)
	v_mov_b32_e32 v75, v0
.LBB37_107:
	s_or_b32 exec_lo, exec_lo, s26
	s_wait_loadcnt 0x2
	v_cvt_f32_f16_e32 v1, v101
                                        ; implicit-def: $vgpr62
	s_and_saveexec_b32 s0, s55
	s_delay_alu instid0(SALU_CYCLE_1)
	s_xor_b32 s56, exec_lo, s0
	s_cbranch_execz .LBB37_109
; %bb.108:
	v_mov_b32_e32 v0, v58
	s_swap_pc_i64 s[30:31], s[50:51]
	s_delay_alu instid0(VALU_DEP_1)
	v_mov_b32_e32 v62, v0
                                        ; implicit-def: $vgpr1
.LBB37_109:
	s_and_not1_saveexec_b32 s26, s56
	s_cbranch_execz .LBB37_111
; %bb.110:
	v_mov_b32_e32 v0, v58
	s_swap_pc_i64 s[30:31], s[52:53]
	s_delay_alu instid0(VALU_DEP_1)
	v_mov_b32_e32 v62, v0
.LBB37_111:
	s_or_b32 exec_lo, exec_lo, s26
	v_lshrrev_b32_e32 v0, 16, v101
	s_delay_alu instid0(VALU_DEP_1) | instskip(SKIP_1) | instid1(SALU_CYCLE_1)
	v_cvt_f32_f16_e32 v1, v0
	s_and_saveexec_b32 s0, s55
	s_xor_b32 s56, exec_lo, s0
	s_cbranch_execz .LBB37_113
; %bb.112:
	v_mov_b32_e32 v0, v59
	s_swap_pc_i64 s[30:31], s[50:51]
	s_delay_alu instid0(VALU_DEP_1)
	v_mov_b32_e32 v63, v0
                                        ; implicit-def: $vgpr59
                                        ; implicit-def: $vgpr1
.LBB37_113:
	s_and_not1_saveexec_b32 s26, s56
	s_cbranch_execz .LBB37_115
; %bb.114:
	v_mov_b32_e32 v0, v59
	s_swap_pc_i64 s[30:31], s[52:53]
	s_delay_alu instid0(VALU_DEP_1)
	v_mov_b32_e32 v63, v0
.LBB37_115:
	s_or_b32 exec_lo, exec_lo, s26
	s_wait_loadcnt 0x1
	v_cvt_f32_f16_e32 v1, v100
                                        ; implicit-def: $vgpr58
	s_and_saveexec_b32 s0, s55
	s_delay_alu instid0(SALU_CYCLE_1)
	s_xor_b32 s56, exec_lo, s0
	s_cbranch_execz .LBB37_117
; %bb.116:
	v_mov_b32_e32 v0, v46
	s_swap_pc_i64 s[30:31], s[50:51]
	s_delay_alu instid0(VALU_DEP_1)
	v_mov_b32_e32 v58, v0
                                        ; implicit-def: $vgpr1
.LBB37_117:
	s_and_not1_saveexec_b32 s26, s56
	s_cbranch_execz .LBB37_119
; %bb.118:
	v_mov_b32_e32 v0, v46
	s_swap_pc_i64 s[30:31], s[52:53]
	s_delay_alu instid0(VALU_DEP_1)
	v_mov_b32_e32 v58, v0
.LBB37_119:
	s_or_b32 exec_lo, exec_lo, s26
	v_lshrrev_b32_e32 v0, 16, v100
	s_delay_alu instid0(VALU_DEP_1) | instskip(SKIP_1) | instid1(SALU_CYCLE_1)
	v_cvt_f32_f16_e32 v1, v0
	s_and_saveexec_b32 s0, s55
	s_xor_b32 s56, exec_lo, s0
	s_cbranch_execz .LBB37_121
; %bb.120:
	v_mov_b32_e32 v0, v47
	s_swap_pc_i64 s[30:31], s[50:51]
	s_delay_alu instid0(VALU_DEP_1)
	v_mov_b32_e32 v59, v0
                                        ; implicit-def: $vgpr47
                                        ; implicit-def: $vgpr1
.LBB37_121:
	s_and_not1_saveexec_b32 s26, s56
	s_cbranch_execz .LBB37_123
; %bb.122:
	v_mov_b32_e32 v0, v47
	s_swap_pc_i64 s[30:31], s[52:53]
	s_delay_alu instid0(VALU_DEP_1)
	v_mov_b32_e32 v59, v0
.LBB37_123:
	s_or_b32 exec_lo, exec_lo, s26
	s_wait_loadcnt 0x0
	v_cvt_f32_f16_e32 v1, v99
                                        ; implicit-def: $vgpr46
	s_and_saveexec_b32 s0, s55
	s_delay_alu instid0(SALU_CYCLE_1)
	s_xor_b32 s56, exec_lo, s0
	s_cbranch_execz .LBB37_125
; %bb.124:
	v_mov_b32_e32 v0, v42
	s_swap_pc_i64 s[30:31], s[50:51]
	s_delay_alu instid0(VALU_DEP_1)
	v_mov_b32_e32 v46, v0
                                        ; implicit-def: $vgpr1
.LBB37_125:
	s_and_not1_saveexec_b32 s26, s56
	s_cbranch_execz .LBB37_127
; %bb.126:
	v_mov_b32_e32 v0, v42
	s_swap_pc_i64 s[30:31], s[52:53]
	s_delay_alu instid0(VALU_DEP_1)
	v_mov_b32_e32 v46, v0
.LBB37_127:
	s_or_b32 exec_lo, exec_lo, s26
	v_lshrrev_b32_e32 v0, 16, v99
	s_delay_alu instid0(VALU_DEP_1) | instskip(SKIP_1) | instid1(SALU_CYCLE_1)
	v_cvt_f32_f16_e32 v1, v0
	s_and_saveexec_b32 s0, s55
	s_xor_b32 s55, exec_lo, s0
	s_cbranch_execz .LBB37_129
; %bb.128:
	v_mov_b32_e32 v0, v43
	s_swap_pc_i64 s[30:31], s[50:51]
	s_delay_alu instid0(VALU_DEP_1)
	v_mov_b32_e32 v47, v0
                                        ; implicit-def: $vgpr43
                                        ; implicit-def: $vgpr1
.LBB37_129:
	s_and_not1_saveexec_b32 s26, s55
	s_cbranch_execz .LBB37_131
; %bb.130:
	v_mov_b32_e32 v0, v43
	s_swap_pc_i64 s[30:31], s[52:53]
	s_delay_alu instid0(VALU_DEP_1)
	v_mov_b32_e32 v47, v0
.LBB37_131:
	s_or_b32 exec_lo, exec_lo, s26
	s_add_nc_u64 s[2:3], s[36:37], s[48:49]
	s_clause 0xf
	global_store_b64 v98, v[44:45], s[2:3] scale_offset
	global_store_b64 v98, v[56:57], s[2:3] offset:4096 scale_offset
	global_store_b64 v98, v[60:61], s[2:3] offset:8192 scale_offset
	;; [unrolled: 1-line block ×15, first 2 shown]
	s_branch .LBB37_2
.LBB37_132:
	s_clause 0x1
	s_load_b32 s6, s[34:35], 0x24
	s_load_b128 s[0:3], s[34:35], 0x28
	ds_load_u8 v0, v97
	v_dual_mov_b32 v31, v96 :: v_dual_mov_b32 v1, s36
	v_dual_mov_b32 v2, s37 :: v_dual_mov_b32 v3, s38
	;; [unrolled: 1-line block ×4, first 2 shown]
	s_add_nc_u64 s[8:9], s[34:35], 56
	s_get_pc_i64 s[4:5]
	s_add_nc_u64 s[4:5], s[4:5], _ZN2at6native25elementwise_kernel_helperILb1EN12_GLOBAL__N_110CalcIgammaIfEENS0_6memory8policies11unroll_baseILi512ESt5arrayIPcLm3EE23TrivialOffsetCalculatorILi2EjESB_ILi1EjENS5_12LoadWithCastILi2EEENS5_13StoreWithCastILi1EEELi32ELi1EEEEEvT0_T1_@rel64+4
	s_wait_kmcnt 0x0
	s_bfe_u32 s7, s6, 0x80008
	v_dual_mov_b32 v8, s6 :: v_dual_mov_b32 v10, s0
	v_dual_mov_b32 v11, s1 :: v_dual_mov_b32 v12, s2
	;; [unrolled: 1-line block ×3, first 2 shown]
	s_swap_pc_i64 s[30:31], s[4:5]
	s_endpgm
	.section	.rodata,"a",@progbits
	.p2align	6, 0x0
	.amdhsa_kernel _ZN2at6native39vectorized_templated_elementwise_kernelILi2EN12_GLOBAL__N_110CalcIgammaIfEESt5arrayIPcLm3EE23TrivialOffsetCalculatorILi2EjES8_ILi1EjENS0_6memory12LoadWithCastILi2EEENSB_13StoreWithCastILi1EEEfJfN3c104HalfEEEEviT0_T1_T2_T3_T4_T5_
		.amdhsa_group_segment_fixed_size 1024
		.amdhsa_private_segment_fixed_size 448
		.amdhsa_kernarg_size 312
		.amdhsa_user_sgpr_count 4
		.amdhsa_user_sgpr_dispatch_ptr 1
		.amdhsa_user_sgpr_queue_ptr 0
		.amdhsa_user_sgpr_kernarg_segment_ptr 1
		.amdhsa_user_sgpr_dispatch_id 0
		.amdhsa_user_sgpr_kernarg_preload_length 0
		.amdhsa_user_sgpr_kernarg_preload_offset 0
		.amdhsa_user_sgpr_private_segment_size 0
		.amdhsa_wavefront_size32 1
		.amdhsa_uses_dynamic_stack 0
		.amdhsa_enable_private_segment 1
		.amdhsa_system_sgpr_workgroup_id_x 1
		.amdhsa_system_sgpr_workgroup_id_y 0
		.amdhsa_system_sgpr_workgroup_id_z 0
		.amdhsa_system_sgpr_workgroup_info 0
		.amdhsa_system_vgpr_workitem_id 2
		.amdhsa_next_free_vgpr 214
		.amdhsa_next_free_sgpr 96
		.amdhsa_named_barrier_count 0
		.amdhsa_reserve_vcc 1
		.amdhsa_float_round_mode_32 0
		.amdhsa_float_round_mode_16_64 0
		.amdhsa_float_denorm_mode_32 3
		.amdhsa_float_denorm_mode_16_64 3
		.amdhsa_fp16_overflow 0
		.amdhsa_memory_ordered 1
		.amdhsa_forward_progress 1
		.amdhsa_inst_pref_size 26
		.amdhsa_round_robin_scheduling 0
		.amdhsa_exception_fp_ieee_invalid_op 0
		.amdhsa_exception_fp_denorm_src 0
		.amdhsa_exception_fp_ieee_div_zero 0
		.amdhsa_exception_fp_ieee_overflow 0
		.amdhsa_exception_fp_ieee_underflow 0
		.amdhsa_exception_fp_ieee_inexact 0
		.amdhsa_exception_int_div_zero 0
	.end_amdhsa_kernel
	.section	.text._ZN2at6native39vectorized_templated_elementwise_kernelILi2EN12_GLOBAL__N_110CalcIgammaIfEESt5arrayIPcLm3EE23TrivialOffsetCalculatorILi2EjES8_ILi1EjENS0_6memory12LoadWithCastILi2EEENSB_13StoreWithCastILi1EEEfJfN3c104HalfEEEEviT0_T1_T2_T3_T4_T5_,"axG",@progbits,_ZN2at6native39vectorized_templated_elementwise_kernelILi2EN12_GLOBAL__N_110CalcIgammaIfEESt5arrayIPcLm3EE23TrivialOffsetCalculatorILi2EjES8_ILi1EjENS0_6memory12LoadWithCastILi2EEENSB_13StoreWithCastILi1EEEfJfN3c104HalfEEEEviT0_T1_T2_T3_T4_T5_,comdat
.Lfunc_end37:
	.size	_ZN2at6native39vectorized_templated_elementwise_kernelILi2EN12_GLOBAL__N_110CalcIgammaIfEESt5arrayIPcLm3EE23TrivialOffsetCalculatorILi2EjES8_ILi1EjENS0_6memory12LoadWithCastILi2EEENSB_13StoreWithCastILi1EEEfJfN3c104HalfEEEEviT0_T1_T2_T3_T4_T5_, .Lfunc_end37-_ZN2at6native39vectorized_templated_elementwise_kernelILi2EN12_GLOBAL__N_110CalcIgammaIfEESt5arrayIPcLm3EE23TrivialOffsetCalculatorILi2EjES8_ILi1EjENS0_6memory12LoadWithCastILi2EEENSB_13StoreWithCastILi1EEEfJfN3c104HalfEEEEviT0_T1_T2_T3_T4_T5_
                                        ; -- End function
	.set _ZN2at6native39vectorized_templated_elementwise_kernelILi2EN12_GLOBAL__N_110CalcIgammaIfEESt5arrayIPcLm3EE23TrivialOffsetCalculatorILi2EjES8_ILi1EjENS0_6memory12LoadWithCastILi2EEENSB_13StoreWithCastILi1EEEfJfN3c104HalfEEEEviT0_T1_T2_T3_T4_T5_.num_vgpr, max(114, .L_ZN12_GLOBAL__N_111calc_igammaIfEET_S1_S1_.num_vgpr, .L_ZN12_GLOBAL__N_112calc_igammacIfEET_S1_S1_.num_vgpr, .L_ZN2at6native25elementwise_kernel_helperILb1EN12_GLOBAL__N_110CalcIgammaIfEENS0_6memory8policies11unroll_baseILi512ESt5arrayIPcLm3EE23TrivialOffsetCalculatorILi2EjESB_ILi1EjENS5_12LoadWithCastILi2EEENS5_13StoreWithCastILi1EEELi32ELi1EEEEEvT0_T1_.num_vgpr)
	.set _ZN2at6native39vectorized_templated_elementwise_kernelILi2EN12_GLOBAL__N_110CalcIgammaIfEESt5arrayIPcLm3EE23TrivialOffsetCalculatorILi2EjES8_ILi1EjENS0_6memory12LoadWithCastILi2EEENSB_13StoreWithCastILi1EEEfJfN3c104HalfEEEEviT0_T1_T2_T3_T4_T5_.num_agpr, max(0, .L_ZN12_GLOBAL__N_111calc_igammaIfEET_S1_S1_.num_agpr, .L_ZN12_GLOBAL__N_112calc_igammacIfEET_S1_S1_.num_agpr, .L_ZN2at6native25elementwise_kernel_helperILb1EN12_GLOBAL__N_110CalcIgammaIfEENS0_6memory8policies11unroll_baseILi512ESt5arrayIPcLm3EE23TrivialOffsetCalculatorILi2EjESB_ILi1EjENS5_12LoadWithCastILi2EEENS5_13StoreWithCastILi1EEELi32ELi1EEEEEvT0_T1_.num_agpr)
	.set _ZN2at6native39vectorized_templated_elementwise_kernelILi2EN12_GLOBAL__N_110CalcIgammaIfEESt5arrayIPcLm3EE23TrivialOffsetCalculatorILi2EjES8_ILi1EjENS0_6memory12LoadWithCastILi2EEENSB_13StoreWithCastILi1EEEfJfN3c104HalfEEEEviT0_T1_T2_T3_T4_T5_.numbered_sgpr, max(57, .L_ZN12_GLOBAL__N_111calc_igammaIfEET_S1_S1_.numbered_sgpr, .L_ZN12_GLOBAL__N_112calc_igammacIfEET_S1_S1_.numbered_sgpr, .L_ZN2at6native25elementwise_kernel_helperILb1EN12_GLOBAL__N_110CalcIgammaIfEENS0_6memory8policies11unroll_baseILi512ESt5arrayIPcLm3EE23TrivialOffsetCalculatorILi2EjESB_ILi1EjENS5_12LoadWithCastILi2EEENS5_13StoreWithCastILi1EEELi32ELi1EEEEEvT0_T1_.numbered_sgpr)
	.set _ZN2at6native39vectorized_templated_elementwise_kernelILi2EN12_GLOBAL__N_110CalcIgammaIfEESt5arrayIPcLm3EE23TrivialOffsetCalculatorILi2EjES8_ILi1EjENS0_6memory12LoadWithCastILi2EEENSB_13StoreWithCastILi1EEEfJfN3c104HalfEEEEviT0_T1_T2_T3_T4_T5_.num_named_barrier, max(0, .L_ZN12_GLOBAL__N_111calc_igammaIfEET_S1_S1_.num_named_barrier, .L_ZN12_GLOBAL__N_112calc_igammacIfEET_S1_S1_.num_named_barrier, .L_ZN2at6native25elementwise_kernel_helperILb1EN12_GLOBAL__N_110CalcIgammaIfEENS0_6memory8policies11unroll_baseILi512ESt5arrayIPcLm3EE23TrivialOffsetCalculatorILi2EjESB_ILi1EjENS5_12LoadWithCastILi2EEENS5_13StoreWithCastILi1EEELi32ELi1EEEEEvT0_T1_.num_named_barrier)
	.set _ZN2at6native39vectorized_templated_elementwise_kernelILi2EN12_GLOBAL__N_110CalcIgammaIfEESt5arrayIPcLm3EE23TrivialOffsetCalculatorILi2EjES8_ILi1EjENS0_6memory12LoadWithCastILi2EEENSB_13StoreWithCastILi1EEEfJfN3c104HalfEEEEviT0_T1_T2_T3_T4_T5_.private_seg_size, 0+max(.L_ZN12_GLOBAL__N_111calc_igammaIfEET_S1_S1_.private_seg_size, .L_ZN12_GLOBAL__N_112calc_igammacIfEET_S1_S1_.private_seg_size, .L_ZN2at6native25elementwise_kernel_helperILb1EN12_GLOBAL__N_110CalcIgammaIfEENS0_6memory8policies11unroll_baseILi512ESt5arrayIPcLm3EE23TrivialOffsetCalculatorILi2EjESB_ILi1EjENS5_12LoadWithCastILi2EEENS5_13StoreWithCastILi1EEELi32ELi1EEEEEvT0_T1_.private_seg_size)
	.set _ZN2at6native39vectorized_templated_elementwise_kernelILi2EN12_GLOBAL__N_110CalcIgammaIfEESt5arrayIPcLm3EE23TrivialOffsetCalculatorILi2EjES8_ILi1EjENS0_6memory12LoadWithCastILi2EEENSB_13StoreWithCastILi1EEEfJfN3c104HalfEEEEviT0_T1_T2_T3_T4_T5_.uses_vcc, or(1, .L_ZN12_GLOBAL__N_111calc_igammaIfEET_S1_S1_.uses_vcc, .L_ZN12_GLOBAL__N_112calc_igammacIfEET_S1_S1_.uses_vcc, .L_ZN2at6native25elementwise_kernel_helperILb1EN12_GLOBAL__N_110CalcIgammaIfEENS0_6memory8policies11unroll_baseILi512ESt5arrayIPcLm3EE23TrivialOffsetCalculatorILi2EjESB_ILi1EjENS5_12LoadWithCastILi2EEENS5_13StoreWithCastILi1EEELi32ELi1EEEEEvT0_T1_.uses_vcc)
	.set _ZN2at6native39vectorized_templated_elementwise_kernelILi2EN12_GLOBAL__N_110CalcIgammaIfEESt5arrayIPcLm3EE23TrivialOffsetCalculatorILi2EjES8_ILi1EjENS0_6memory12LoadWithCastILi2EEENSB_13StoreWithCastILi1EEEfJfN3c104HalfEEEEviT0_T1_T2_T3_T4_T5_.uses_flat_scratch, or(0, .L_ZN12_GLOBAL__N_111calc_igammaIfEET_S1_S1_.uses_flat_scratch, .L_ZN12_GLOBAL__N_112calc_igammacIfEET_S1_S1_.uses_flat_scratch, .L_ZN2at6native25elementwise_kernel_helperILb1EN12_GLOBAL__N_110CalcIgammaIfEENS0_6memory8policies11unroll_baseILi512ESt5arrayIPcLm3EE23TrivialOffsetCalculatorILi2EjESB_ILi1EjENS5_12LoadWithCastILi2EEENS5_13StoreWithCastILi1EEELi32ELi1EEEEEvT0_T1_.uses_flat_scratch)
	.set _ZN2at6native39vectorized_templated_elementwise_kernelILi2EN12_GLOBAL__N_110CalcIgammaIfEESt5arrayIPcLm3EE23TrivialOffsetCalculatorILi2EjES8_ILi1EjENS0_6memory12LoadWithCastILi2EEENSB_13StoreWithCastILi1EEEfJfN3c104HalfEEEEviT0_T1_T2_T3_T4_T5_.has_dyn_sized_stack, or(0, .L_ZN12_GLOBAL__N_111calc_igammaIfEET_S1_S1_.has_dyn_sized_stack, .L_ZN12_GLOBAL__N_112calc_igammacIfEET_S1_S1_.has_dyn_sized_stack, .L_ZN2at6native25elementwise_kernel_helperILb1EN12_GLOBAL__N_110CalcIgammaIfEENS0_6memory8policies11unroll_baseILi512ESt5arrayIPcLm3EE23TrivialOffsetCalculatorILi2EjESB_ILi1EjENS5_12LoadWithCastILi2EEENS5_13StoreWithCastILi1EEELi32ELi1EEEEEvT0_T1_.has_dyn_sized_stack)
	.set _ZN2at6native39vectorized_templated_elementwise_kernelILi2EN12_GLOBAL__N_110CalcIgammaIfEESt5arrayIPcLm3EE23TrivialOffsetCalculatorILi2EjES8_ILi1EjENS0_6memory12LoadWithCastILi2EEENSB_13StoreWithCastILi1EEEfJfN3c104HalfEEEEviT0_T1_T2_T3_T4_T5_.has_recursion, or(0, .L_ZN12_GLOBAL__N_111calc_igammaIfEET_S1_S1_.has_recursion, .L_ZN12_GLOBAL__N_112calc_igammacIfEET_S1_S1_.has_recursion, .L_ZN2at6native25elementwise_kernel_helperILb1EN12_GLOBAL__N_110CalcIgammaIfEENS0_6memory8policies11unroll_baseILi512ESt5arrayIPcLm3EE23TrivialOffsetCalculatorILi2EjESB_ILi1EjENS5_12LoadWithCastILi2EEENS5_13StoreWithCastILi1EEELi32ELi1EEEEEvT0_T1_.has_recursion)
	.set _ZN2at6native39vectorized_templated_elementwise_kernelILi2EN12_GLOBAL__N_110CalcIgammaIfEESt5arrayIPcLm3EE23TrivialOffsetCalculatorILi2EjES8_ILi1EjENS0_6memory12LoadWithCastILi2EEENSB_13StoreWithCastILi1EEEfJfN3c104HalfEEEEviT0_T1_T2_T3_T4_T5_.has_indirect_call, or(0, .L_ZN12_GLOBAL__N_111calc_igammaIfEET_S1_S1_.has_indirect_call, .L_ZN12_GLOBAL__N_112calc_igammacIfEET_S1_S1_.has_indirect_call, .L_ZN2at6native25elementwise_kernel_helperILb1EN12_GLOBAL__N_110CalcIgammaIfEENS0_6memory8policies11unroll_baseILi512ESt5arrayIPcLm3EE23TrivialOffsetCalculatorILi2EjESB_ILi1EjENS5_12LoadWithCastILi2EEENS5_13StoreWithCastILi1EEELi32ELi1EEEEEvT0_T1_.has_indirect_call)
	.section	.AMDGPU.csdata,"",@progbits
; Kernel info:
; codeLenInByte = 3228
; TotalNumSgprs: 98
; NumVgprs: 214
; ScratchSize: 448
; MemoryBound: 0
; FloatMode: 240
; IeeeMode: 1
; LDSByteSize: 1024 bytes/workgroup (compile time only)
; SGPRBlocks: 0
; VGPRBlocks: 13
; NumSGPRsForWavesPerEU: 98
; NumVGPRsForWavesPerEU: 214
; NamedBarCnt: 0
; Occupancy: 4
; WaveLimiterHint : 0
; COMPUTE_PGM_RSRC2:SCRATCH_EN: 1
; COMPUTE_PGM_RSRC2:USER_SGPR: 4
; COMPUTE_PGM_RSRC2:TRAP_HANDLER: 0
; COMPUTE_PGM_RSRC2:TGID_X_EN: 1
; COMPUTE_PGM_RSRC2:TGID_Y_EN: 0
; COMPUTE_PGM_RSRC2:TGID_Z_EN: 0
; COMPUTE_PGM_RSRC2:TIDIG_COMP_CNT: 2
	.section	.text._ZN2at6native39vectorized_templated_elementwise_kernelILi8EN12_GLOBAL__N_110CalcIgammaIfEESt5arrayIPcLm3EE23TrivialOffsetCalculatorILi2EjES8_ILi1EjENS0_6memory12LoadWithCastILi2EEENSB_13StoreWithCastILi1EEEfJN3c104HalfEfEEEviT0_T1_T2_T3_T4_T5_,"axG",@progbits,_ZN2at6native39vectorized_templated_elementwise_kernelILi8EN12_GLOBAL__N_110CalcIgammaIfEESt5arrayIPcLm3EE23TrivialOffsetCalculatorILi2EjES8_ILi1EjENS0_6memory12LoadWithCastILi2EEENSB_13StoreWithCastILi1EEEfJN3c104HalfEfEEEviT0_T1_T2_T3_T4_T5_,comdat
	.globl	_ZN2at6native39vectorized_templated_elementwise_kernelILi8EN12_GLOBAL__N_110CalcIgammaIfEESt5arrayIPcLm3EE23TrivialOffsetCalculatorILi2EjES8_ILi1EjENS0_6memory12LoadWithCastILi2EEENSB_13StoreWithCastILi1EEEfJN3c104HalfEfEEEviT0_T1_T2_T3_T4_T5_ ; -- Begin function _ZN2at6native39vectorized_templated_elementwise_kernelILi8EN12_GLOBAL__N_110CalcIgammaIfEESt5arrayIPcLm3EE23TrivialOffsetCalculatorILi2EjES8_ILi1EjENS0_6memory12LoadWithCastILi2EEENSB_13StoreWithCastILi1EEEfJN3c104HalfEfEEEviT0_T1_T2_T3_T4_T5_
	.p2align	8
	.type	_ZN2at6native39vectorized_templated_elementwise_kernelILi8EN12_GLOBAL__N_110CalcIgammaIfEESt5arrayIPcLm3EE23TrivialOffsetCalculatorILi2EjES8_ILi1EjENS0_6memory12LoadWithCastILi2EEENSB_13StoreWithCastILi1EEEfJN3c104HalfEfEEEviT0_T1_T2_T3_T4_T5_,@function
_ZN2at6native39vectorized_templated_elementwise_kernelILi8EN12_GLOBAL__N_110CalcIgammaIfEESt5arrayIPcLm3EE23TrivialOffsetCalculatorILi2EjES8_ILi1EjENS0_6memory12LoadWithCastILi2EEENSB_13StoreWithCastILi1EEEfJN3c104HalfEfEEEviT0_T1_T2_T3_T4_T5_: ; @_ZN2at6native39vectorized_templated_elementwise_kernelILi8EN12_GLOBAL__N_110CalcIgammaIfEESt5arrayIPcLm3EE23TrivialOffsetCalculatorILi2EjES8_ILi1EjENS0_6memory12LoadWithCastILi2EEENSB_13StoreWithCastILi1EEEfJN3c104HalfEfEEEviT0_T1_T2_T3_T4_T5_
; %bb.0:
	s_mov_b64 s[34:35], s[2:3]
	s_load_b64 s[2:3], s[0:1], 0x4
	s_clause 0x2
	s_load_b64 s[4:5], s[34:35], 0x0
	s_load_b64 s[46:47], s[34:35], 0x18
	s_load_b32 s6, s[34:35], 0x38
	s_wait_xcnt 0x0
	s_bfe_u32 s1, ttmp6, 0x4000c
	s_and_b32 s0, ttmp6, 15
	s_add_co_i32 s1, s1, 1
	s_load_b128 s[36:39], s[34:35], 0x8
	s_mul_i32 s1, ttmp9, s1
	s_getreg_b32 s7, hwreg(HW_REG_IB_STS2, 6, 4)
	s_add_co_i32 s0, s0, s1
	s_mov_b32 s32, 0
	s_wait_kmcnt 0x0
	s_lshr_b32 s2, s2, 16
	s_and_b32 s1, s5, 1
	v_mov_b32_e32 v46, v0
	s_mul_i32 s2, s2, s3
	s_cmp_eq_u32 s7, 0
	s_cselect_b32 s0, ttmp9, s0
	s_delay_alu instid0(VALU_DEP_1) | instskip(SKIP_3) | instid1(VALU_DEP_3)
	v_and_b32_e32 v0, 0x3ff, v46
	v_bfe_u32 v1, v46, 10, 10
	v_bfe_u32 v3, v46, 20, 10
	s_not_b32 s0, s0
	v_mul_lo_u32 v2, s2, v0
	s_delay_alu instid0(VALU_DEP_3) | instskip(SKIP_1) | instid1(SALU_CYCLE_1)
	v_mul_u32_u24_e32 v1, s3, v1
	s_add_co_i32 s6, s6, s0
	s_lshl_b32 s0, s6, 14
	s_delay_alu instid0(SALU_CYCLE_1) | instskip(NEXT) | instid1(SALU_CYCLE_1)
	s_sub_co_i32 s54, s4, s0
	s_cmp_gt_i32 s54, 0x3fff
	s_delay_alu instid0(VALU_DEP_2)
	v_add3_u32 v47, v2, v1, v3
	v_mov_b32_e32 v1, s1
	s_mov_b32 s1, -1
	ds_store_b8 v47, v1
	s_cbranch_scc1 .LBB38_3
; %bb.1:
	s_and_b32 vcc_lo, exec_lo, s1
	s_cbranch_vccnz .LBB38_132
.LBB38_2:
	s_endpgm
.LBB38_3:
	s_ashr_i32 s1, s0, 31
	v_lshlrev_b32_e32 v116, 5, v0
	s_lshl_b64 s[2:3], s[0:1], 1
	s_lshl_b64 s[48:49], s[0:1], 2
	s_add_nc_u64 s[2:3], s[38:39], s[2:3]
	s_add_nc_u64 s[0:1], s[46:47], s[48:49]
	s_clause 0x3
	global_load_b128 v[112:115], v0, s[2:3] scale_offset
	global_load_b128 v[108:111], v0, s[2:3] offset:8192 scale_offset
	global_load_b128 v[104:107], v0, s[2:3] offset:16384 scale_offset
	;; [unrolled: 1-line block ×3, first 2 shown]
	s_clause 0x7
	global_load_b128 v[76:79], v116, s[0:1] offset:16
	global_load_b128 v[58:61], v116, s[0:1]
	global_load_b128 v[96:99], v116, s[0:1] offset:16400
	global_load_b128 v[88:91], v116, s[0:1] offset:16384
	;; [unrolled: 1-line block ×6, first 2 shown]
	s_wait_xcnt 0x8
	ds_load_u8 v0, v47
	s_get_pc_i64 s[50:51]
	s_add_nc_u64 s[50:51], s[50:51], _ZN12_GLOBAL__N_111calc_igammaIfEET_S1_S1_@rel64+4
                                        ; implicit-def: $vgpr56
	s_wait_dscnt 0x0
	v_and_b32_e32 v1, 1, v0
	s_delay_alu instid0(VALU_DEP_1)
	v_cmp_eq_u32_e32 vcc_lo, 1, v1
	ds_store_b8 v47, v1 offset:512
	s_xor_b32 s55, vcc_lo, -1
	s_wait_loadcnt 0xb
	v_cvt_f32_f16_e32 v0, v112
	s_wait_xcnt 0x0
	s_and_saveexec_b32 s0, s55
	s_delay_alu instid0(SALU_CYCLE_1)
	s_xor_b32 s52, exec_lo, s0
	s_cbranch_execz .LBB38_5
; %bb.4:
	s_wait_loadcnt 0x6
	v_mov_b32_e32 v1, v58
	s_swap_pc_i64 s[30:31], s[50:51]
	v_mov_b32_e32 v56, v0
                                        ; implicit-def: $vgpr0
.LBB38_5:
	s_or_saveexec_b32 s26, s52
	s_get_pc_i64 s[52:53]
	s_add_nc_u64 s[52:53], s[52:53], _ZN12_GLOBAL__N_112calc_igammacIfEET_S1_S1_@rel64+4
	s_xor_b32 exec_lo, exec_lo, s26
	s_cbranch_execz .LBB38_7
; %bb.6:
	s_wait_loadcnt 0x6
	v_mov_b32_e32 v1, v58
	s_swap_pc_i64 s[30:31], s[52:53]
	v_mov_b32_e32 v56, v0
.LBB38_7:
	s_or_b32 exec_lo, exec_lo, s26
	v_lshrrev_b32_e32 v0, 16, v112
	s_delay_alu instid0(VALU_DEP_1) | instskip(SKIP_1) | instid1(SALU_CYCLE_1)
	v_cvt_f32_f16_e32 v0, v0
	s_and_saveexec_b32 s0, s55
	s_xor_b32 s56, exec_lo, s0
	s_cbranch_execz .LBB38_9
; %bb.8:
	s_wait_loadcnt 0x6
	v_mov_b32_e32 v1, v59
	s_swap_pc_i64 s[30:31], s[50:51]
	v_mov_b32_e32 v57, v0
                                        ; implicit-def: $vgpr0
.LBB38_9:
	s_and_not1_saveexec_b32 s26, s56
	s_cbranch_execz .LBB38_11
; %bb.10:
	s_wait_loadcnt 0x6
	v_mov_b32_e32 v1, v59
	s_swap_pc_i64 s[30:31], s[52:53]
	v_mov_b32_e32 v57, v0
.LBB38_11:
	s_or_b32 exec_lo, exec_lo, s26
	v_cvt_f32_f16_e32 v0, v113
	s_and_saveexec_b32 s0, s55
	s_delay_alu instid0(SALU_CYCLE_1)
	s_xor_b32 s56, exec_lo, s0
	s_cbranch_execz .LBB38_13
; %bb.12:
	s_wait_loadcnt 0x6
	v_mov_b32_e32 v1, v60
	s_swap_pc_i64 s[30:31], s[50:51]
	v_mov_b32_e32 v58, v0
                                        ; implicit-def: $vgpr0
.LBB38_13:
	s_and_not1_saveexec_b32 s26, s56
	s_cbranch_execz .LBB38_15
; %bb.14:
	s_wait_loadcnt 0x6
	v_mov_b32_e32 v1, v60
	s_swap_pc_i64 s[30:31], s[52:53]
	v_mov_b32_e32 v58, v0
.LBB38_15:
	s_or_b32 exec_lo, exec_lo, s26
	v_lshrrev_b32_e32 v0, 16, v113
	s_delay_alu instid0(VALU_DEP_1) | instskip(SKIP_1) | instid1(SALU_CYCLE_1)
	v_cvt_f32_f16_e32 v0, v0
	s_and_saveexec_b32 s0, s55
	s_xor_b32 s56, exec_lo, s0
	s_cbranch_execz .LBB38_17
; %bb.16:
	s_wait_loadcnt 0x6
	v_mov_b32_e32 v1, v61
	s_swap_pc_i64 s[30:31], s[50:51]
	v_mov_b32_e32 v59, v0
                                        ; implicit-def: $vgpr0
                                        ; implicit-def: $vgpr61
.LBB38_17:
	s_and_not1_saveexec_b32 s26, s56
	s_cbranch_execz .LBB38_19
; %bb.18:
	s_wait_loadcnt 0x6
	v_mov_b32_e32 v1, v61
	s_swap_pc_i64 s[30:31], s[52:53]
	v_mov_b32_e32 v59, v0
.LBB38_19:
	s_or_b32 exec_lo, exec_lo, s26
	v_cvt_f32_f16_e32 v0, v114
                                        ; implicit-def: $vgpr60
	s_and_saveexec_b32 s0, s55
	s_delay_alu instid0(SALU_CYCLE_1)
	s_xor_b32 s56, exec_lo, s0
	s_cbranch_execz .LBB38_21
; %bb.20:
	s_wait_loadcnt 0x7
	v_mov_b32_e32 v1, v76
	s_swap_pc_i64 s[30:31], s[50:51]
	v_mov_b32_e32 v60, v0
                                        ; implicit-def: $vgpr0
.LBB38_21:
	s_and_not1_saveexec_b32 s26, s56
	s_cbranch_execz .LBB38_23
; %bb.22:
	s_wait_loadcnt 0x7
	v_mov_b32_e32 v1, v76
	s_swap_pc_i64 s[30:31], s[52:53]
	v_mov_b32_e32 v60, v0
.LBB38_23:
	s_or_b32 exec_lo, exec_lo, s26
	v_lshrrev_b32_e32 v0, 16, v114
	s_delay_alu instid0(VALU_DEP_1) | instskip(SKIP_1) | instid1(SALU_CYCLE_1)
	v_cvt_f32_f16_e32 v0, v0
	s_and_saveexec_b32 s0, s55
	s_xor_b32 s56, exec_lo, s0
	s_cbranch_execz .LBB38_25
; %bb.24:
	s_wait_loadcnt 0x7
	v_mov_b32_e32 v1, v77
	s_swap_pc_i64 s[30:31], s[50:51]
	v_mov_b32_e32 v61, v0
                                        ; implicit-def: $vgpr0
.LBB38_25:
	s_and_not1_saveexec_b32 s26, s56
	s_cbranch_execz .LBB38_27
; %bb.26:
	s_wait_loadcnt 0x7
	v_mov_b32_e32 v1, v77
	s_swap_pc_i64 s[30:31], s[52:53]
	v_mov_b32_e32 v61, v0
.LBB38_27:
	s_or_b32 exec_lo, exec_lo, s26
	v_cvt_f32_f16_e32 v0, v115
	s_and_saveexec_b32 s0, s55
	s_delay_alu instid0(SALU_CYCLE_1)
	s_xor_b32 s56, exec_lo, s0
	s_cbranch_execz .LBB38_29
; %bb.28:
	s_wait_loadcnt 0x7
	v_mov_b32_e32 v1, v78
	s_swap_pc_i64 s[30:31], s[50:51]
	v_mov_b32_e32 v62, v0
                                        ; implicit-def: $vgpr0
.LBB38_29:
	s_and_not1_saveexec_b32 s26, s56
	s_cbranch_execz .LBB38_31
; %bb.30:
	s_wait_loadcnt 0x7
	v_mov_b32_e32 v1, v78
	s_swap_pc_i64 s[30:31], s[52:53]
	v_mov_b32_e32 v62, v0
.LBB38_31:
	s_or_b32 exec_lo, exec_lo, s26
	v_lshrrev_b32_e32 v0, 16, v115
	s_delay_alu instid0(VALU_DEP_1) | instskip(SKIP_1) | instid1(SALU_CYCLE_1)
	v_cvt_f32_f16_e32 v0, v0
	s_and_saveexec_b32 s0, s55
	s_xor_b32 s56, exec_lo, s0
	s_cbranch_execz .LBB38_33
; %bb.32:
	s_wait_loadcnt 0x7
	v_mov_b32_e32 v1, v79
	s_swap_pc_i64 s[30:31], s[50:51]
	v_mov_b32_e32 v63, v0
                                        ; implicit-def: $vgpr0
                                        ; implicit-def: $vgpr79
.LBB38_33:
	s_and_not1_saveexec_b32 s26, s56
	s_cbranch_execz .LBB38_35
; %bb.34:
	s_wait_loadcnt 0x7
	v_mov_b32_e32 v1, v79
	s_swap_pc_i64 s[30:31], s[52:53]
	v_mov_b32_e32 v63, v0
.LBB38_35:
	s_or_b32 exec_lo, exec_lo, s26
	s_wait_loadcnt 0xa
	v_cvt_f32_f16_e32 v0, v108
                                        ; implicit-def: $vgpr76
	s_and_saveexec_b32 s0, s55
	s_delay_alu instid0(SALU_CYCLE_1)
	s_xor_b32 s56, exec_lo, s0
	s_cbranch_execz .LBB38_37
; %bb.36:
	s_wait_loadcnt 0x4
	v_mov_b32_e32 v1, v88
	s_swap_pc_i64 s[30:31], s[50:51]
	v_mov_b32_e32 v76, v0
                                        ; implicit-def: $vgpr0
.LBB38_37:
	s_and_not1_saveexec_b32 s26, s56
	s_cbranch_execz .LBB38_39
; %bb.38:
	s_wait_loadcnt 0x4
	v_mov_b32_e32 v1, v88
	s_swap_pc_i64 s[30:31], s[52:53]
	v_mov_b32_e32 v76, v0
.LBB38_39:
	s_or_b32 exec_lo, exec_lo, s26
	v_lshrrev_b32_e32 v0, 16, v108
	s_delay_alu instid0(VALU_DEP_1) | instskip(SKIP_1) | instid1(SALU_CYCLE_1)
	v_cvt_f32_f16_e32 v0, v0
	s_and_saveexec_b32 s0, s55
	s_xor_b32 s56, exec_lo, s0
	s_cbranch_execz .LBB38_41
; %bb.40:
	s_wait_loadcnt 0x4
	v_mov_b32_e32 v1, v89
	s_swap_pc_i64 s[30:31], s[50:51]
	v_mov_b32_e32 v77, v0
                                        ; implicit-def: $vgpr0
.LBB38_41:
	s_and_not1_saveexec_b32 s26, s56
	s_cbranch_execz .LBB38_43
; %bb.42:
	s_wait_loadcnt 0x4
	v_mov_b32_e32 v1, v89
	s_swap_pc_i64 s[30:31], s[52:53]
	v_mov_b32_e32 v77, v0
.LBB38_43:
	s_or_b32 exec_lo, exec_lo, s26
	v_cvt_f32_f16_e32 v0, v109
	s_and_saveexec_b32 s0, s55
	s_delay_alu instid0(SALU_CYCLE_1)
	s_xor_b32 s56, exec_lo, s0
	s_cbranch_execz .LBB38_45
; %bb.44:
	s_wait_loadcnt 0x4
	v_mov_b32_e32 v1, v90
	s_swap_pc_i64 s[30:31], s[50:51]
	v_mov_b32_e32 v78, v0
                                        ; implicit-def: $vgpr0
.LBB38_45:
	s_and_not1_saveexec_b32 s26, s56
	s_cbranch_execz .LBB38_47
; %bb.46:
	s_wait_loadcnt 0x4
	v_mov_b32_e32 v1, v90
	s_swap_pc_i64 s[30:31], s[52:53]
	v_mov_b32_e32 v78, v0
.LBB38_47:
	s_or_b32 exec_lo, exec_lo, s26
	v_lshrrev_b32_e32 v0, 16, v109
	s_delay_alu instid0(VALU_DEP_1) | instskip(SKIP_1) | instid1(SALU_CYCLE_1)
	v_cvt_f32_f16_e32 v0, v0
	s_and_saveexec_b32 s0, s55
	s_xor_b32 s56, exec_lo, s0
	s_cbranch_execz .LBB38_49
; %bb.48:
	s_wait_loadcnt 0x4
	v_mov_b32_e32 v1, v91
	s_swap_pc_i64 s[30:31], s[50:51]
	v_mov_b32_e32 v79, v0
                                        ; implicit-def: $vgpr0
                                        ; implicit-def: $vgpr91
.LBB38_49:
	s_and_not1_saveexec_b32 s26, s56
	s_cbranch_execz .LBB38_51
; %bb.50:
	s_wait_loadcnt 0x4
	v_mov_b32_e32 v1, v91
	s_swap_pc_i64 s[30:31], s[52:53]
	v_mov_b32_e32 v79, v0
.LBB38_51:
	s_or_b32 exec_lo, exec_lo, s26
	v_cvt_f32_f16_e32 v0, v110
                                        ; implicit-def: $vgpr88
	s_and_saveexec_b32 s0, s55
	s_delay_alu instid0(SALU_CYCLE_1)
	s_xor_b32 s56, exec_lo, s0
	s_cbranch_execz .LBB38_53
; %bb.52:
	s_wait_loadcnt 0x5
	v_mov_b32_e32 v1, v96
	s_swap_pc_i64 s[30:31], s[50:51]
	v_mov_b32_e32 v88, v0
                                        ; implicit-def: $vgpr0
.LBB38_53:
	s_and_not1_saveexec_b32 s26, s56
	s_cbranch_execz .LBB38_55
; %bb.54:
	s_wait_loadcnt 0x5
	v_mov_b32_e32 v1, v96
	s_swap_pc_i64 s[30:31], s[52:53]
	v_mov_b32_e32 v88, v0
.LBB38_55:
	s_or_b32 exec_lo, exec_lo, s26
	v_lshrrev_b32_e32 v0, 16, v110
	s_delay_alu instid0(VALU_DEP_1) | instskip(SKIP_1) | instid1(SALU_CYCLE_1)
	v_cvt_f32_f16_e32 v0, v0
	s_and_saveexec_b32 s0, s55
	s_xor_b32 s56, exec_lo, s0
	s_cbranch_execz .LBB38_57
; %bb.56:
	s_wait_loadcnt 0x5
	v_mov_b32_e32 v1, v97
	s_swap_pc_i64 s[30:31], s[50:51]
	v_mov_b32_e32 v89, v0
                                        ; implicit-def: $vgpr0
.LBB38_57:
	s_and_not1_saveexec_b32 s26, s56
	s_cbranch_execz .LBB38_59
; %bb.58:
	s_wait_loadcnt 0x5
	v_mov_b32_e32 v1, v97
	s_swap_pc_i64 s[30:31], s[52:53]
	v_mov_b32_e32 v89, v0
.LBB38_59:
	s_or_b32 exec_lo, exec_lo, s26
	v_cvt_f32_f16_e32 v0, v111
	s_and_saveexec_b32 s0, s55
	s_delay_alu instid0(SALU_CYCLE_1)
	s_xor_b32 s56, exec_lo, s0
	s_cbranch_execz .LBB38_61
; %bb.60:
	s_wait_loadcnt 0x5
	v_mov_b32_e32 v1, v98
	s_swap_pc_i64 s[30:31], s[50:51]
	v_mov_b32_e32 v90, v0
                                        ; implicit-def: $vgpr0
.LBB38_61:
	s_and_not1_saveexec_b32 s26, s56
	s_cbranch_execz .LBB38_63
; %bb.62:
	s_wait_loadcnt 0x5
	v_mov_b32_e32 v1, v98
	s_swap_pc_i64 s[30:31], s[52:53]
	v_mov_b32_e32 v90, v0
.LBB38_63:
	s_or_b32 exec_lo, exec_lo, s26
	v_lshrrev_b32_e32 v0, 16, v111
	s_delay_alu instid0(VALU_DEP_1) | instskip(SKIP_1) | instid1(SALU_CYCLE_1)
	v_cvt_f32_f16_e32 v0, v0
	s_and_saveexec_b32 s0, s55
	s_xor_b32 s56, exec_lo, s0
	s_cbranch_execz .LBB38_65
; %bb.64:
	s_wait_loadcnt 0x5
	v_mov_b32_e32 v1, v99
	s_swap_pc_i64 s[30:31], s[50:51]
	v_mov_b32_e32 v91, v0
                                        ; implicit-def: $vgpr0
                                        ; implicit-def: $vgpr99
.LBB38_65:
	s_and_not1_saveexec_b32 s26, s56
	s_cbranch_execz .LBB38_67
; %bb.66:
	s_wait_loadcnt 0x5
	v_mov_b32_e32 v1, v99
	s_swap_pc_i64 s[30:31], s[52:53]
	v_mov_b32_e32 v91, v0
.LBB38_67:
	s_or_b32 exec_lo, exec_lo, s26
	s_wait_loadcnt 0x9
	v_cvt_f32_f16_e32 v0, v104
                                        ; implicit-def: $vgpr96
	s_and_saveexec_b32 s0, s55
	s_delay_alu instid0(SALU_CYCLE_1)
	s_xor_b32 s56, exec_lo, s0
	s_cbranch_execz .LBB38_69
; %bb.68:
	s_wait_loadcnt 0x2
	v_mov_b32_e32 v1, v92
	s_swap_pc_i64 s[30:31], s[50:51]
	v_mov_b32_e32 v96, v0
                                        ; implicit-def: $vgpr0
.LBB38_69:
	s_and_not1_saveexec_b32 s26, s56
	s_cbranch_execz .LBB38_71
; %bb.70:
	s_wait_loadcnt 0x2
	v_mov_b32_e32 v1, v92
	s_swap_pc_i64 s[30:31], s[52:53]
	v_mov_b32_e32 v96, v0
.LBB38_71:
	s_or_b32 exec_lo, exec_lo, s26
	v_lshrrev_b32_e32 v0, 16, v104
	s_delay_alu instid0(VALU_DEP_1) | instskip(SKIP_1) | instid1(SALU_CYCLE_1)
	v_cvt_f32_f16_e32 v0, v0
	s_and_saveexec_b32 s0, s55
	s_xor_b32 s56, exec_lo, s0
	s_cbranch_execz .LBB38_73
; %bb.72:
	s_wait_loadcnt 0x2
	v_mov_b32_e32 v1, v93
	s_swap_pc_i64 s[30:31], s[50:51]
	v_mov_b32_e32 v97, v0
                                        ; implicit-def: $vgpr0
.LBB38_73:
	s_and_not1_saveexec_b32 s26, s56
	s_cbranch_execz .LBB38_75
; %bb.74:
	s_wait_loadcnt 0x2
	v_mov_b32_e32 v1, v93
	s_swap_pc_i64 s[30:31], s[52:53]
	v_mov_b32_e32 v97, v0
.LBB38_75:
	s_or_b32 exec_lo, exec_lo, s26
	v_cvt_f32_f16_e32 v0, v105
	s_and_saveexec_b32 s0, s55
	s_delay_alu instid0(SALU_CYCLE_1)
	s_xor_b32 s56, exec_lo, s0
	s_cbranch_execz .LBB38_77
; %bb.76:
	s_wait_loadcnt 0x2
	v_mov_b32_e32 v1, v94
	s_swap_pc_i64 s[30:31], s[50:51]
	v_mov_b32_e32 v98, v0
                                        ; implicit-def: $vgpr0
.LBB38_77:
	s_and_not1_saveexec_b32 s26, s56
	s_cbranch_execz .LBB38_79
; %bb.78:
	s_wait_loadcnt 0x2
	v_mov_b32_e32 v1, v94
	s_swap_pc_i64 s[30:31], s[52:53]
	v_mov_b32_e32 v98, v0
.LBB38_79:
	s_or_b32 exec_lo, exec_lo, s26
	v_lshrrev_b32_e32 v0, 16, v105
	s_delay_alu instid0(VALU_DEP_1) | instskip(SKIP_1) | instid1(SALU_CYCLE_1)
	v_cvt_f32_f16_e32 v0, v0
	s_and_saveexec_b32 s0, s55
	s_xor_b32 s56, exec_lo, s0
	s_cbranch_execz .LBB38_81
; %bb.80:
	s_wait_loadcnt 0x2
	v_mov_b32_e32 v1, v95
	s_swap_pc_i64 s[30:31], s[50:51]
	v_mov_b32_e32 v99, v0
                                        ; implicit-def: $vgpr0
                                        ; implicit-def: $vgpr95
.LBB38_81:
	s_and_not1_saveexec_b32 s26, s56
	s_cbranch_execz .LBB38_83
; %bb.82:
	s_wait_loadcnt 0x2
	v_mov_b32_e32 v1, v95
	s_swap_pc_i64 s[30:31], s[52:53]
	v_mov_b32_e32 v99, v0
.LBB38_83:
	s_or_b32 exec_lo, exec_lo, s26
	v_cvt_f32_f16_e32 v0, v106
                                        ; implicit-def: $vgpr92
	s_and_saveexec_b32 s0, s55
	s_delay_alu instid0(SALU_CYCLE_1)
	s_xor_b32 s56, exec_lo, s0
	s_cbranch_execz .LBB38_85
; %bb.84:
	s_wait_loadcnt 0x3
	v_mov_b32_e32 v1, v84
	s_swap_pc_i64 s[30:31], s[50:51]
	v_mov_b32_e32 v92, v0
                                        ; implicit-def: $vgpr0
.LBB38_85:
	s_and_not1_saveexec_b32 s26, s56
	s_cbranch_execz .LBB38_87
; %bb.86:
	s_wait_loadcnt 0x3
	v_mov_b32_e32 v1, v84
	s_swap_pc_i64 s[30:31], s[52:53]
	v_mov_b32_e32 v92, v0
.LBB38_87:
	s_or_b32 exec_lo, exec_lo, s26
	v_lshrrev_b32_e32 v0, 16, v106
	s_delay_alu instid0(VALU_DEP_1) | instskip(SKIP_1) | instid1(SALU_CYCLE_1)
	v_cvt_f32_f16_e32 v0, v0
	s_and_saveexec_b32 s0, s55
	s_xor_b32 s56, exec_lo, s0
	s_cbranch_execz .LBB38_89
; %bb.88:
	s_wait_loadcnt 0x3
	v_mov_b32_e32 v1, v85
	s_swap_pc_i64 s[30:31], s[50:51]
	v_mov_b32_e32 v93, v0
                                        ; implicit-def: $vgpr0
.LBB38_89:
	s_and_not1_saveexec_b32 s26, s56
	s_cbranch_execz .LBB38_91
; %bb.90:
	s_wait_loadcnt 0x3
	v_mov_b32_e32 v1, v85
	s_swap_pc_i64 s[30:31], s[52:53]
	v_mov_b32_e32 v93, v0
.LBB38_91:
	s_or_b32 exec_lo, exec_lo, s26
	v_cvt_f32_f16_e32 v0, v107
	s_and_saveexec_b32 s0, s55
	s_delay_alu instid0(SALU_CYCLE_1)
	s_xor_b32 s56, exec_lo, s0
	s_cbranch_execz .LBB38_93
; %bb.92:
	s_wait_loadcnt 0x3
	v_mov_b32_e32 v1, v86
	s_swap_pc_i64 s[30:31], s[50:51]
	v_mov_b32_e32 v94, v0
                                        ; implicit-def: $vgpr0
.LBB38_93:
	s_and_not1_saveexec_b32 s26, s56
	s_cbranch_execz .LBB38_95
; %bb.94:
	s_wait_loadcnt 0x3
	v_mov_b32_e32 v1, v86
	s_swap_pc_i64 s[30:31], s[52:53]
	v_mov_b32_e32 v94, v0
.LBB38_95:
	s_or_b32 exec_lo, exec_lo, s26
	v_lshrrev_b32_e32 v0, 16, v107
	s_delay_alu instid0(VALU_DEP_1) | instskip(SKIP_1) | instid1(SALU_CYCLE_1)
	v_cvt_f32_f16_e32 v0, v0
	s_and_saveexec_b32 s0, s55
	s_xor_b32 s56, exec_lo, s0
	s_cbranch_execz .LBB38_97
; %bb.96:
	s_wait_loadcnt 0x3
	v_mov_b32_e32 v1, v87
	s_swap_pc_i64 s[30:31], s[50:51]
	v_mov_b32_e32 v95, v0
                                        ; implicit-def: $vgpr0
                                        ; implicit-def: $vgpr87
.LBB38_97:
	s_and_not1_saveexec_b32 s26, s56
	s_cbranch_execz .LBB38_99
; %bb.98:
	s_wait_loadcnt 0x3
	v_mov_b32_e32 v1, v87
	s_swap_pc_i64 s[30:31], s[52:53]
	v_mov_b32_e32 v95, v0
.LBB38_99:
	s_or_b32 exec_lo, exec_lo, s26
	s_wait_loadcnt 0x8
	v_cvt_f32_f16_e32 v0, v100
                                        ; implicit-def: $vgpr84
	s_and_saveexec_b32 s0, s55
	s_delay_alu instid0(SALU_CYCLE_1)
	s_xor_b32 s56, exec_lo, s0
	s_cbranch_execz .LBB38_101
; %bb.100:
	s_wait_loadcnt 0x0
	v_mov_b32_e32 v1, v72
	s_swap_pc_i64 s[30:31], s[50:51]
	v_mov_b32_e32 v84, v0
                                        ; implicit-def: $vgpr0
.LBB38_101:
	s_and_not1_saveexec_b32 s26, s56
	s_cbranch_execz .LBB38_103
; %bb.102:
	s_wait_loadcnt 0x0
	v_mov_b32_e32 v1, v72
	s_swap_pc_i64 s[30:31], s[52:53]
	v_mov_b32_e32 v84, v0
.LBB38_103:
	s_or_b32 exec_lo, exec_lo, s26
	v_lshrrev_b32_e32 v0, 16, v100
	s_delay_alu instid0(VALU_DEP_1) | instskip(SKIP_1) | instid1(SALU_CYCLE_1)
	v_cvt_f32_f16_e32 v0, v0
	s_and_saveexec_b32 s0, s55
	s_xor_b32 s56, exec_lo, s0
	s_cbranch_execz .LBB38_105
; %bb.104:
	s_wait_loadcnt 0x0
	v_mov_b32_e32 v1, v73
	s_swap_pc_i64 s[30:31], s[50:51]
	v_mov_b32_e32 v85, v0
                                        ; implicit-def: $vgpr0
.LBB38_105:
	s_and_not1_saveexec_b32 s26, s56
	s_cbranch_execz .LBB38_107
; %bb.106:
	s_wait_loadcnt 0x0
	v_mov_b32_e32 v1, v73
	s_swap_pc_i64 s[30:31], s[52:53]
	v_mov_b32_e32 v85, v0
.LBB38_107:
	s_or_b32 exec_lo, exec_lo, s26
	v_cvt_f32_f16_e32 v0, v101
	s_and_saveexec_b32 s0, s55
	s_delay_alu instid0(SALU_CYCLE_1)
	s_xor_b32 s56, exec_lo, s0
	s_cbranch_execz .LBB38_109
; %bb.108:
	s_wait_loadcnt 0x0
	v_mov_b32_e32 v1, v74
	s_swap_pc_i64 s[30:31], s[50:51]
	v_mov_b32_e32 v86, v0
                                        ; implicit-def: $vgpr0
.LBB38_109:
	s_and_not1_saveexec_b32 s26, s56
	s_cbranch_execz .LBB38_111
; %bb.110:
	s_wait_loadcnt 0x0
	v_mov_b32_e32 v1, v74
	s_swap_pc_i64 s[30:31], s[52:53]
	v_mov_b32_e32 v86, v0
.LBB38_111:
	s_or_b32 exec_lo, exec_lo, s26
	v_lshrrev_b32_e32 v0, 16, v101
	s_delay_alu instid0(VALU_DEP_1) | instskip(SKIP_1) | instid1(SALU_CYCLE_1)
	v_cvt_f32_f16_e32 v0, v0
	s_and_saveexec_b32 s0, s55
	s_xor_b32 s56, exec_lo, s0
	s_cbranch_execz .LBB38_113
; %bb.112:
	s_wait_loadcnt 0x0
	v_mov_b32_e32 v1, v75
	s_swap_pc_i64 s[30:31], s[50:51]
	v_mov_b32_e32 v87, v0
                                        ; implicit-def: $vgpr0
                                        ; implicit-def: $vgpr75
.LBB38_113:
	s_and_not1_saveexec_b32 s26, s56
	s_cbranch_execz .LBB38_115
; %bb.114:
	s_wait_loadcnt 0x0
	v_mov_b32_e32 v1, v75
	s_swap_pc_i64 s[30:31], s[52:53]
	v_mov_b32_e32 v87, v0
.LBB38_115:
	s_or_b32 exec_lo, exec_lo, s26
	v_cvt_f32_f16_e32 v0, v102
                                        ; implicit-def: $vgpr72
	s_and_saveexec_b32 s0, s55
	s_delay_alu instid0(SALU_CYCLE_1)
	s_xor_b32 s56, exec_lo, s0
	s_cbranch_execz .LBB38_117
; %bb.116:
	s_wait_loadcnt 0x1
	v_mov_b32_e32 v1, v42
	s_swap_pc_i64 s[30:31], s[50:51]
	v_mov_b32_e32 v72, v0
                                        ; implicit-def: $vgpr0
.LBB38_117:
	s_and_not1_saveexec_b32 s26, s56
	s_cbranch_execz .LBB38_119
; %bb.118:
	s_wait_loadcnt 0x1
	v_mov_b32_e32 v1, v42
	s_swap_pc_i64 s[30:31], s[52:53]
	v_mov_b32_e32 v72, v0
.LBB38_119:
	s_or_b32 exec_lo, exec_lo, s26
	v_lshrrev_b32_e32 v0, 16, v102
	s_delay_alu instid0(VALU_DEP_1) | instskip(SKIP_1) | instid1(SALU_CYCLE_1)
	v_cvt_f32_f16_e32 v0, v0
	s_and_saveexec_b32 s0, s55
	s_xor_b32 s56, exec_lo, s0
	s_cbranch_execz .LBB38_121
; %bb.120:
	s_wait_loadcnt 0x1
	v_mov_b32_e32 v1, v43
	s_swap_pc_i64 s[30:31], s[50:51]
	v_mov_b32_e32 v73, v0
                                        ; implicit-def: $vgpr0
.LBB38_121:
	s_and_not1_saveexec_b32 s26, s56
	s_cbranch_execz .LBB38_123
; %bb.122:
	s_wait_loadcnt 0x1
	v_mov_b32_e32 v1, v43
	s_swap_pc_i64 s[30:31], s[52:53]
	v_mov_b32_e32 v73, v0
.LBB38_123:
	s_or_b32 exec_lo, exec_lo, s26
	v_cvt_f32_f16_e32 v0, v103
	s_and_saveexec_b32 s0, s55
	s_delay_alu instid0(SALU_CYCLE_1)
	s_xor_b32 s56, exec_lo, s0
	s_cbranch_execz .LBB38_125
; %bb.124:
	s_wait_loadcnt 0x1
	v_mov_b32_e32 v1, v44
	s_swap_pc_i64 s[30:31], s[50:51]
	v_mov_b32_e32 v74, v0
                                        ; implicit-def: $vgpr0
.LBB38_125:
	s_and_not1_saveexec_b32 s26, s56
	s_cbranch_execz .LBB38_127
; %bb.126:
	s_wait_loadcnt 0x1
	v_mov_b32_e32 v1, v44
	s_swap_pc_i64 s[30:31], s[52:53]
	v_mov_b32_e32 v74, v0
.LBB38_127:
	s_or_b32 exec_lo, exec_lo, s26
	v_lshrrev_b32_e32 v0, 16, v103
	s_delay_alu instid0(VALU_DEP_1) | instskip(SKIP_1) | instid1(SALU_CYCLE_1)
	v_cvt_f32_f16_e32 v0, v0
	s_and_saveexec_b32 s0, s55
	s_xor_b32 s55, exec_lo, s0
	s_cbranch_execz .LBB38_129
; %bb.128:
	s_wait_loadcnt 0x1
	v_mov_b32_e32 v1, v45
	s_swap_pc_i64 s[30:31], s[50:51]
	v_mov_b32_e32 v75, v0
                                        ; implicit-def: $vgpr0
                                        ; implicit-def: $vgpr45
.LBB38_129:
	s_and_not1_saveexec_b32 s26, s55
	s_cbranch_execz .LBB38_131
; %bb.130:
	s_wait_loadcnt 0x1
	v_mov_b32_e32 v1, v45
	s_swap_pc_i64 s[30:31], s[52:53]
	v_mov_b32_e32 v75, v0
.LBB38_131:
	s_or_b32 exec_lo, exec_lo, s26
	s_add_nc_u64 s[2:3], s[36:37], s[48:49]
	s_wait_loadcnt 0x6
	s_clause 0x2
	global_store_b128 v116, v[56:59], s[2:3]
	global_store_b128 v116, v[60:63], s[2:3] offset:16
	global_store_b128 v116, v[76:79], s[2:3] offset:16384
	s_wait_loadcnt 0x4
	s_clause 0x1
	global_store_b128 v116, v[88:91], s[2:3] offset:16400
	global_store_b128 v116, v[96:99], s[2:3] offset:32768
	s_wait_loadcnt 0x2
	s_clause 0x1
	global_store_b128 v116, v[92:95], s[2:3] offset:32784
	global_store_b128 v116, v[84:87], s[2:3] offset:49152
	s_wait_loadcnt 0x0
	global_store_b128 v116, v[72:75], s[2:3] offset:49168
	s_branch .LBB38_2
.LBB38_132:
	s_clause 0x1
	s_load_b32 s6, s[34:35], 0x24
	s_load_b128 s[0:3], s[34:35], 0x28
	ds_load_u8 v0, v47
	v_dual_mov_b32 v31, v46 :: v_dual_mov_b32 v1, s36
	v_dual_mov_b32 v2, s37 :: v_dual_mov_b32 v3, s38
	;; [unrolled: 1-line block ×4, first 2 shown]
	s_add_nc_u64 s[8:9], s[34:35], 56
	s_get_pc_i64 s[4:5]
	s_add_nc_u64 s[4:5], s[4:5], _ZN2at6native25elementwise_kernel_helperILb1EN12_GLOBAL__N_110CalcIgammaIfEENS0_6memory8policies11unroll_baseILi512ESt5arrayIPcLm3EE23TrivialOffsetCalculatorILi2EjESB_ILi1EjENS5_12LoadWithCastILi2EEENS5_13StoreWithCastILi1EEELi32ELi1EEEEEvT0_T1_@rel64+4
	s_wait_kmcnt 0x0
	s_bfe_u32 s7, s6, 0x80008
	v_dual_mov_b32 v8, s6 :: v_dual_mov_b32 v10, s0
	v_dual_mov_b32 v11, s1 :: v_dual_mov_b32 v12, s2
	;; [unrolled: 1-line block ×3, first 2 shown]
	s_swap_pc_i64 s[30:31], s[4:5]
	s_endpgm
	.section	.rodata,"a",@progbits
	.p2align	6, 0x0
	.amdhsa_kernel _ZN2at6native39vectorized_templated_elementwise_kernelILi8EN12_GLOBAL__N_110CalcIgammaIfEESt5arrayIPcLm3EE23TrivialOffsetCalculatorILi2EjES8_ILi1EjENS0_6memory12LoadWithCastILi2EEENSB_13StoreWithCastILi1EEEfJN3c104HalfEfEEEviT0_T1_T2_T3_T4_T5_
		.amdhsa_group_segment_fixed_size 1024
		.amdhsa_private_segment_fixed_size 448
		.amdhsa_kernarg_size 312
		.amdhsa_user_sgpr_count 4
		.amdhsa_user_sgpr_dispatch_ptr 1
		.amdhsa_user_sgpr_queue_ptr 0
		.amdhsa_user_sgpr_kernarg_segment_ptr 1
		.amdhsa_user_sgpr_dispatch_id 0
		.amdhsa_user_sgpr_kernarg_preload_length 0
		.amdhsa_user_sgpr_kernarg_preload_offset 0
		.amdhsa_user_sgpr_private_segment_size 0
		.amdhsa_wavefront_size32 1
		.amdhsa_uses_dynamic_stack 0
		.amdhsa_enable_private_segment 1
		.amdhsa_system_sgpr_workgroup_id_x 1
		.amdhsa_system_sgpr_workgroup_id_y 0
		.amdhsa_system_sgpr_workgroup_id_z 0
		.amdhsa_system_sgpr_workgroup_info 0
		.amdhsa_system_vgpr_workitem_id 2
		.amdhsa_next_free_vgpr 214
		.amdhsa_next_free_sgpr 96
		.amdhsa_named_barrier_count 0
		.amdhsa_reserve_vcc 1
		.amdhsa_float_round_mode_32 0
		.amdhsa_float_round_mode_16_64 0
		.amdhsa_float_denorm_mode_32 3
		.amdhsa_float_denorm_mode_16_64 3
		.amdhsa_fp16_overflow 0
		.amdhsa_memory_ordered 1
		.amdhsa_forward_progress 1
		.amdhsa_inst_pref_size 23
		.amdhsa_round_robin_scheduling 0
		.amdhsa_exception_fp_ieee_invalid_op 0
		.amdhsa_exception_fp_denorm_src 0
		.amdhsa_exception_fp_ieee_div_zero 0
		.amdhsa_exception_fp_ieee_overflow 0
		.amdhsa_exception_fp_ieee_underflow 0
		.amdhsa_exception_fp_ieee_inexact 0
		.amdhsa_exception_int_div_zero 0
	.end_amdhsa_kernel
	.section	.text._ZN2at6native39vectorized_templated_elementwise_kernelILi8EN12_GLOBAL__N_110CalcIgammaIfEESt5arrayIPcLm3EE23TrivialOffsetCalculatorILi2EjES8_ILi1EjENS0_6memory12LoadWithCastILi2EEENSB_13StoreWithCastILi1EEEfJN3c104HalfEfEEEviT0_T1_T2_T3_T4_T5_,"axG",@progbits,_ZN2at6native39vectorized_templated_elementwise_kernelILi8EN12_GLOBAL__N_110CalcIgammaIfEESt5arrayIPcLm3EE23TrivialOffsetCalculatorILi2EjES8_ILi1EjENS0_6memory12LoadWithCastILi2EEENSB_13StoreWithCastILi1EEEfJN3c104HalfEfEEEviT0_T1_T2_T3_T4_T5_,comdat
.Lfunc_end38:
	.size	_ZN2at6native39vectorized_templated_elementwise_kernelILi8EN12_GLOBAL__N_110CalcIgammaIfEESt5arrayIPcLm3EE23TrivialOffsetCalculatorILi2EjES8_ILi1EjENS0_6memory12LoadWithCastILi2EEENSB_13StoreWithCastILi1EEEfJN3c104HalfEfEEEviT0_T1_T2_T3_T4_T5_, .Lfunc_end38-_ZN2at6native39vectorized_templated_elementwise_kernelILi8EN12_GLOBAL__N_110CalcIgammaIfEESt5arrayIPcLm3EE23TrivialOffsetCalculatorILi2EjES8_ILi1EjENS0_6memory12LoadWithCastILi2EEENSB_13StoreWithCastILi1EEEfJN3c104HalfEfEEEviT0_T1_T2_T3_T4_T5_
                                        ; -- End function
	.set _ZN2at6native39vectorized_templated_elementwise_kernelILi8EN12_GLOBAL__N_110CalcIgammaIfEESt5arrayIPcLm3EE23TrivialOffsetCalculatorILi2EjES8_ILi1EjENS0_6memory12LoadWithCastILi2EEENSB_13StoreWithCastILi1EEEfJN3c104HalfEfEEEviT0_T1_T2_T3_T4_T5_.num_vgpr, max(117, .L_ZN12_GLOBAL__N_111calc_igammaIfEET_S1_S1_.num_vgpr, .L_ZN12_GLOBAL__N_112calc_igammacIfEET_S1_S1_.num_vgpr, .L_ZN2at6native25elementwise_kernel_helperILb1EN12_GLOBAL__N_110CalcIgammaIfEENS0_6memory8policies11unroll_baseILi512ESt5arrayIPcLm3EE23TrivialOffsetCalculatorILi2EjESB_ILi1EjENS5_12LoadWithCastILi2EEENS5_13StoreWithCastILi1EEELi32ELi1EEEEEvT0_T1_.num_vgpr)
	.set _ZN2at6native39vectorized_templated_elementwise_kernelILi8EN12_GLOBAL__N_110CalcIgammaIfEESt5arrayIPcLm3EE23TrivialOffsetCalculatorILi2EjES8_ILi1EjENS0_6memory12LoadWithCastILi2EEENSB_13StoreWithCastILi1EEEfJN3c104HalfEfEEEviT0_T1_T2_T3_T4_T5_.num_agpr, max(0, .L_ZN12_GLOBAL__N_111calc_igammaIfEET_S1_S1_.num_agpr, .L_ZN12_GLOBAL__N_112calc_igammacIfEET_S1_S1_.num_agpr, .L_ZN2at6native25elementwise_kernel_helperILb1EN12_GLOBAL__N_110CalcIgammaIfEENS0_6memory8policies11unroll_baseILi512ESt5arrayIPcLm3EE23TrivialOffsetCalculatorILi2EjESB_ILi1EjENS5_12LoadWithCastILi2EEENS5_13StoreWithCastILi1EEELi32ELi1EEEEEvT0_T1_.num_agpr)
	.set _ZN2at6native39vectorized_templated_elementwise_kernelILi8EN12_GLOBAL__N_110CalcIgammaIfEESt5arrayIPcLm3EE23TrivialOffsetCalculatorILi2EjES8_ILi1EjENS0_6memory12LoadWithCastILi2EEENSB_13StoreWithCastILi1EEEfJN3c104HalfEfEEEviT0_T1_T2_T3_T4_T5_.numbered_sgpr, max(57, .L_ZN12_GLOBAL__N_111calc_igammaIfEET_S1_S1_.numbered_sgpr, .L_ZN12_GLOBAL__N_112calc_igammacIfEET_S1_S1_.numbered_sgpr, .L_ZN2at6native25elementwise_kernel_helperILb1EN12_GLOBAL__N_110CalcIgammaIfEENS0_6memory8policies11unroll_baseILi512ESt5arrayIPcLm3EE23TrivialOffsetCalculatorILi2EjESB_ILi1EjENS5_12LoadWithCastILi2EEENS5_13StoreWithCastILi1EEELi32ELi1EEEEEvT0_T1_.numbered_sgpr)
	.set _ZN2at6native39vectorized_templated_elementwise_kernelILi8EN12_GLOBAL__N_110CalcIgammaIfEESt5arrayIPcLm3EE23TrivialOffsetCalculatorILi2EjES8_ILi1EjENS0_6memory12LoadWithCastILi2EEENSB_13StoreWithCastILi1EEEfJN3c104HalfEfEEEviT0_T1_T2_T3_T4_T5_.num_named_barrier, max(0, .L_ZN12_GLOBAL__N_111calc_igammaIfEET_S1_S1_.num_named_barrier, .L_ZN12_GLOBAL__N_112calc_igammacIfEET_S1_S1_.num_named_barrier, .L_ZN2at6native25elementwise_kernel_helperILb1EN12_GLOBAL__N_110CalcIgammaIfEENS0_6memory8policies11unroll_baseILi512ESt5arrayIPcLm3EE23TrivialOffsetCalculatorILi2EjESB_ILi1EjENS5_12LoadWithCastILi2EEENS5_13StoreWithCastILi1EEELi32ELi1EEEEEvT0_T1_.num_named_barrier)
	.set _ZN2at6native39vectorized_templated_elementwise_kernelILi8EN12_GLOBAL__N_110CalcIgammaIfEESt5arrayIPcLm3EE23TrivialOffsetCalculatorILi2EjES8_ILi1EjENS0_6memory12LoadWithCastILi2EEENSB_13StoreWithCastILi1EEEfJN3c104HalfEfEEEviT0_T1_T2_T3_T4_T5_.private_seg_size, 0+max(.L_ZN12_GLOBAL__N_111calc_igammaIfEET_S1_S1_.private_seg_size, .L_ZN12_GLOBAL__N_112calc_igammacIfEET_S1_S1_.private_seg_size, .L_ZN2at6native25elementwise_kernel_helperILb1EN12_GLOBAL__N_110CalcIgammaIfEENS0_6memory8policies11unroll_baseILi512ESt5arrayIPcLm3EE23TrivialOffsetCalculatorILi2EjESB_ILi1EjENS5_12LoadWithCastILi2EEENS5_13StoreWithCastILi1EEELi32ELi1EEEEEvT0_T1_.private_seg_size)
	.set _ZN2at6native39vectorized_templated_elementwise_kernelILi8EN12_GLOBAL__N_110CalcIgammaIfEESt5arrayIPcLm3EE23TrivialOffsetCalculatorILi2EjES8_ILi1EjENS0_6memory12LoadWithCastILi2EEENSB_13StoreWithCastILi1EEEfJN3c104HalfEfEEEviT0_T1_T2_T3_T4_T5_.uses_vcc, or(1, .L_ZN12_GLOBAL__N_111calc_igammaIfEET_S1_S1_.uses_vcc, .L_ZN12_GLOBAL__N_112calc_igammacIfEET_S1_S1_.uses_vcc, .L_ZN2at6native25elementwise_kernel_helperILb1EN12_GLOBAL__N_110CalcIgammaIfEENS0_6memory8policies11unroll_baseILi512ESt5arrayIPcLm3EE23TrivialOffsetCalculatorILi2EjESB_ILi1EjENS5_12LoadWithCastILi2EEENS5_13StoreWithCastILi1EEELi32ELi1EEEEEvT0_T1_.uses_vcc)
	.set _ZN2at6native39vectorized_templated_elementwise_kernelILi8EN12_GLOBAL__N_110CalcIgammaIfEESt5arrayIPcLm3EE23TrivialOffsetCalculatorILi2EjES8_ILi1EjENS0_6memory12LoadWithCastILi2EEENSB_13StoreWithCastILi1EEEfJN3c104HalfEfEEEviT0_T1_T2_T3_T4_T5_.uses_flat_scratch, or(0, .L_ZN12_GLOBAL__N_111calc_igammaIfEET_S1_S1_.uses_flat_scratch, .L_ZN12_GLOBAL__N_112calc_igammacIfEET_S1_S1_.uses_flat_scratch, .L_ZN2at6native25elementwise_kernel_helperILb1EN12_GLOBAL__N_110CalcIgammaIfEENS0_6memory8policies11unroll_baseILi512ESt5arrayIPcLm3EE23TrivialOffsetCalculatorILi2EjESB_ILi1EjENS5_12LoadWithCastILi2EEENS5_13StoreWithCastILi1EEELi32ELi1EEEEEvT0_T1_.uses_flat_scratch)
	.set _ZN2at6native39vectorized_templated_elementwise_kernelILi8EN12_GLOBAL__N_110CalcIgammaIfEESt5arrayIPcLm3EE23TrivialOffsetCalculatorILi2EjES8_ILi1EjENS0_6memory12LoadWithCastILi2EEENSB_13StoreWithCastILi1EEEfJN3c104HalfEfEEEviT0_T1_T2_T3_T4_T5_.has_dyn_sized_stack, or(0, .L_ZN12_GLOBAL__N_111calc_igammaIfEET_S1_S1_.has_dyn_sized_stack, .L_ZN12_GLOBAL__N_112calc_igammacIfEET_S1_S1_.has_dyn_sized_stack, .L_ZN2at6native25elementwise_kernel_helperILb1EN12_GLOBAL__N_110CalcIgammaIfEENS0_6memory8policies11unroll_baseILi512ESt5arrayIPcLm3EE23TrivialOffsetCalculatorILi2EjESB_ILi1EjENS5_12LoadWithCastILi2EEENS5_13StoreWithCastILi1EEELi32ELi1EEEEEvT0_T1_.has_dyn_sized_stack)
	.set _ZN2at6native39vectorized_templated_elementwise_kernelILi8EN12_GLOBAL__N_110CalcIgammaIfEESt5arrayIPcLm3EE23TrivialOffsetCalculatorILi2EjES8_ILi1EjENS0_6memory12LoadWithCastILi2EEENSB_13StoreWithCastILi1EEEfJN3c104HalfEfEEEviT0_T1_T2_T3_T4_T5_.has_recursion, or(0, .L_ZN12_GLOBAL__N_111calc_igammaIfEET_S1_S1_.has_recursion, .L_ZN12_GLOBAL__N_112calc_igammacIfEET_S1_S1_.has_recursion, .L_ZN2at6native25elementwise_kernel_helperILb1EN12_GLOBAL__N_110CalcIgammaIfEENS0_6memory8policies11unroll_baseILi512ESt5arrayIPcLm3EE23TrivialOffsetCalculatorILi2EjESB_ILi1EjENS5_12LoadWithCastILi2EEENS5_13StoreWithCastILi1EEELi32ELi1EEEEEvT0_T1_.has_recursion)
	.set _ZN2at6native39vectorized_templated_elementwise_kernelILi8EN12_GLOBAL__N_110CalcIgammaIfEESt5arrayIPcLm3EE23TrivialOffsetCalculatorILi2EjES8_ILi1EjENS0_6memory12LoadWithCastILi2EEENSB_13StoreWithCastILi1EEEfJN3c104HalfEfEEEviT0_T1_T2_T3_T4_T5_.has_indirect_call, or(0, .L_ZN12_GLOBAL__N_111calc_igammaIfEET_S1_S1_.has_indirect_call, .L_ZN12_GLOBAL__N_112calc_igammacIfEET_S1_S1_.has_indirect_call, .L_ZN2at6native25elementwise_kernel_helperILb1EN12_GLOBAL__N_110CalcIgammaIfEENS0_6memory8policies11unroll_baseILi512ESt5arrayIPcLm3EE23TrivialOffsetCalculatorILi2EjESB_ILi1EjENS5_12LoadWithCastILi2EEENS5_13StoreWithCastILi1EEELi32ELi1EEEEEvT0_T1_.has_indirect_call)
	.section	.AMDGPU.csdata,"",@progbits
; Kernel info:
; codeLenInByte = 2880
; TotalNumSgprs: 98
; NumVgprs: 214
; ScratchSize: 448
; MemoryBound: 0
; FloatMode: 240
; IeeeMode: 1
; LDSByteSize: 1024 bytes/workgroup (compile time only)
; SGPRBlocks: 0
; VGPRBlocks: 13
; NumSGPRsForWavesPerEU: 98
; NumVGPRsForWavesPerEU: 214
; NamedBarCnt: 0
; Occupancy: 4
; WaveLimiterHint : 0
; COMPUTE_PGM_RSRC2:SCRATCH_EN: 1
; COMPUTE_PGM_RSRC2:USER_SGPR: 4
; COMPUTE_PGM_RSRC2:TRAP_HANDLER: 0
; COMPUTE_PGM_RSRC2:TGID_X_EN: 1
; COMPUTE_PGM_RSRC2:TGID_Y_EN: 0
; COMPUTE_PGM_RSRC2:TGID_Z_EN: 0
; COMPUTE_PGM_RSRC2:TIDIG_COMP_CNT: 2
	.section	.text._ZN2at6native39vectorized_templated_elementwise_kernelILi4EN12_GLOBAL__N_110CalcIgammaIfEESt5arrayIPcLm3EE23TrivialOffsetCalculatorILi2EjES8_ILi1EjENS0_6memory12LoadWithCastILi2EEENSB_13StoreWithCastILi1EEEfJN3c104HalfEfEEEviT0_T1_T2_T3_T4_T5_,"axG",@progbits,_ZN2at6native39vectorized_templated_elementwise_kernelILi4EN12_GLOBAL__N_110CalcIgammaIfEESt5arrayIPcLm3EE23TrivialOffsetCalculatorILi2EjES8_ILi1EjENS0_6memory12LoadWithCastILi2EEENSB_13StoreWithCastILi1EEEfJN3c104HalfEfEEEviT0_T1_T2_T3_T4_T5_,comdat
	.globl	_ZN2at6native39vectorized_templated_elementwise_kernelILi4EN12_GLOBAL__N_110CalcIgammaIfEESt5arrayIPcLm3EE23TrivialOffsetCalculatorILi2EjES8_ILi1EjENS0_6memory12LoadWithCastILi2EEENSB_13StoreWithCastILi1EEEfJN3c104HalfEfEEEviT0_T1_T2_T3_T4_T5_ ; -- Begin function _ZN2at6native39vectorized_templated_elementwise_kernelILi4EN12_GLOBAL__N_110CalcIgammaIfEESt5arrayIPcLm3EE23TrivialOffsetCalculatorILi2EjES8_ILi1EjENS0_6memory12LoadWithCastILi2EEENSB_13StoreWithCastILi1EEEfJN3c104HalfEfEEEviT0_T1_T2_T3_T4_T5_
	.p2align	8
	.type	_ZN2at6native39vectorized_templated_elementwise_kernelILi4EN12_GLOBAL__N_110CalcIgammaIfEESt5arrayIPcLm3EE23TrivialOffsetCalculatorILi2EjES8_ILi1EjENS0_6memory12LoadWithCastILi2EEENSB_13StoreWithCastILi1EEEfJN3c104HalfEfEEEviT0_T1_T2_T3_T4_T5_,@function
_ZN2at6native39vectorized_templated_elementwise_kernelILi4EN12_GLOBAL__N_110CalcIgammaIfEESt5arrayIPcLm3EE23TrivialOffsetCalculatorILi2EjES8_ILi1EjENS0_6memory12LoadWithCastILi2EEENSB_13StoreWithCastILi1EEEfJN3c104HalfEfEEEviT0_T1_T2_T3_T4_T5_: ; @_ZN2at6native39vectorized_templated_elementwise_kernelILi4EN12_GLOBAL__N_110CalcIgammaIfEESt5arrayIPcLm3EE23TrivialOffsetCalculatorILi2EjES8_ILi1EjENS0_6memory12LoadWithCastILi2EEENSB_13StoreWithCastILi1EEEfJN3c104HalfEfEEEviT0_T1_T2_T3_T4_T5_
; %bb.0:
	s_mov_b64 s[34:35], s[2:3]
	s_load_b64 s[2:3], s[0:1], 0x4
	s_clause 0x2
	s_load_b64 s[4:5], s[34:35], 0x0
	s_load_b64 s[46:47], s[34:35], 0x18
	s_load_b32 s6, s[34:35], 0x38
	s_wait_xcnt 0x0
	s_bfe_u32 s1, ttmp6, 0x4000c
	s_and_b32 s0, ttmp6, 15
	s_add_co_i32 s1, s1, 1
	s_load_b128 s[36:39], s[34:35], 0x8
	s_mul_i32 s1, ttmp9, s1
	s_getreg_b32 s7, hwreg(HW_REG_IB_STS2, 6, 4)
	s_add_co_i32 s0, s0, s1
	s_mov_b32 s32, 0
	s_wait_kmcnt 0x0
	s_lshr_b32 s2, s2, 16
	s_and_b32 s1, s5, 1
	v_mov_b32_e32 v100, v0
	s_mul_i32 s2, s2, s3
	s_cmp_eq_u32 s7, 0
	s_cselect_b32 s0, ttmp9, s0
	s_delay_alu instid0(VALU_DEP_1) | instskip(SKIP_3) | instid1(VALU_DEP_3)
	v_and_b32_e32 v114, 0x3ff, v100
	v_bfe_u32 v0, v100, 10, 10
	v_bfe_u32 v2, v100, 20, 10
	s_not_b32 s0, s0
	v_mul_lo_u32 v1, s2, v114
	s_delay_alu instid0(VALU_DEP_3) | instskip(SKIP_1) | instid1(SALU_CYCLE_1)
	v_mul_u32_u24_e32 v0, s3, v0
	s_add_co_i32 s6, s6, s0
	s_lshl_b32 s0, s6, 14
	s_delay_alu instid0(SALU_CYCLE_1) | instskip(NEXT) | instid1(SALU_CYCLE_1)
	s_sub_co_i32 s54, s4, s0
	s_cmp_gt_i32 s54, 0x3fff
	s_delay_alu instid0(VALU_DEP_2)
	v_add3_u32 v101, v1, v0, v2
	v_mov_b32_e32 v0, s1
	s_mov_b32 s1, -1
	ds_store_b8 v101, v0
	s_cbranch_scc1 .LBB39_3
; %bb.1:
	s_and_b32 vcc_lo, exec_lo, s1
	s_cbranch_vccnz .LBB39_132
.LBB39_2:
	s_endpgm
.LBB39_3:
	s_ashr_i32 s1, s0, 31
	s_get_pc_i64 s[50:51]
	s_add_nc_u64 s[50:51], s[50:51], _ZN12_GLOBAL__N_111calc_igammaIfEET_S1_S1_@rel64+4
	s_lshl_b64 s[2:3], s[0:1], 1
	s_lshl_b64 s[48:49], s[0:1], 2
	s_add_nc_u64 s[2:3], s[38:39], s[2:3]
	s_add_nc_u64 s[0:1], s[46:47], s[48:49]
	s_clause 0xf
	global_load_b64 v[60:61], v114, s[2:3] scale_offset
	global_load_b64 v[62:63], v114, s[2:3] offset:4096 scale_offset
	global_load_b64 v[112:113], v114, s[2:3] offset:8192 scale_offset
	;; [unrolled: 1-line block ×7, first 2 shown]
	global_load_b128 v[44:47], v114, s[0:1] scale_offset
	global_load_b128 v[76:79], v114, s[0:1] offset:8192 scale_offset
	global_load_b128 v[88:91], v114, s[0:1] offset:16384 scale_offset
	;; [unrolled: 1-line block ×7, first 2 shown]
	ds_load_u8 v0, v101
                                        ; implicit-def: $vgpr42
	s_wait_dscnt 0x0
	v_and_b32_e32 v1, 1, v0
	s_delay_alu instid0(VALU_DEP_1)
	v_cmp_eq_u32_e32 vcc_lo, 1, v1
	ds_store_b8 v101, v1 offset:512
	s_xor_b32 s55, vcc_lo, -1
	s_wait_loadcnt 0xf
	v_cvt_f32_f16_e32 v0, v60
	s_wait_xcnt 0x0
	s_and_saveexec_b32 s0, s55
	s_delay_alu instid0(SALU_CYCLE_1)
	s_xor_b32 s52, exec_lo, s0
	s_cbranch_execz .LBB39_5
; %bb.4:
	s_wait_loadcnt 0x7
	v_mov_b32_e32 v1, v44
	s_swap_pc_i64 s[30:31], s[50:51]
	v_mov_b32_e32 v42, v0
                                        ; implicit-def: $vgpr0
.LBB39_5:
	s_or_saveexec_b32 s26, s52
	s_get_pc_i64 s[52:53]
	s_add_nc_u64 s[52:53], s[52:53], _ZN12_GLOBAL__N_112calc_igammacIfEET_S1_S1_@rel64+4
	s_xor_b32 exec_lo, exec_lo, s26
	s_cbranch_execz .LBB39_7
; %bb.6:
	s_wait_loadcnt 0x7
	v_mov_b32_e32 v1, v44
	s_swap_pc_i64 s[30:31], s[52:53]
	v_mov_b32_e32 v42, v0
.LBB39_7:
	s_or_b32 exec_lo, exec_lo, s26
	v_lshrrev_b32_e32 v0, 16, v60
	s_delay_alu instid0(VALU_DEP_1) | instskip(SKIP_1) | instid1(SALU_CYCLE_1)
	v_cvt_f32_f16_e32 v0, v0
	s_and_saveexec_b32 s0, s55
	s_xor_b32 s56, exec_lo, s0
	s_cbranch_execz .LBB39_9
; %bb.8:
	s_wait_loadcnt 0x7
	v_mov_b32_e32 v1, v45
	s_swap_pc_i64 s[30:31], s[50:51]
	v_mov_b32_e32 v43, v0
                                        ; implicit-def: $vgpr0
.LBB39_9:
	s_and_not1_saveexec_b32 s26, s56
	s_cbranch_execz .LBB39_11
; %bb.10:
	s_wait_loadcnt 0x7
	v_mov_b32_e32 v1, v45
	s_swap_pc_i64 s[30:31], s[52:53]
	v_mov_b32_e32 v43, v0
.LBB39_11:
	s_or_b32 exec_lo, exec_lo, s26
	v_cvt_f32_f16_e32 v0, v61
	s_and_saveexec_b32 s0, s55
	s_delay_alu instid0(SALU_CYCLE_1)
	s_xor_b32 s56, exec_lo, s0
	s_cbranch_execz .LBB39_13
; %bb.12:
	s_wait_loadcnt 0x7
	v_mov_b32_e32 v1, v46
	s_swap_pc_i64 s[30:31], s[50:51]
	v_mov_b32_e32 v44, v0
                                        ; implicit-def: $vgpr0
.LBB39_13:
	s_and_not1_saveexec_b32 s26, s56
	s_cbranch_execz .LBB39_15
; %bb.14:
	s_wait_loadcnt 0x7
	v_mov_b32_e32 v1, v46
	s_swap_pc_i64 s[30:31], s[52:53]
	v_mov_b32_e32 v44, v0
.LBB39_15:
	s_or_b32 exec_lo, exec_lo, s26
	v_lshrrev_b32_e32 v0, 16, v61
	s_delay_alu instid0(VALU_DEP_1) | instskip(SKIP_1) | instid1(SALU_CYCLE_1)
	v_cvt_f32_f16_e32 v0, v0
	s_and_saveexec_b32 s0, s55
	s_xor_b32 s56, exec_lo, s0
	s_cbranch_execz .LBB39_17
; %bb.16:
	s_wait_loadcnt 0x7
	v_mov_b32_e32 v1, v47
	s_swap_pc_i64 s[30:31], s[50:51]
	v_mov_b32_e32 v45, v0
                                        ; implicit-def: $vgpr0
                                        ; implicit-def: $vgpr47
.LBB39_17:
	s_and_not1_saveexec_b32 s26, s56
	s_cbranch_execz .LBB39_19
; %bb.18:
	s_wait_loadcnt 0x7
	v_mov_b32_e32 v1, v47
	s_swap_pc_i64 s[30:31], s[52:53]
	v_mov_b32_e32 v45, v0
.LBB39_19:
	s_or_b32 exec_lo, exec_lo, s26
	s_wait_loadcnt 0xe
	v_cvt_f32_f16_e32 v0, v62
                                        ; implicit-def: $vgpr60
	s_and_saveexec_b32 s0, s55
	s_delay_alu instid0(SALU_CYCLE_1)
	s_xor_b32 s56, exec_lo, s0
	s_cbranch_execz .LBB39_21
; %bb.20:
	s_wait_loadcnt 0x6
	v_mov_b32_e32 v1, v76
	s_swap_pc_i64 s[30:31], s[50:51]
	v_mov_b32_e32 v60, v0
                                        ; implicit-def: $vgpr0
.LBB39_21:
	s_and_not1_saveexec_b32 s26, s56
	s_cbranch_execz .LBB39_23
; %bb.22:
	s_wait_loadcnt 0x6
	v_mov_b32_e32 v1, v76
	s_swap_pc_i64 s[30:31], s[52:53]
	v_mov_b32_e32 v60, v0
.LBB39_23:
	s_or_b32 exec_lo, exec_lo, s26
	v_lshrrev_b32_e32 v0, 16, v62
	s_delay_alu instid0(VALU_DEP_1) | instskip(SKIP_1) | instid1(SALU_CYCLE_1)
	v_cvt_f32_f16_e32 v0, v0
	s_and_saveexec_b32 s0, s55
	s_xor_b32 s56, exec_lo, s0
	s_cbranch_execz .LBB39_25
; %bb.24:
	s_wait_loadcnt 0x6
	v_mov_b32_e32 v1, v77
	s_swap_pc_i64 s[30:31], s[50:51]
	v_mov_b32_e32 v61, v0
                                        ; implicit-def: $vgpr0
.LBB39_25:
	s_and_not1_saveexec_b32 s26, s56
	s_cbranch_execz .LBB39_27
; %bb.26:
	s_wait_loadcnt 0x6
	v_mov_b32_e32 v1, v77
	s_swap_pc_i64 s[30:31], s[52:53]
	v_mov_b32_e32 v61, v0
.LBB39_27:
	s_or_b32 exec_lo, exec_lo, s26
	v_cvt_f32_f16_e32 v0, v63
	s_and_saveexec_b32 s0, s55
	s_delay_alu instid0(SALU_CYCLE_1)
	s_xor_b32 s56, exec_lo, s0
	s_cbranch_execz .LBB39_29
; %bb.28:
	s_wait_loadcnt 0x6
	v_mov_b32_e32 v1, v78
	s_swap_pc_i64 s[30:31], s[50:51]
	v_mov_b32_e32 v62, v0
                                        ; implicit-def: $vgpr0
.LBB39_29:
	s_and_not1_saveexec_b32 s26, s56
	s_cbranch_execz .LBB39_31
; %bb.30:
	s_wait_loadcnt 0x6
	v_mov_b32_e32 v1, v78
	s_swap_pc_i64 s[30:31], s[52:53]
	v_mov_b32_e32 v62, v0
.LBB39_31:
	s_or_b32 exec_lo, exec_lo, s26
	v_lshrrev_b32_e32 v0, 16, v63
	s_delay_alu instid0(VALU_DEP_1) | instskip(SKIP_1) | instid1(SALU_CYCLE_1)
	v_cvt_f32_f16_e32 v0, v0
	s_and_saveexec_b32 s0, s55
	s_xor_b32 s56, exec_lo, s0
	s_cbranch_execz .LBB39_33
; %bb.32:
	s_wait_loadcnt 0x6
	v_mov_b32_e32 v1, v79
	s_swap_pc_i64 s[30:31], s[50:51]
	v_mov_b32_e32 v63, v0
                                        ; implicit-def: $vgpr0
                                        ; implicit-def: $vgpr79
.LBB39_33:
	s_and_not1_saveexec_b32 s26, s56
	s_cbranch_execz .LBB39_35
; %bb.34:
	s_wait_loadcnt 0x6
	v_mov_b32_e32 v1, v79
	s_swap_pc_i64 s[30:31], s[52:53]
	v_mov_b32_e32 v63, v0
.LBB39_35:
	s_or_b32 exec_lo, exec_lo, s26
	s_wait_loadcnt 0xd
	v_cvt_f32_f16_e32 v0, v112
                                        ; implicit-def: $vgpr76
	s_and_saveexec_b32 s0, s55
	s_delay_alu instid0(SALU_CYCLE_1)
	s_xor_b32 s56, exec_lo, s0
	s_cbranch_execz .LBB39_37
; %bb.36:
	s_wait_loadcnt 0x5
	v_mov_b32_e32 v1, v88
	s_swap_pc_i64 s[30:31], s[50:51]
	v_mov_b32_e32 v76, v0
                                        ; implicit-def: $vgpr0
.LBB39_37:
	s_and_not1_saveexec_b32 s26, s56
	s_cbranch_execz .LBB39_39
; %bb.38:
	s_wait_loadcnt 0x5
	v_mov_b32_e32 v1, v88
	s_swap_pc_i64 s[30:31], s[52:53]
	v_mov_b32_e32 v76, v0
.LBB39_39:
	s_or_b32 exec_lo, exec_lo, s26
	v_lshrrev_b32_e32 v0, 16, v112
	s_delay_alu instid0(VALU_DEP_1) | instskip(SKIP_1) | instid1(SALU_CYCLE_1)
	v_cvt_f32_f16_e32 v0, v0
	s_and_saveexec_b32 s0, s55
	s_xor_b32 s56, exec_lo, s0
	s_cbranch_execz .LBB39_41
; %bb.40:
	s_wait_loadcnt 0x5
	v_mov_b32_e32 v1, v89
	s_swap_pc_i64 s[30:31], s[50:51]
	v_mov_b32_e32 v77, v0
                                        ; implicit-def: $vgpr0
.LBB39_41:
	s_and_not1_saveexec_b32 s26, s56
	s_cbranch_execz .LBB39_43
; %bb.42:
	s_wait_loadcnt 0x5
	v_mov_b32_e32 v1, v89
	s_swap_pc_i64 s[30:31], s[52:53]
	v_mov_b32_e32 v77, v0
.LBB39_43:
	s_or_b32 exec_lo, exec_lo, s26
	v_cvt_f32_f16_e32 v0, v113
	s_and_saveexec_b32 s0, s55
	s_delay_alu instid0(SALU_CYCLE_1)
	s_xor_b32 s56, exec_lo, s0
	s_cbranch_execz .LBB39_45
; %bb.44:
	s_wait_loadcnt 0x5
	v_mov_b32_e32 v1, v90
	s_swap_pc_i64 s[30:31], s[50:51]
	v_mov_b32_e32 v78, v0
                                        ; implicit-def: $vgpr0
.LBB39_45:
	s_and_not1_saveexec_b32 s26, s56
	s_cbranch_execz .LBB39_47
; %bb.46:
	s_wait_loadcnt 0x5
	v_mov_b32_e32 v1, v90
	s_swap_pc_i64 s[30:31], s[52:53]
	v_mov_b32_e32 v78, v0
.LBB39_47:
	s_or_b32 exec_lo, exec_lo, s26
	v_lshrrev_b32_e32 v0, 16, v113
	s_delay_alu instid0(VALU_DEP_1) | instskip(SKIP_1) | instid1(SALU_CYCLE_1)
	v_cvt_f32_f16_e32 v0, v0
	s_and_saveexec_b32 s0, s55
	s_xor_b32 s56, exec_lo, s0
	s_cbranch_execz .LBB39_49
; %bb.48:
	s_wait_loadcnt 0x5
	v_mov_b32_e32 v1, v91
	s_swap_pc_i64 s[30:31], s[50:51]
	v_mov_b32_e32 v79, v0
                                        ; implicit-def: $vgpr0
                                        ; implicit-def: $vgpr91
.LBB39_49:
	s_and_not1_saveexec_b32 s26, s56
	s_cbranch_execz .LBB39_51
; %bb.50:
	s_wait_loadcnt 0x5
	v_mov_b32_e32 v1, v91
	s_swap_pc_i64 s[30:31], s[52:53]
	v_mov_b32_e32 v79, v0
.LBB39_51:
	s_or_b32 exec_lo, exec_lo, s26
	s_wait_loadcnt 0xc
	v_cvt_f32_f16_e32 v0, v110
                                        ; implicit-def: $vgpr88
	s_and_saveexec_b32 s0, s55
	s_delay_alu instid0(SALU_CYCLE_1)
	s_xor_b32 s56, exec_lo, s0
	s_cbranch_execz .LBB39_53
; %bb.52:
	s_wait_loadcnt 0x4
	v_mov_b32_e32 v1, v96
	s_swap_pc_i64 s[30:31], s[50:51]
	v_mov_b32_e32 v88, v0
                                        ; implicit-def: $vgpr0
.LBB39_53:
	s_and_not1_saveexec_b32 s26, s56
	s_cbranch_execz .LBB39_55
; %bb.54:
	s_wait_loadcnt 0x4
	v_mov_b32_e32 v1, v96
	s_swap_pc_i64 s[30:31], s[52:53]
	v_mov_b32_e32 v88, v0
.LBB39_55:
	s_or_b32 exec_lo, exec_lo, s26
	v_lshrrev_b32_e32 v0, 16, v110
	s_delay_alu instid0(VALU_DEP_1) | instskip(SKIP_1) | instid1(SALU_CYCLE_1)
	v_cvt_f32_f16_e32 v0, v0
	s_and_saveexec_b32 s0, s55
	s_xor_b32 s56, exec_lo, s0
	s_cbranch_execz .LBB39_57
; %bb.56:
	s_wait_loadcnt 0x4
	v_mov_b32_e32 v1, v97
	s_swap_pc_i64 s[30:31], s[50:51]
	v_mov_b32_e32 v89, v0
                                        ; implicit-def: $vgpr0
.LBB39_57:
	s_and_not1_saveexec_b32 s26, s56
	s_cbranch_execz .LBB39_59
; %bb.58:
	s_wait_loadcnt 0x4
	v_mov_b32_e32 v1, v97
	s_swap_pc_i64 s[30:31], s[52:53]
	v_mov_b32_e32 v89, v0
.LBB39_59:
	s_or_b32 exec_lo, exec_lo, s26
	v_cvt_f32_f16_e32 v0, v111
	s_and_saveexec_b32 s0, s55
	s_delay_alu instid0(SALU_CYCLE_1)
	s_xor_b32 s56, exec_lo, s0
	s_cbranch_execz .LBB39_61
; %bb.60:
	s_wait_loadcnt 0x4
	v_mov_b32_e32 v1, v98
	s_swap_pc_i64 s[30:31], s[50:51]
	v_mov_b32_e32 v90, v0
                                        ; implicit-def: $vgpr0
.LBB39_61:
	s_and_not1_saveexec_b32 s26, s56
	s_cbranch_execz .LBB39_63
; %bb.62:
	s_wait_loadcnt 0x4
	v_mov_b32_e32 v1, v98
	s_swap_pc_i64 s[30:31], s[52:53]
	v_mov_b32_e32 v90, v0
.LBB39_63:
	s_or_b32 exec_lo, exec_lo, s26
	v_lshrrev_b32_e32 v0, 16, v111
	s_delay_alu instid0(VALU_DEP_1) | instskip(SKIP_1) | instid1(SALU_CYCLE_1)
	v_cvt_f32_f16_e32 v0, v0
	s_and_saveexec_b32 s0, s55
	s_xor_b32 s56, exec_lo, s0
	s_cbranch_execz .LBB39_65
; %bb.64:
	s_wait_loadcnt 0x4
	v_mov_b32_e32 v1, v99
	s_swap_pc_i64 s[30:31], s[50:51]
	v_mov_b32_e32 v91, v0
                                        ; implicit-def: $vgpr0
                                        ; implicit-def: $vgpr99
.LBB39_65:
	s_and_not1_saveexec_b32 s26, s56
	s_cbranch_execz .LBB39_67
; %bb.66:
	s_wait_loadcnt 0x4
	v_mov_b32_e32 v1, v99
	s_swap_pc_i64 s[30:31], s[52:53]
	v_mov_b32_e32 v91, v0
.LBB39_67:
	s_or_b32 exec_lo, exec_lo, s26
	s_wait_loadcnt 0xb
	v_cvt_f32_f16_e32 v0, v108
                                        ; implicit-def: $vgpr96
	s_and_saveexec_b32 s0, s55
	s_delay_alu instid0(SALU_CYCLE_1)
	s_xor_b32 s56, exec_lo, s0
	s_cbranch_execz .LBB39_69
; %bb.68:
	s_wait_loadcnt 0x3
	v_mov_b32_e32 v1, v92
	s_swap_pc_i64 s[30:31], s[50:51]
	v_mov_b32_e32 v96, v0
                                        ; implicit-def: $vgpr0
.LBB39_69:
	s_and_not1_saveexec_b32 s26, s56
	s_cbranch_execz .LBB39_71
; %bb.70:
	s_wait_loadcnt 0x3
	v_mov_b32_e32 v1, v92
	s_swap_pc_i64 s[30:31], s[52:53]
	v_mov_b32_e32 v96, v0
.LBB39_71:
	s_or_b32 exec_lo, exec_lo, s26
	v_lshrrev_b32_e32 v0, 16, v108
	s_delay_alu instid0(VALU_DEP_1) | instskip(SKIP_1) | instid1(SALU_CYCLE_1)
	v_cvt_f32_f16_e32 v0, v0
	s_and_saveexec_b32 s0, s55
	s_xor_b32 s56, exec_lo, s0
	s_cbranch_execz .LBB39_73
; %bb.72:
	s_wait_loadcnt 0x3
	v_mov_b32_e32 v1, v93
	s_swap_pc_i64 s[30:31], s[50:51]
	v_mov_b32_e32 v97, v0
                                        ; implicit-def: $vgpr0
.LBB39_73:
	s_and_not1_saveexec_b32 s26, s56
	s_cbranch_execz .LBB39_75
; %bb.74:
	s_wait_loadcnt 0x3
	v_mov_b32_e32 v1, v93
	s_swap_pc_i64 s[30:31], s[52:53]
	v_mov_b32_e32 v97, v0
.LBB39_75:
	s_or_b32 exec_lo, exec_lo, s26
	v_cvt_f32_f16_e32 v0, v109
	s_and_saveexec_b32 s0, s55
	s_delay_alu instid0(SALU_CYCLE_1)
	s_xor_b32 s56, exec_lo, s0
	s_cbranch_execz .LBB39_77
; %bb.76:
	s_wait_loadcnt 0x3
	v_mov_b32_e32 v1, v94
	s_swap_pc_i64 s[30:31], s[50:51]
	v_mov_b32_e32 v98, v0
                                        ; implicit-def: $vgpr0
.LBB39_77:
	s_and_not1_saveexec_b32 s26, s56
	s_cbranch_execz .LBB39_79
; %bb.78:
	s_wait_loadcnt 0x3
	v_mov_b32_e32 v1, v94
	s_swap_pc_i64 s[30:31], s[52:53]
	v_mov_b32_e32 v98, v0
.LBB39_79:
	s_or_b32 exec_lo, exec_lo, s26
	v_lshrrev_b32_e32 v0, 16, v109
	s_delay_alu instid0(VALU_DEP_1) | instskip(SKIP_1) | instid1(SALU_CYCLE_1)
	v_cvt_f32_f16_e32 v0, v0
	s_and_saveexec_b32 s0, s55
	s_xor_b32 s56, exec_lo, s0
	s_cbranch_execz .LBB39_81
; %bb.80:
	s_wait_loadcnt 0x3
	v_mov_b32_e32 v1, v95
	s_swap_pc_i64 s[30:31], s[50:51]
	v_mov_b32_e32 v99, v0
                                        ; implicit-def: $vgpr0
                                        ; implicit-def: $vgpr95
.LBB39_81:
	s_and_not1_saveexec_b32 s26, s56
	s_cbranch_execz .LBB39_83
; %bb.82:
	s_wait_loadcnt 0x3
	v_mov_b32_e32 v1, v95
	s_swap_pc_i64 s[30:31], s[52:53]
	v_mov_b32_e32 v99, v0
.LBB39_83:
	s_or_b32 exec_lo, exec_lo, s26
	s_wait_loadcnt 0xa
	v_cvt_f32_f16_e32 v0, v106
                                        ; implicit-def: $vgpr92
	s_and_saveexec_b32 s0, s55
	s_delay_alu instid0(SALU_CYCLE_1)
	s_xor_b32 s56, exec_lo, s0
	s_cbranch_execz .LBB39_85
; %bb.84:
	s_wait_loadcnt 0x2
	v_mov_b32_e32 v1, v84
	s_swap_pc_i64 s[30:31], s[50:51]
	v_mov_b32_e32 v92, v0
                                        ; implicit-def: $vgpr0
.LBB39_85:
	s_and_not1_saveexec_b32 s26, s56
	s_cbranch_execz .LBB39_87
; %bb.86:
	s_wait_loadcnt 0x2
	v_mov_b32_e32 v1, v84
	s_swap_pc_i64 s[30:31], s[52:53]
	v_mov_b32_e32 v92, v0
.LBB39_87:
	s_or_b32 exec_lo, exec_lo, s26
	v_lshrrev_b32_e32 v0, 16, v106
	s_delay_alu instid0(VALU_DEP_1) | instskip(SKIP_1) | instid1(SALU_CYCLE_1)
	v_cvt_f32_f16_e32 v0, v0
	s_and_saveexec_b32 s0, s55
	s_xor_b32 s56, exec_lo, s0
	s_cbranch_execz .LBB39_89
; %bb.88:
	s_wait_loadcnt 0x2
	v_mov_b32_e32 v1, v85
	s_swap_pc_i64 s[30:31], s[50:51]
	v_mov_b32_e32 v93, v0
                                        ; implicit-def: $vgpr0
.LBB39_89:
	s_and_not1_saveexec_b32 s26, s56
	s_cbranch_execz .LBB39_91
; %bb.90:
	s_wait_loadcnt 0x2
	v_mov_b32_e32 v1, v85
	s_swap_pc_i64 s[30:31], s[52:53]
	v_mov_b32_e32 v93, v0
.LBB39_91:
	s_or_b32 exec_lo, exec_lo, s26
	v_cvt_f32_f16_e32 v0, v107
	s_and_saveexec_b32 s0, s55
	s_delay_alu instid0(SALU_CYCLE_1)
	s_xor_b32 s56, exec_lo, s0
	s_cbranch_execz .LBB39_93
; %bb.92:
	s_wait_loadcnt 0x2
	v_mov_b32_e32 v1, v86
	s_swap_pc_i64 s[30:31], s[50:51]
	v_mov_b32_e32 v94, v0
                                        ; implicit-def: $vgpr0
.LBB39_93:
	s_and_not1_saveexec_b32 s26, s56
	s_cbranch_execz .LBB39_95
; %bb.94:
	s_wait_loadcnt 0x2
	v_mov_b32_e32 v1, v86
	s_swap_pc_i64 s[30:31], s[52:53]
	v_mov_b32_e32 v94, v0
.LBB39_95:
	s_or_b32 exec_lo, exec_lo, s26
	v_lshrrev_b32_e32 v0, 16, v107
	s_delay_alu instid0(VALU_DEP_1) | instskip(SKIP_1) | instid1(SALU_CYCLE_1)
	v_cvt_f32_f16_e32 v0, v0
	s_and_saveexec_b32 s0, s55
	s_xor_b32 s56, exec_lo, s0
	s_cbranch_execz .LBB39_97
; %bb.96:
	s_wait_loadcnt 0x2
	v_mov_b32_e32 v1, v87
	s_swap_pc_i64 s[30:31], s[50:51]
	v_mov_b32_e32 v95, v0
                                        ; implicit-def: $vgpr0
                                        ; implicit-def: $vgpr87
.LBB39_97:
	s_and_not1_saveexec_b32 s26, s56
	s_cbranch_execz .LBB39_99
; %bb.98:
	s_wait_loadcnt 0x2
	v_mov_b32_e32 v1, v87
	s_swap_pc_i64 s[30:31], s[52:53]
	v_mov_b32_e32 v95, v0
.LBB39_99:
	s_or_b32 exec_lo, exec_lo, s26
	s_wait_loadcnt 0x9
	v_cvt_f32_f16_e32 v0, v104
                                        ; implicit-def: $vgpr84
	s_and_saveexec_b32 s0, s55
	s_delay_alu instid0(SALU_CYCLE_1)
	s_xor_b32 s56, exec_lo, s0
	s_cbranch_execz .LBB39_101
; %bb.100:
	s_wait_loadcnt 0x1
	v_mov_b32_e32 v1, v72
	s_swap_pc_i64 s[30:31], s[50:51]
	v_mov_b32_e32 v84, v0
                                        ; implicit-def: $vgpr0
.LBB39_101:
	s_and_not1_saveexec_b32 s26, s56
	s_cbranch_execz .LBB39_103
; %bb.102:
	s_wait_loadcnt 0x1
	v_mov_b32_e32 v1, v72
	s_swap_pc_i64 s[30:31], s[52:53]
	v_mov_b32_e32 v84, v0
.LBB39_103:
	s_or_b32 exec_lo, exec_lo, s26
	v_lshrrev_b32_e32 v0, 16, v104
	s_delay_alu instid0(VALU_DEP_1) | instskip(SKIP_1) | instid1(SALU_CYCLE_1)
	v_cvt_f32_f16_e32 v0, v0
	s_and_saveexec_b32 s0, s55
	s_xor_b32 s56, exec_lo, s0
	s_cbranch_execz .LBB39_105
; %bb.104:
	s_wait_loadcnt 0x1
	v_mov_b32_e32 v1, v73
	s_swap_pc_i64 s[30:31], s[50:51]
	v_mov_b32_e32 v85, v0
                                        ; implicit-def: $vgpr0
.LBB39_105:
	s_and_not1_saveexec_b32 s26, s56
	s_cbranch_execz .LBB39_107
; %bb.106:
	s_wait_loadcnt 0x1
	v_mov_b32_e32 v1, v73
	s_swap_pc_i64 s[30:31], s[52:53]
	v_mov_b32_e32 v85, v0
.LBB39_107:
	s_or_b32 exec_lo, exec_lo, s26
	v_cvt_f32_f16_e32 v0, v105
	s_and_saveexec_b32 s0, s55
	s_delay_alu instid0(SALU_CYCLE_1)
	s_xor_b32 s56, exec_lo, s0
	s_cbranch_execz .LBB39_109
; %bb.108:
	s_wait_loadcnt 0x1
	v_mov_b32_e32 v1, v74
	s_swap_pc_i64 s[30:31], s[50:51]
	v_mov_b32_e32 v86, v0
                                        ; implicit-def: $vgpr0
.LBB39_109:
	s_and_not1_saveexec_b32 s26, s56
	s_cbranch_execz .LBB39_111
; %bb.110:
	s_wait_loadcnt 0x1
	v_mov_b32_e32 v1, v74
	s_swap_pc_i64 s[30:31], s[52:53]
	v_mov_b32_e32 v86, v0
.LBB39_111:
	s_or_b32 exec_lo, exec_lo, s26
	v_lshrrev_b32_e32 v0, 16, v105
	s_delay_alu instid0(VALU_DEP_1) | instskip(SKIP_1) | instid1(SALU_CYCLE_1)
	v_cvt_f32_f16_e32 v0, v0
	s_and_saveexec_b32 s0, s55
	s_xor_b32 s56, exec_lo, s0
	s_cbranch_execz .LBB39_113
; %bb.112:
	s_wait_loadcnt 0x1
	v_mov_b32_e32 v1, v75
	s_swap_pc_i64 s[30:31], s[50:51]
	v_mov_b32_e32 v87, v0
                                        ; implicit-def: $vgpr0
                                        ; implicit-def: $vgpr75
.LBB39_113:
	s_and_not1_saveexec_b32 s26, s56
	s_cbranch_execz .LBB39_115
; %bb.114:
	s_wait_loadcnt 0x1
	v_mov_b32_e32 v1, v75
	s_swap_pc_i64 s[30:31], s[52:53]
	v_mov_b32_e32 v87, v0
.LBB39_115:
	s_or_b32 exec_lo, exec_lo, s26
	s_wait_loadcnt 0x8
	v_cvt_f32_f16_e32 v0, v102
                                        ; implicit-def: $vgpr72
	s_and_saveexec_b32 s0, s55
	s_delay_alu instid0(SALU_CYCLE_1)
	s_xor_b32 s56, exec_lo, s0
	s_cbranch_execz .LBB39_117
; %bb.116:
	s_wait_loadcnt 0x0
	v_mov_b32_e32 v1, v56
	s_swap_pc_i64 s[30:31], s[50:51]
	v_mov_b32_e32 v72, v0
                                        ; implicit-def: $vgpr0
.LBB39_117:
	s_and_not1_saveexec_b32 s26, s56
	s_cbranch_execz .LBB39_119
; %bb.118:
	s_wait_loadcnt 0x0
	v_mov_b32_e32 v1, v56
	s_swap_pc_i64 s[30:31], s[52:53]
	v_mov_b32_e32 v72, v0
.LBB39_119:
	s_or_b32 exec_lo, exec_lo, s26
	v_lshrrev_b32_e32 v0, 16, v102
	s_delay_alu instid0(VALU_DEP_1) | instskip(SKIP_1) | instid1(SALU_CYCLE_1)
	v_cvt_f32_f16_e32 v0, v0
	s_and_saveexec_b32 s0, s55
	s_xor_b32 s56, exec_lo, s0
	s_cbranch_execz .LBB39_121
; %bb.120:
	s_wait_loadcnt 0x0
	v_mov_b32_e32 v1, v57
	s_swap_pc_i64 s[30:31], s[50:51]
	v_mov_b32_e32 v73, v0
                                        ; implicit-def: $vgpr0
.LBB39_121:
	s_and_not1_saveexec_b32 s26, s56
	s_cbranch_execz .LBB39_123
; %bb.122:
	s_wait_loadcnt 0x0
	v_mov_b32_e32 v1, v57
	s_swap_pc_i64 s[30:31], s[52:53]
	v_mov_b32_e32 v73, v0
.LBB39_123:
	s_or_b32 exec_lo, exec_lo, s26
	v_cvt_f32_f16_e32 v0, v103
	s_and_saveexec_b32 s0, s55
	s_delay_alu instid0(SALU_CYCLE_1)
	s_xor_b32 s56, exec_lo, s0
	s_cbranch_execz .LBB39_125
; %bb.124:
	s_wait_loadcnt 0x0
	v_mov_b32_e32 v1, v58
	s_swap_pc_i64 s[30:31], s[50:51]
	v_mov_b32_e32 v74, v0
                                        ; implicit-def: $vgpr0
.LBB39_125:
	s_and_not1_saveexec_b32 s26, s56
	s_cbranch_execz .LBB39_127
; %bb.126:
	s_wait_loadcnt 0x0
	v_mov_b32_e32 v1, v58
	s_swap_pc_i64 s[30:31], s[52:53]
	v_mov_b32_e32 v74, v0
.LBB39_127:
	s_or_b32 exec_lo, exec_lo, s26
	v_lshrrev_b32_e32 v0, 16, v103
	s_delay_alu instid0(VALU_DEP_1) | instskip(SKIP_1) | instid1(SALU_CYCLE_1)
	v_cvt_f32_f16_e32 v0, v0
	s_and_saveexec_b32 s0, s55
	s_xor_b32 s55, exec_lo, s0
	s_cbranch_execz .LBB39_129
; %bb.128:
	s_wait_loadcnt 0x0
	v_mov_b32_e32 v1, v59
	s_swap_pc_i64 s[30:31], s[50:51]
	v_mov_b32_e32 v75, v0
                                        ; implicit-def: $vgpr0
                                        ; implicit-def: $vgpr59
.LBB39_129:
	s_and_not1_saveexec_b32 s26, s55
	s_cbranch_execz .LBB39_131
; %bb.130:
	s_wait_loadcnt 0x0
	v_mov_b32_e32 v1, v59
	s_swap_pc_i64 s[30:31], s[52:53]
	v_mov_b32_e32 v75, v0
.LBB39_131:
	s_or_b32 exec_lo, exec_lo, s26
	s_add_nc_u64 s[2:3], s[36:37], s[48:49]
	s_wait_loadcnt 0x7
	s_clause 0x1
	global_store_b128 v114, v[42:45], s[2:3] scale_offset
	global_store_b128 v114, v[60:63], s[2:3] offset:8192 scale_offset
	s_wait_loadcnt 0x6
	global_store_b128 v114, v[76:79], s[2:3] offset:16384 scale_offset
	s_wait_loadcnt 0x5
	;; [unrolled: 2-line block ×6, first 2 shown]
	global_store_b128 v114, v[72:75], s[2:3] offset:57344 scale_offset
	s_branch .LBB39_2
.LBB39_132:
	s_clause 0x1
	s_load_b32 s6, s[34:35], 0x24
	s_load_b128 s[0:3], s[34:35], 0x28
	ds_load_u8 v0, v101
	v_dual_mov_b32 v31, v100 :: v_dual_mov_b32 v1, s36
	v_dual_mov_b32 v2, s37 :: v_dual_mov_b32 v3, s38
	v_dual_mov_b32 v4, s39 :: v_dual_mov_b32 v5, s46
	v_dual_mov_b32 v6, s47 :: v_dual_mov_b32 v7, s54
	s_add_nc_u64 s[8:9], s[34:35], 56
	s_get_pc_i64 s[4:5]
	s_add_nc_u64 s[4:5], s[4:5], _ZN2at6native25elementwise_kernel_helperILb1EN12_GLOBAL__N_110CalcIgammaIfEENS0_6memory8policies11unroll_baseILi512ESt5arrayIPcLm3EE23TrivialOffsetCalculatorILi2EjESB_ILi1EjENS5_12LoadWithCastILi2EEENS5_13StoreWithCastILi1EEELi32ELi1EEEEEvT0_T1_@rel64+4
	s_wait_kmcnt 0x0
	s_bfe_u32 s7, s6, 0x80008
	v_dual_mov_b32 v8, s6 :: v_dual_mov_b32 v10, s0
	v_dual_mov_b32 v11, s1 :: v_dual_mov_b32 v12, s2
	;; [unrolled: 1-line block ×3, first 2 shown]
	s_swap_pc_i64 s[30:31], s[4:5]
	s_endpgm
	.section	.rodata,"a",@progbits
	.p2align	6, 0x0
	.amdhsa_kernel _ZN2at6native39vectorized_templated_elementwise_kernelILi4EN12_GLOBAL__N_110CalcIgammaIfEESt5arrayIPcLm3EE23TrivialOffsetCalculatorILi2EjES8_ILi1EjENS0_6memory12LoadWithCastILi2EEENSB_13StoreWithCastILi1EEEfJN3c104HalfEfEEEviT0_T1_T2_T3_T4_T5_
		.amdhsa_group_segment_fixed_size 1024
		.amdhsa_private_segment_fixed_size 448
		.amdhsa_kernarg_size 312
		.amdhsa_user_sgpr_count 4
		.amdhsa_user_sgpr_dispatch_ptr 1
		.amdhsa_user_sgpr_queue_ptr 0
		.amdhsa_user_sgpr_kernarg_segment_ptr 1
		.amdhsa_user_sgpr_dispatch_id 0
		.amdhsa_user_sgpr_kernarg_preload_length 0
		.amdhsa_user_sgpr_kernarg_preload_offset 0
		.amdhsa_user_sgpr_private_segment_size 0
		.amdhsa_wavefront_size32 1
		.amdhsa_uses_dynamic_stack 0
		.amdhsa_enable_private_segment 1
		.amdhsa_system_sgpr_workgroup_id_x 1
		.amdhsa_system_sgpr_workgroup_id_y 0
		.amdhsa_system_sgpr_workgroup_id_z 0
		.amdhsa_system_sgpr_workgroup_info 0
		.amdhsa_system_vgpr_workitem_id 2
		.amdhsa_next_free_vgpr 214
		.amdhsa_next_free_sgpr 96
		.amdhsa_named_barrier_count 0
		.amdhsa_reserve_vcc 1
		.amdhsa_float_round_mode_32 0
		.amdhsa_float_round_mode_16_64 0
		.amdhsa_float_denorm_mode_32 3
		.amdhsa_float_denorm_mode_16_64 3
		.amdhsa_fp16_overflow 0
		.amdhsa_memory_ordered 1
		.amdhsa_forward_progress 1
		.amdhsa_inst_pref_size 23
		.amdhsa_round_robin_scheduling 0
		.amdhsa_exception_fp_ieee_invalid_op 0
		.amdhsa_exception_fp_denorm_src 0
		.amdhsa_exception_fp_ieee_div_zero 0
		.amdhsa_exception_fp_ieee_overflow 0
		.amdhsa_exception_fp_ieee_underflow 0
		.amdhsa_exception_fp_ieee_inexact 0
		.amdhsa_exception_int_div_zero 0
	.end_amdhsa_kernel
	.section	.text._ZN2at6native39vectorized_templated_elementwise_kernelILi4EN12_GLOBAL__N_110CalcIgammaIfEESt5arrayIPcLm3EE23TrivialOffsetCalculatorILi2EjES8_ILi1EjENS0_6memory12LoadWithCastILi2EEENSB_13StoreWithCastILi1EEEfJN3c104HalfEfEEEviT0_T1_T2_T3_T4_T5_,"axG",@progbits,_ZN2at6native39vectorized_templated_elementwise_kernelILi4EN12_GLOBAL__N_110CalcIgammaIfEESt5arrayIPcLm3EE23TrivialOffsetCalculatorILi2EjES8_ILi1EjENS0_6memory12LoadWithCastILi2EEENSB_13StoreWithCastILi1EEEfJN3c104HalfEfEEEviT0_T1_T2_T3_T4_T5_,comdat
.Lfunc_end39:
	.size	_ZN2at6native39vectorized_templated_elementwise_kernelILi4EN12_GLOBAL__N_110CalcIgammaIfEESt5arrayIPcLm3EE23TrivialOffsetCalculatorILi2EjES8_ILi1EjENS0_6memory12LoadWithCastILi2EEENSB_13StoreWithCastILi1EEEfJN3c104HalfEfEEEviT0_T1_T2_T3_T4_T5_, .Lfunc_end39-_ZN2at6native39vectorized_templated_elementwise_kernelILi4EN12_GLOBAL__N_110CalcIgammaIfEESt5arrayIPcLm3EE23TrivialOffsetCalculatorILi2EjES8_ILi1EjENS0_6memory12LoadWithCastILi2EEENSB_13StoreWithCastILi1EEEfJN3c104HalfEfEEEviT0_T1_T2_T3_T4_T5_
                                        ; -- End function
	.set _ZN2at6native39vectorized_templated_elementwise_kernelILi4EN12_GLOBAL__N_110CalcIgammaIfEESt5arrayIPcLm3EE23TrivialOffsetCalculatorILi2EjES8_ILi1EjENS0_6memory12LoadWithCastILi2EEENSB_13StoreWithCastILi1EEEfJN3c104HalfEfEEEviT0_T1_T2_T3_T4_T5_.num_vgpr, max(115, .L_ZN12_GLOBAL__N_111calc_igammaIfEET_S1_S1_.num_vgpr, .L_ZN12_GLOBAL__N_112calc_igammacIfEET_S1_S1_.num_vgpr, .L_ZN2at6native25elementwise_kernel_helperILb1EN12_GLOBAL__N_110CalcIgammaIfEENS0_6memory8policies11unroll_baseILi512ESt5arrayIPcLm3EE23TrivialOffsetCalculatorILi2EjESB_ILi1EjENS5_12LoadWithCastILi2EEENS5_13StoreWithCastILi1EEELi32ELi1EEEEEvT0_T1_.num_vgpr)
	.set _ZN2at6native39vectorized_templated_elementwise_kernelILi4EN12_GLOBAL__N_110CalcIgammaIfEESt5arrayIPcLm3EE23TrivialOffsetCalculatorILi2EjES8_ILi1EjENS0_6memory12LoadWithCastILi2EEENSB_13StoreWithCastILi1EEEfJN3c104HalfEfEEEviT0_T1_T2_T3_T4_T5_.num_agpr, max(0, .L_ZN12_GLOBAL__N_111calc_igammaIfEET_S1_S1_.num_agpr, .L_ZN12_GLOBAL__N_112calc_igammacIfEET_S1_S1_.num_agpr, .L_ZN2at6native25elementwise_kernel_helperILb1EN12_GLOBAL__N_110CalcIgammaIfEENS0_6memory8policies11unroll_baseILi512ESt5arrayIPcLm3EE23TrivialOffsetCalculatorILi2EjESB_ILi1EjENS5_12LoadWithCastILi2EEENS5_13StoreWithCastILi1EEELi32ELi1EEEEEvT0_T1_.num_agpr)
	.set _ZN2at6native39vectorized_templated_elementwise_kernelILi4EN12_GLOBAL__N_110CalcIgammaIfEESt5arrayIPcLm3EE23TrivialOffsetCalculatorILi2EjES8_ILi1EjENS0_6memory12LoadWithCastILi2EEENSB_13StoreWithCastILi1EEEfJN3c104HalfEfEEEviT0_T1_T2_T3_T4_T5_.numbered_sgpr, max(57, .L_ZN12_GLOBAL__N_111calc_igammaIfEET_S1_S1_.numbered_sgpr, .L_ZN12_GLOBAL__N_112calc_igammacIfEET_S1_S1_.numbered_sgpr, .L_ZN2at6native25elementwise_kernel_helperILb1EN12_GLOBAL__N_110CalcIgammaIfEENS0_6memory8policies11unroll_baseILi512ESt5arrayIPcLm3EE23TrivialOffsetCalculatorILi2EjESB_ILi1EjENS5_12LoadWithCastILi2EEENS5_13StoreWithCastILi1EEELi32ELi1EEEEEvT0_T1_.numbered_sgpr)
	.set _ZN2at6native39vectorized_templated_elementwise_kernelILi4EN12_GLOBAL__N_110CalcIgammaIfEESt5arrayIPcLm3EE23TrivialOffsetCalculatorILi2EjES8_ILi1EjENS0_6memory12LoadWithCastILi2EEENSB_13StoreWithCastILi1EEEfJN3c104HalfEfEEEviT0_T1_T2_T3_T4_T5_.num_named_barrier, max(0, .L_ZN12_GLOBAL__N_111calc_igammaIfEET_S1_S1_.num_named_barrier, .L_ZN12_GLOBAL__N_112calc_igammacIfEET_S1_S1_.num_named_barrier, .L_ZN2at6native25elementwise_kernel_helperILb1EN12_GLOBAL__N_110CalcIgammaIfEENS0_6memory8policies11unroll_baseILi512ESt5arrayIPcLm3EE23TrivialOffsetCalculatorILi2EjESB_ILi1EjENS5_12LoadWithCastILi2EEENS5_13StoreWithCastILi1EEELi32ELi1EEEEEvT0_T1_.num_named_barrier)
	.set _ZN2at6native39vectorized_templated_elementwise_kernelILi4EN12_GLOBAL__N_110CalcIgammaIfEESt5arrayIPcLm3EE23TrivialOffsetCalculatorILi2EjES8_ILi1EjENS0_6memory12LoadWithCastILi2EEENSB_13StoreWithCastILi1EEEfJN3c104HalfEfEEEviT0_T1_T2_T3_T4_T5_.private_seg_size, 0+max(.L_ZN12_GLOBAL__N_111calc_igammaIfEET_S1_S1_.private_seg_size, .L_ZN12_GLOBAL__N_112calc_igammacIfEET_S1_S1_.private_seg_size, .L_ZN2at6native25elementwise_kernel_helperILb1EN12_GLOBAL__N_110CalcIgammaIfEENS0_6memory8policies11unroll_baseILi512ESt5arrayIPcLm3EE23TrivialOffsetCalculatorILi2EjESB_ILi1EjENS5_12LoadWithCastILi2EEENS5_13StoreWithCastILi1EEELi32ELi1EEEEEvT0_T1_.private_seg_size)
	.set _ZN2at6native39vectorized_templated_elementwise_kernelILi4EN12_GLOBAL__N_110CalcIgammaIfEESt5arrayIPcLm3EE23TrivialOffsetCalculatorILi2EjES8_ILi1EjENS0_6memory12LoadWithCastILi2EEENSB_13StoreWithCastILi1EEEfJN3c104HalfEfEEEviT0_T1_T2_T3_T4_T5_.uses_vcc, or(1, .L_ZN12_GLOBAL__N_111calc_igammaIfEET_S1_S1_.uses_vcc, .L_ZN12_GLOBAL__N_112calc_igammacIfEET_S1_S1_.uses_vcc, .L_ZN2at6native25elementwise_kernel_helperILb1EN12_GLOBAL__N_110CalcIgammaIfEENS0_6memory8policies11unroll_baseILi512ESt5arrayIPcLm3EE23TrivialOffsetCalculatorILi2EjESB_ILi1EjENS5_12LoadWithCastILi2EEENS5_13StoreWithCastILi1EEELi32ELi1EEEEEvT0_T1_.uses_vcc)
	.set _ZN2at6native39vectorized_templated_elementwise_kernelILi4EN12_GLOBAL__N_110CalcIgammaIfEESt5arrayIPcLm3EE23TrivialOffsetCalculatorILi2EjES8_ILi1EjENS0_6memory12LoadWithCastILi2EEENSB_13StoreWithCastILi1EEEfJN3c104HalfEfEEEviT0_T1_T2_T3_T4_T5_.uses_flat_scratch, or(0, .L_ZN12_GLOBAL__N_111calc_igammaIfEET_S1_S1_.uses_flat_scratch, .L_ZN12_GLOBAL__N_112calc_igammacIfEET_S1_S1_.uses_flat_scratch, .L_ZN2at6native25elementwise_kernel_helperILb1EN12_GLOBAL__N_110CalcIgammaIfEENS0_6memory8policies11unroll_baseILi512ESt5arrayIPcLm3EE23TrivialOffsetCalculatorILi2EjESB_ILi1EjENS5_12LoadWithCastILi2EEENS5_13StoreWithCastILi1EEELi32ELi1EEEEEvT0_T1_.uses_flat_scratch)
	.set _ZN2at6native39vectorized_templated_elementwise_kernelILi4EN12_GLOBAL__N_110CalcIgammaIfEESt5arrayIPcLm3EE23TrivialOffsetCalculatorILi2EjES8_ILi1EjENS0_6memory12LoadWithCastILi2EEENSB_13StoreWithCastILi1EEEfJN3c104HalfEfEEEviT0_T1_T2_T3_T4_T5_.has_dyn_sized_stack, or(0, .L_ZN12_GLOBAL__N_111calc_igammaIfEET_S1_S1_.has_dyn_sized_stack, .L_ZN12_GLOBAL__N_112calc_igammacIfEET_S1_S1_.has_dyn_sized_stack, .L_ZN2at6native25elementwise_kernel_helperILb1EN12_GLOBAL__N_110CalcIgammaIfEENS0_6memory8policies11unroll_baseILi512ESt5arrayIPcLm3EE23TrivialOffsetCalculatorILi2EjESB_ILi1EjENS5_12LoadWithCastILi2EEENS5_13StoreWithCastILi1EEELi32ELi1EEEEEvT0_T1_.has_dyn_sized_stack)
	.set _ZN2at6native39vectorized_templated_elementwise_kernelILi4EN12_GLOBAL__N_110CalcIgammaIfEESt5arrayIPcLm3EE23TrivialOffsetCalculatorILi2EjES8_ILi1EjENS0_6memory12LoadWithCastILi2EEENSB_13StoreWithCastILi1EEEfJN3c104HalfEfEEEviT0_T1_T2_T3_T4_T5_.has_recursion, or(0, .L_ZN12_GLOBAL__N_111calc_igammaIfEET_S1_S1_.has_recursion, .L_ZN12_GLOBAL__N_112calc_igammacIfEET_S1_S1_.has_recursion, .L_ZN2at6native25elementwise_kernel_helperILb1EN12_GLOBAL__N_110CalcIgammaIfEENS0_6memory8policies11unroll_baseILi512ESt5arrayIPcLm3EE23TrivialOffsetCalculatorILi2EjESB_ILi1EjENS5_12LoadWithCastILi2EEENS5_13StoreWithCastILi1EEELi32ELi1EEEEEvT0_T1_.has_recursion)
	.set _ZN2at6native39vectorized_templated_elementwise_kernelILi4EN12_GLOBAL__N_110CalcIgammaIfEESt5arrayIPcLm3EE23TrivialOffsetCalculatorILi2EjES8_ILi1EjENS0_6memory12LoadWithCastILi2EEENSB_13StoreWithCastILi1EEEfJN3c104HalfEfEEEviT0_T1_T2_T3_T4_T5_.has_indirect_call, or(0, .L_ZN12_GLOBAL__N_111calc_igammaIfEET_S1_S1_.has_indirect_call, .L_ZN12_GLOBAL__N_112calc_igammacIfEET_S1_S1_.has_indirect_call, .L_ZN2at6native25elementwise_kernel_helperILb1EN12_GLOBAL__N_110CalcIgammaIfEENS0_6memory8policies11unroll_baseILi512ESt5arrayIPcLm3EE23TrivialOffsetCalculatorILi2EjESB_ILi1EjENS5_12LoadWithCastILi2EEENS5_13StoreWithCastILi1EEELi32ELi1EEEEEvT0_T1_.has_indirect_call)
	.section	.AMDGPU.csdata,"",@progbits
; Kernel info:
; codeLenInByte = 2936
; TotalNumSgprs: 98
; NumVgprs: 214
; ScratchSize: 448
; MemoryBound: 0
; FloatMode: 240
; IeeeMode: 1
; LDSByteSize: 1024 bytes/workgroup (compile time only)
; SGPRBlocks: 0
; VGPRBlocks: 13
; NumSGPRsForWavesPerEU: 98
; NumVGPRsForWavesPerEU: 214
; NamedBarCnt: 0
; Occupancy: 4
; WaveLimiterHint : 0
; COMPUTE_PGM_RSRC2:SCRATCH_EN: 1
; COMPUTE_PGM_RSRC2:USER_SGPR: 4
; COMPUTE_PGM_RSRC2:TRAP_HANDLER: 0
; COMPUTE_PGM_RSRC2:TGID_X_EN: 1
; COMPUTE_PGM_RSRC2:TGID_Y_EN: 0
; COMPUTE_PGM_RSRC2:TGID_Z_EN: 0
; COMPUTE_PGM_RSRC2:TIDIG_COMP_CNT: 2
	.section	.text._ZN2at6native39vectorized_templated_elementwise_kernelILi2EN12_GLOBAL__N_110CalcIgammaIfEESt5arrayIPcLm3EE23TrivialOffsetCalculatorILi2EjES8_ILi1EjENS0_6memory12LoadWithCastILi2EEENSB_13StoreWithCastILi1EEEfJN3c104HalfEfEEEviT0_T1_T2_T3_T4_T5_,"axG",@progbits,_ZN2at6native39vectorized_templated_elementwise_kernelILi2EN12_GLOBAL__N_110CalcIgammaIfEESt5arrayIPcLm3EE23TrivialOffsetCalculatorILi2EjES8_ILi1EjENS0_6memory12LoadWithCastILi2EEENSB_13StoreWithCastILi1EEEfJN3c104HalfEfEEEviT0_T1_T2_T3_T4_T5_,comdat
	.globl	_ZN2at6native39vectorized_templated_elementwise_kernelILi2EN12_GLOBAL__N_110CalcIgammaIfEESt5arrayIPcLm3EE23TrivialOffsetCalculatorILi2EjES8_ILi1EjENS0_6memory12LoadWithCastILi2EEENSB_13StoreWithCastILi1EEEfJN3c104HalfEfEEEviT0_T1_T2_T3_T4_T5_ ; -- Begin function _ZN2at6native39vectorized_templated_elementwise_kernelILi2EN12_GLOBAL__N_110CalcIgammaIfEESt5arrayIPcLm3EE23TrivialOffsetCalculatorILi2EjES8_ILi1EjENS0_6memory12LoadWithCastILi2EEENSB_13StoreWithCastILi1EEEfJN3c104HalfEfEEEviT0_T1_T2_T3_T4_T5_
	.p2align	8
	.type	_ZN2at6native39vectorized_templated_elementwise_kernelILi2EN12_GLOBAL__N_110CalcIgammaIfEESt5arrayIPcLm3EE23TrivialOffsetCalculatorILi2EjES8_ILi1EjENS0_6memory12LoadWithCastILi2EEENSB_13StoreWithCastILi1EEEfJN3c104HalfEfEEEviT0_T1_T2_T3_T4_T5_,@function
_ZN2at6native39vectorized_templated_elementwise_kernelILi2EN12_GLOBAL__N_110CalcIgammaIfEESt5arrayIPcLm3EE23TrivialOffsetCalculatorILi2EjES8_ILi1EjENS0_6memory12LoadWithCastILi2EEENSB_13StoreWithCastILi1EEEfJN3c104HalfEfEEEviT0_T1_T2_T3_T4_T5_: ; @_ZN2at6native39vectorized_templated_elementwise_kernelILi2EN12_GLOBAL__N_110CalcIgammaIfEESt5arrayIPcLm3EE23TrivialOffsetCalculatorILi2EjES8_ILi1EjENS0_6memory12LoadWithCastILi2EEENSB_13StoreWithCastILi1EEEfJN3c104HalfEfEEEviT0_T1_T2_T3_T4_T5_
; %bb.0:
	s_mov_b64 s[34:35], s[2:3]
	s_load_b64 s[2:3], s[0:1], 0x4
	s_clause 0x2
	s_load_b64 s[4:5], s[34:35], 0x0
	s_load_b64 s[46:47], s[34:35], 0x18
	s_load_b32 s6, s[34:35], 0x38
	s_wait_xcnt 0x0
	s_bfe_u32 s1, ttmp6, 0x4000c
	s_and_b32 s0, ttmp6, 15
	s_add_co_i32 s1, s1, 1
	s_load_b128 s[36:39], s[34:35], 0x8
	s_mul_i32 s1, ttmp9, s1
	s_getreg_b32 s7, hwreg(HW_REG_IB_STS2, 6, 4)
	s_add_co_i32 s0, s0, s1
	s_mov_b32 s32, 0
	s_wait_kmcnt 0x0
	s_lshr_b32 s2, s2, 16
	s_and_b32 s1, s5, 1
	v_mov_b32_e32 v96, v0
	s_mul_i32 s2, s2, s3
	s_cmp_eq_u32 s7, 0
	s_cselect_b32 s0, ttmp9, s0
	s_delay_alu instid0(VALU_DEP_1) | instskip(SKIP_3) | instid1(VALU_DEP_3)
	v_and_b32_e32 v98, 0x3ff, v96
	v_bfe_u32 v0, v96, 10, 10
	v_bfe_u32 v2, v96, 20, 10
	s_not_b32 s0, s0
	v_mul_lo_u32 v1, s2, v98
	s_delay_alu instid0(VALU_DEP_3) | instskip(SKIP_1) | instid1(SALU_CYCLE_1)
	v_mul_u32_u24_e32 v0, s3, v0
	s_add_co_i32 s6, s6, s0
	s_lshl_b32 s0, s6, 14
	s_delay_alu instid0(SALU_CYCLE_1) | instskip(NEXT) | instid1(SALU_CYCLE_1)
	s_sub_co_i32 s54, s4, s0
	s_cmp_gt_i32 s54, 0x3fff
	s_delay_alu instid0(VALU_DEP_2)
	v_add3_u32 v97, v1, v0, v2
	v_mov_b32_e32 v0, s1
	s_mov_b32 s1, -1
	ds_store_b8 v97, v0
	s_cbranch_scc1 .LBB40_3
; %bb.1:
	s_and_b32 vcc_lo, exec_lo, s1
	s_cbranch_vccnz .LBB40_132
.LBB40_2:
	s_endpgm
.LBB40_3:
	s_ashr_i32 s1, s0, 31
	s_get_pc_i64 s[50:51]
	s_add_nc_u64 s[50:51], s[50:51], _ZN12_GLOBAL__N_111calc_igammaIfEET_S1_S1_@rel64+4
	s_lshl_b64 s[2:3], s[0:1], 1
	s_lshl_b64 s[48:49], s[0:1], 2
	s_add_nc_u64 s[2:3], s[38:39], s[2:3]
	s_add_nc_u64 s[0:1], s[46:47], s[48:49]
	s_clause 0x1f
	global_load_b32 v43, v98, s[2:3] scale_offset
	global_load_b32 v113, v98, s[2:3] offset:2048 scale_offset
	global_load_b32 v112, v98, s[2:3] offset:4096 scale_offset
	;; [unrolled: 1-line block ×15, first 2 shown]
	global_load_b64 v[56:57], v98, s[0:1] scale_offset
	global_load_b64 v[58:59], v98, s[0:1] offset:4096 scale_offset
	global_load_b64 v[62:63], v98, s[0:1] offset:8192 scale_offset
	;; [unrolled: 1-line block ×6, first 2 shown]
	; meta instruction
	global_load_b64 v[94:95], v98, s[0:1] offset:28672 scale_offset
	global_load_b64 v[92:93], v98, s[0:1] offset:32768 scale_offset
	;; [unrolled: 1-line block ×9, first 2 shown]
	ds_load_u8 v0, v97
                                        ; implicit-def: $vgpr42
	s_wait_dscnt 0x0
	v_and_b32_e32 v1, 1, v0
	s_delay_alu instid0(VALU_DEP_1)
	v_cmp_eq_u32_e32 vcc_lo, 1, v1
	ds_store_b8 v97, v1 offset:512
	s_xor_b32 s55, vcc_lo, -1
	s_wait_loadcnt 0x1f
	v_cvt_f32_f16_e32 v0, v43
	s_wait_xcnt 0x0
	s_and_saveexec_b32 s0, s55
	s_delay_alu instid0(SALU_CYCLE_1)
	s_xor_b32 s52, exec_lo, s0
	s_cbranch_execz .LBB40_5
; %bb.4:
	s_wait_loadcnt 0xf
	v_mov_b32_e32 v1, v56
	s_swap_pc_i64 s[30:31], s[50:51]
	v_mov_b32_e32 v42, v0
                                        ; implicit-def: $vgpr0
.LBB40_5:
	s_or_saveexec_b32 s26, s52
	s_get_pc_i64 s[52:53]
	s_add_nc_u64 s[52:53], s[52:53], _ZN12_GLOBAL__N_112calc_igammacIfEET_S1_S1_@rel64+4
	s_xor_b32 exec_lo, exec_lo, s26
	s_cbranch_execz .LBB40_7
; %bb.6:
	s_wait_loadcnt 0xf
	v_mov_b32_e32 v1, v56
	s_swap_pc_i64 s[30:31], s[52:53]
	v_mov_b32_e32 v42, v0
.LBB40_7:
	s_or_b32 exec_lo, exec_lo, s26
	v_lshrrev_b32_e32 v0, 16, v43
	s_delay_alu instid0(VALU_DEP_1) | instskip(SKIP_1) | instid1(SALU_CYCLE_1)
	v_cvt_f32_f16_e32 v0, v0
	s_and_saveexec_b32 s0, s55
	s_xor_b32 s56, exec_lo, s0
	s_cbranch_execz .LBB40_9
; %bb.8:
	s_wait_loadcnt 0xf
	v_mov_b32_e32 v1, v57
	s_swap_pc_i64 s[30:31], s[50:51]
	v_mov_b32_e32 v43, v0
                                        ; implicit-def: $vgpr0
                                        ; implicit-def: $vgpr57
.LBB40_9:
	s_and_not1_saveexec_b32 s26, s56
	s_cbranch_execz .LBB40_11
; %bb.10:
	s_wait_loadcnt 0xf
	v_mov_b32_e32 v1, v57
	s_swap_pc_i64 s[30:31], s[52:53]
	v_mov_b32_e32 v43, v0
.LBB40_11:
	s_or_b32 exec_lo, exec_lo, s26
	s_wait_loadcnt 0x1e
	v_cvt_f32_f16_e32 v0, v113
                                        ; implicit-def: $vgpr56
	s_and_saveexec_b32 s0, s55
	s_delay_alu instid0(SALU_CYCLE_1)
	s_xor_b32 s56, exec_lo, s0
	s_cbranch_execz .LBB40_13
; %bb.12:
	s_wait_loadcnt 0xe
	v_mov_b32_e32 v1, v58
	s_swap_pc_i64 s[30:31], s[50:51]
	v_mov_b32_e32 v56, v0
                                        ; implicit-def: $vgpr0
.LBB40_13:
	s_and_not1_saveexec_b32 s26, s56
	s_cbranch_execz .LBB40_15
; %bb.14:
	s_wait_loadcnt 0xe
	v_mov_b32_e32 v1, v58
	s_swap_pc_i64 s[30:31], s[52:53]
	v_mov_b32_e32 v56, v0
.LBB40_15:
	s_or_b32 exec_lo, exec_lo, s26
	v_lshrrev_b32_e32 v0, 16, v113
	s_delay_alu instid0(VALU_DEP_1) | instskip(SKIP_1) | instid1(SALU_CYCLE_1)
	v_cvt_f32_f16_e32 v0, v0
	s_and_saveexec_b32 s0, s55
	s_xor_b32 s56, exec_lo, s0
	s_cbranch_execz .LBB40_17
; %bb.16:
	s_wait_loadcnt 0xe
	v_mov_b32_e32 v1, v59
	s_swap_pc_i64 s[30:31], s[50:51]
	v_mov_b32_e32 v57, v0
                                        ; implicit-def: $vgpr0
                                        ; implicit-def: $vgpr59
.LBB40_17:
	s_and_not1_saveexec_b32 s26, s56
	s_cbranch_execz .LBB40_19
; %bb.18:
	s_wait_loadcnt 0xe
	v_mov_b32_e32 v1, v59
	s_swap_pc_i64 s[30:31], s[52:53]
	v_mov_b32_e32 v57, v0
.LBB40_19:
	s_or_b32 exec_lo, exec_lo, s26
	s_wait_loadcnt 0x1d
	v_cvt_f32_f16_e32 v0, v112
                                        ; implicit-def: $vgpr58
	s_and_saveexec_b32 s0, s55
	s_delay_alu instid0(SALU_CYCLE_1)
	s_xor_b32 s56, exec_lo, s0
	s_cbranch_execz .LBB40_21
; %bb.20:
	s_wait_loadcnt 0xd
	v_mov_b32_e32 v1, v62
	s_swap_pc_i64 s[30:31], s[50:51]
	v_mov_b32_e32 v58, v0
                                        ; implicit-def: $vgpr0
.LBB40_21:
	s_and_not1_saveexec_b32 s26, s56
	s_cbranch_execz .LBB40_23
; %bb.22:
	s_wait_loadcnt 0xd
	v_mov_b32_e32 v1, v62
	s_swap_pc_i64 s[30:31], s[52:53]
	v_mov_b32_e32 v58, v0
.LBB40_23:
	s_or_b32 exec_lo, exec_lo, s26
	v_lshrrev_b32_e32 v0, 16, v112
	s_delay_alu instid0(VALU_DEP_1) | instskip(SKIP_1) | instid1(SALU_CYCLE_1)
	v_cvt_f32_f16_e32 v0, v0
	s_and_saveexec_b32 s0, s55
	s_xor_b32 s56, exec_lo, s0
	s_cbranch_execz .LBB40_25
; %bb.24:
	s_wait_loadcnt 0xd
	v_mov_b32_e32 v1, v63
	s_swap_pc_i64 s[30:31], s[50:51]
	v_mov_b32_e32 v59, v0
                                        ; implicit-def: $vgpr0
                                        ; implicit-def: $vgpr63
.LBB40_25:
	s_and_not1_saveexec_b32 s26, s56
	s_cbranch_execz .LBB40_27
; %bb.26:
	s_wait_loadcnt 0xd
	v_mov_b32_e32 v1, v63
	s_swap_pc_i64 s[30:31], s[52:53]
	v_mov_b32_e32 v59, v0
.LBB40_27:
	s_or_b32 exec_lo, exec_lo, s26
	s_wait_loadcnt 0x1c
	v_cvt_f32_f16_e32 v0, v111
                                        ; implicit-def: $vgpr62
	s_and_saveexec_b32 s0, s55
	s_delay_alu instid0(SALU_CYCLE_1)
	s_xor_b32 s56, exec_lo, s0
	s_cbranch_execz .LBB40_29
; %bb.28:
	s_wait_loadcnt 0xc
	v_mov_b32_e32 v1, v74
	s_swap_pc_i64 s[30:31], s[50:51]
	v_mov_b32_e32 v62, v0
                                        ; implicit-def: $vgpr0
.LBB40_29:
	s_and_not1_saveexec_b32 s26, s56
	s_cbranch_execz .LBB40_31
; %bb.30:
	s_wait_loadcnt 0xc
	v_mov_b32_e32 v1, v74
	s_swap_pc_i64 s[30:31], s[52:53]
	v_mov_b32_e32 v62, v0
.LBB40_31:
	s_or_b32 exec_lo, exec_lo, s26
	v_lshrrev_b32_e32 v0, 16, v111
	s_delay_alu instid0(VALU_DEP_1) | instskip(SKIP_1) | instid1(SALU_CYCLE_1)
	v_cvt_f32_f16_e32 v0, v0
	s_and_saveexec_b32 s0, s55
	s_xor_b32 s56, exec_lo, s0
	s_cbranch_execz .LBB40_33
; %bb.32:
	s_wait_loadcnt 0xc
	v_mov_b32_e32 v1, v75
	s_swap_pc_i64 s[30:31], s[50:51]
	v_mov_b32_e32 v63, v0
                                        ; implicit-def: $vgpr0
                                        ; implicit-def: $vgpr75
.LBB40_33:
	s_and_not1_saveexec_b32 s26, s56
	s_cbranch_execz .LBB40_35
; %bb.34:
	s_wait_loadcnt 0xc
	v_mov_b32_e32 v1, v75
	s_swap_pc_i64 s[30:31], s[52:53]
	v_mov_b32_e32 v63, v0
.LBB40_35:
	s_or_b32 exec_lo, exec_lo, s26
	s_wait_loadcnt 0x1b
	v_cvt_f32_f16_e32 v0, v110
                                        ; implicit-def: $vgpr74
	s_and_saveexec_b32 s0, s55
	s_delay_alu instid0(SALU_CYCLE_1)
	s_xor_b32 s56, exec_lo, s0
	s_cbranch_execz .LBB40_37
; %bb.36:
	s_wait_loadcnt 0xb
	v_mov_b32_e32 v1, v78
	s_swap_pc_i64 s[30:31], s[50:51]
	v_mov_b32_e32 v74, v0
                                        ; implicit-def: $vgpr0
.LBB40_37:
	s_and_not1_saveexec_b32 s26, s56
	s_cbranch_execz .LBB40_39
; %bb.38:
	s_wait_loadcnt 0xb
	v_mov_b32_e32 v1, v78
	s_swap_pc_i64 s[30:31], s[52:53]
	v_mov_b32_e32 v74, v0
.LBB40_39:
	s_or_b32 exec_lo, exec_lo, s26
	v_lshrrev_b32_e32 v0, 16, v110
	s_delay_alu instid0(VALU_DEP_1) | instskip(SKIP_1) | instid1(SALU_CYCLE_1)
	v_cvt_f32_f16_e32 v0, v0
	s_and_saveexec_b32 s0, s55
	s_xor_b32 s56, exec_lo, s0
	s_cbranch_execz .LBB40_41
; %bb.40:
	s_wait_loadcnt 0xb
	v_mov_b32_e32 v1, v79
	s_swap_pc_i64 s[30:31], s[50:51]
	v_mov_b32_e32 v75, v0
                                        ; implicit-def: $vgpr0
                                        ; implicit-def: $vgpr79
.LBB40_41:
	s_and_not1_saveexec_b32 s26, s56
	s_cbranch_execz .LBB40_43
; %bb.42:
	s_wait_loadcnt 0xb
	v_mov_b32_e32 v1, v79
	s_swap_pc_i64 s[30:31], s[52:53]
	v_mov_b32_e32 v75, v0
.LBB40_43:
	s_or_b32 exec_lo, exec_lo, s26
	s_wait_loadcnt 0x1a
	v_cvt_f32_f16_e32 v0, v109
                                        ; implicit-def: $vgpr78
	s_and_saveexec_b32 s0, s55
	s_delay_alu instid0(SALU_CYCLE_1)
	s_xor_b32 s56, exec_lo, s0
	s_cbranch_execz .LBB40_45
; %bb.44:
	s_wait_loadcnt 0xa
	v_mov_b32_e32 v1, v86
	s_swap_pc_i64 s[30:31], s[50:51]
	v_mov_b32_e32 v78, v0
                                        ; implicit-def: $vgpr0
.LBB40_45:
	s_and_not1_saveexec_b32 s26, s56
	s_cbranch_execz .LBB40_47
; %bb.46:
	s_wait_loadcnt 0xa
	v_mov_b32_e32 v1, v86
	s_swap_pc_i64 s[30:31], s[52:53]
	v_mov_b32_e32 v78, v0
.LBB40_47:
	s_or_b32 exec_lo, exec_lo, s26
	v_lshrrev_b32_e32 v0, 16, v109
	s_delay_alu instid0(VALU_DEP_1) | instskip(SKIP_1) | instid1(SALU_CYCLE_1)
	v_cvt_f32_f16_e32 v0, v0
	s_and_saveexec_b32 s0, s55
	s_xor_b32 s56, exec_lo, s0
	s_cbranch_execz .LBB40_49
; %bb.48:
	s_wait_loadcnt 0xa
	v_mov_b32_e32 v1, v87
	s_swap_pc_i64 s[30:31], s[50:51]
	v_mov_b32_e32 v79, v0
                                        ; implicit-def: $vgpr0
                                        ; implicit-def: $vgpr87
.LBB40_49:
	s_and_not1_saveexec_b32 s26, s56
	s_cbranch_execz .LBB40_51
; %bb.50:
	s_wait_loadcnt 0xa
	v_mov_b32_e32 v1, v87
	s_swap_pc_i64 s[30:31], s[52:53]
	v_mov_b32_e32 v79, v0
.LBB40_51:
	s_or_b32 exec_lo, exec_lo, s26
	s_wait_loadcnt 0x19
	v_cvt_f32_f16_e32 v0, v108
                                        ; implicit-def: $vgpr86
	s_and_saveexec_b32 s0, s55
	s_delay_alu instid0(SALU_CYCLE_1)
	s_xor_b32 s56, exec_lo, s0
	s_cbranch_execz .LBB40_53
; %bb.52:
	s_wait_loadcnt 0x9
	v_mov_b32_e32 v1, v90
	s_swap_pc_i64 s[30:31], s[50:51]
	v_mov_b32_e32 v86, v0
                                        ; implicit-def: $vgpr0
.LBB40_53:
	s_and_not1_saveexec_b32 s26, s56
	s_cbranch_execz .LBB40_55
; %bb.54:
	s_wait_loadcnt 0x9
	v_mov_b32_e32 v1, v90
	s_swap_pc_i64 s[30:31], s[52:53]
	v_mov_b32_e32 v86, v0
.LBB40_55:
	s_or_b32 exec_lo, exec_lo, s26
	v_lshrrev_b32_e32 v0, 16, v108
	s_delay_alu instid0(VALU_DEP_1) | instskip(SKIP_1) | instid1(SALU_CYCLE_1)
	v_cvt_f32_f16_e32 v0, v0
	s_and_saveexec_b32 s0, s55
	s_xor_b32 s56, exec_lo, s0
	s_cbranch_execz .LBB40_57
; %bb.56:
	s_wait_loadcnt 0x9
	v_mov_b32_e32 v1, v91
	s_swap_pc_i64 s[30:31], s[50:51]
	v_mov_b32_e32 v87, v0
                                        ; implicit-def: $vgpr0
                                        ; implicit-def: $vgpr91
.LBB40_57:
	s_and_not1_saveexec_b32 s26, s56
	s_cbranch_execz .LBB40_59
; %bb.58:
	s_wait_loadcnt 0x9
	v_mov_b32_e32 v1, v91
	s_swap_pc_i64 s[30:31], s[52:53]
	v_mov_b32_e32 v87, v0
.LBB40_59:
	s_or_b32 exec_lo, exec_lo, s26
	s_wait_loadcnt 0x18
	v_cvt_f32_f16_e32 v0, v107
                                        ; implicit-def: $vgpr90
	s_and_saveexec_b32 s0, s55
	s_delay_alu instid0(SALU_CYCLE_1)
	s_xor_b32 s56, exec_lo, s0
	s_cbranch_execz .LBB40_61
; %bb.60:
	s_wait_loadcnt 0x8
	v_mov_b32_e32 v1, v94
	s_swap_pc_i64 s[30:31], s[50:51]
	v_mov_b32_e32 v90, v0
                                        ; implicit-def: $vgpr0
.LBB40_61:
	s_and_not1_saveexec_b32 s26, s56
	s_cbranch_execz .LBB40_63
; %bb.62:
	s_wait_loadcnt 0x8
	v_mov_b32_e32 v1, v94
	s_swap_pc_i64 s[30:31], s[52:53]
	v_mov_b32_e32 v90, v0
.LBB40_63:
	s_or_b32 exec_lo, exec_lo, s26
	v_lshrrev_b32_e32 v0, 16, v107
	s_delay_alu instid0(VALU_DEP_1) | instskip(SKIP_1) | instid1(SALU_CYCLE_1)
	v_cvt_f32_f16_e32 v0, v0
	s_and_saveexec_b32 s0, s55
	s_xor_b32 s56, exec_lo, s0
	s_cbranch_execz .LBB40_65
; %bb.64:
	s_wait_loadcnt 0x8
	v_mov_b32_e32 v1, v95
	s_swap_pc_i64 s[30:31], s[50:51]
	v_mov_b32_e32 v91, v0
                                        ; implicit-def: $vgpr0
                                        ; implicit-def: $vgpr95
.LBB40_65:
	s_and_not1_saveexec_b32 s26, s56
	s_cbranch_execz .LBB40_67
; %bb.66:
	s_wait_loadcnt 0x8
	v_mov_b32_e32 v1, v95
	s_swap_pc_i64 s[30:31], s[52:53]
	v_mov_b32_e32 v91, v0
.LBB40_67:
	s_or_b32 exec_lo, exec_lo, s26
	s_wait_loadcnt 0x17
	v_cvt_f32_f16_e32 v0, v106
                                        ; implicit-def: $vgpr94
	s_and_saveexec_b32 s0, s55
	s_delay_alu instid0(SALU_CYCLE_1)
	s_xor_b32 s56, exec_lo, s0
	s_cbranch_execz .LBB40_69
; %bb.68:
	s_wait_loadcnt 0x7
	v_mov_b32_e32 v1, v92
	s_swap_pc_i64 s[30:31], s[50:51]
	v_mov_b32_e32 v94, v0
                                        ; implicit-def: $vgpr0
.LBB40_69:
	s_and_not1_saveexec_b32 s26, s56
	s_cbranch_execz .LBB40_71
; %bb.70:
	s_wait_loadcnt 0x7
	v_mov_b32_e32 v1, v92
	s_swap_pc_i64 s[30:31], s[52:53]
	v_mov_b32_e32 v94, v0
.LBB40_71:
	s_or_b32 exec_lo, exec_lo, s26
	v_lshrrev_b32_e32 v0, 16, v106
	s_delay_alu instid0(VALU_DEP_1) | instskip(SKIP_1) | instid1(SALU_CYCLE_1)
	v_cvt_f32_f16_e32 v0, v0
	s_and_saveexec_b32 s0, s55
	s_xor_b32 s56, exec_lo, s0
	s_cbranch_execz .LBB40_73
; %bb.72:
	s_wait_loadcnt 0x7
	v_mov_b32_e32 v1, v93
	s_swap_pc_i64 s[30:31], s[50:51]
	v_mov_b32_e32 v95, v0
                                        ; implicit-def: $vgpr0
                                        ; implicit-def: $vgpr93
.LBB40_73:
	s_and_not1_saveexec_b32 s26, s56
	s_cbranch_execz .LBB40_75
; %bb.74:
	s_wait_loadcnt 0x7
	v_mov_b32_e32 v1, v93
	s_swap_pc_i64 s[30:31], s[52:53]
	v_mov_b32_e32 v95, v0
.LBB40_75:
	s_or_b32 exec_lo, exec_lo, s26
	s_wait_loadcnt 0x16
	v_cvt_f32_f16_e32 v0, v105
                                        ; implicit-def: $vgpr92
	s_and_saveexec_b32 s0, s55
	s_delay_alu instid0(SALU_CYCLE_1)
	s_xor_b32 s56, exec_lo, s0
	s_cbranch_execz .LBB40_77
; %bb.76:
	s_wait_loadcnt 0x6
	v_mov_b32_e32 v1, v88
	s_swap_pc_i64 s[30:31], s[50:51]
	v_mov_b32_e32 v92, v0
                                        ; implicit-def: $vgpr0
.LBB40_77:
	s_and_not1_saveexec_b32 s26, s56
	s_cbranch_execz .LBB40_79
; %bb.78:
	s_wait_loadcnt 0x6
	v_mov_b32_e32 v1, v88
	s_swap_pc_i64 s[30:31], s[52:53]
	v_mov_b32_e32 v92, v0
.LBB40_79:
	s_or_b32 exec_lo, exec_lo, s26
	v_lshrrev_b32_e32 v0, 16, v105
	s_delay_alu instid0(VALU_DEP_1) | instskip(SKIP_1) | instid1(SALU_CYCLE_1)
	v_cvt_f32_f16_e32 v0, v0
	s_and_saveexec_b32 s0, s55
	s_xor_b32 s56, exec_lo, s0
	s_cbranch_execz .LBB40_81
; %bb.80:
	s_wait_loadcnt 0x6
	v_mov_b32_e32 v1, v89
	s_swap_pc_i64 s[30:31], s[50:51]
	v_mov_b32_e32 v93, v0
                                        ; implicit-def: $vgpr0
                                        ; implicit-def: $vgpr89
.LBB40_81:
	s_and_not1_saveexec_b32 s26, s56
	s_cbranch_execz .LBB40_83
; %bb.82:
	s_wait_loadcnt 0x6
	v_mov_b32_e32 v1, v89
	s_swap_pc_i64 s[30:31], s[52:53]
	v_mov_b32_e32 v93, v0
.LBB40_83:
	s_or_b32 exec_lo, exec_lo, s26
	s_wait_loadcnt 0x15
	v_cvt_f32_f16_e32 v0, v104
                                        ; implicit-def: $vgpr88
	s_and_saveexec_b32 s0, s55
	s_delay_alu instid0(SALU_CYCLE_1)
	s_xor_b32 s56, exec_lo, s0
	s_cbranch_execz .LBB40_85
; %bb.84:
	s_wait_loadcnt 0x5
	v_mov_b32_e32 v1, v84
	s_swap_pc_i64 s[30:31], s[50:51]
	v_mov_b32_e32 v88, v0
                                        ; implicit-def: $vgpr0
.LBB40_85:
	s_and_not1_saveexec_b32 s26, s56
	s_cbranch_execz .LBB40_87
; %bb.86:
	s_wait_loadcnt 0x5
	v_mov_b32_e32 v1, v84
	s_swap_pc_i64 s[30:31], s[52:53]
	v_mov_b32_e32 v88, v0
.LBB40_87:
	s_or_b32 exec_lo, exec_lo, s26
	v_lshrrev_b32_e32 v0, 16, v104
	s_delay_alu instid0(VALU_DEP_1) | instskip(SKIP_1) | instid1(SALU_CYCLE_1)
	v_cvt_f32_f16_e32 v0, v0
	s_and_saveexec_b32 s0, s55
	s_xor_b32 s56, exec_lo, s0
	s_cbranch_execz .LBB40_89
; %bb.88:
	s_wait_loadcnt 0x5
	v_mov_b32_e32 v1, v85
	s_swap_pc_i64 s[30:31], s[50:51]
	v_mov_b32_e32 v89, v0
                                        ; implicit-def: $vgpr0
                                        ; implicit-def: $vgpr85
.LBB40_89:
	s_and_not1_saveexec_b32 s26, s56
	s_cbranch_execz .LBB40_91
; %bb.90:
	s_wait_loadcnt 0x5
	v_mov_b32_e32 v1, v85
	s_swap_pc_i64 s[30:31], s[52:53]
	v_mov_b32_e32 v89, v0
.LBB40_91:
	s_or_b32 exec_lo, exec_lo, s26
	s_wait_loadcnt 0x14
	v_cvt_f32_f16_e32 v0, v103
                                        ; implicit-def: $vgpr84
	s_and_saveexec_b32 s0, s55
	s_delay_alu instid0(SALU_CYCLE_1)
	s_xor_b32 s56, exec_lo, s0
	s_cbranch_execz .LBB40_93
; %bb.92:
	s_wait_loadcnt 0x4
	v_mov_b32_e32 v1, v76
	s_swap_pc_i64 s[30:31], s[50:51]
	v_mov_b32_e32 v84, v0
                                        ; implicit-def: $vgpr0
.LBB40_93:
	s_and_not1_saveexec_b32 s26, s56
	s_cbranch_execz .LBB40_95
; %bb.94:
	s_wait_loadcnt 0x4
	v_mov_b32_e32 v1, v76
	s_swap_pc_i64 s[30:31], s[52:53]
	v_mov_b32_e32 v84, v0
.LBB40_95:
	s_or_b32 exec_lo, exec_lo, s26
	v_lshrrev_b32_e32 v0, 16, v103
	s_delay_alu instid0(VALU_DEP_1) | instskip(SKIP_1) | instid1(SALU_CYCLE_1)
	v_cvt_f32_f16_e32 v0, v0
	s_and_saveexec_b32 s0, s55
	s_xor_b32 s56, exec_lo, s0
	s_cbranch_execz .LBB40_97
; %bb.96:
	s_wait_loadcnt 0x4
	v_mov_b32_e32 v1, v77
	s_swap_pc_i64 s[30:31], s[50:51]
	v_mov_b32_e32 v85, v0
                                        ; implicit-def: $vgpr0
                                        ; implicit-def: $vgpr77
.LBB40_97:
	s_and_not1_saveexec_b32 s26, s56
	s_cbranch_execz .LBB40_99
; %bb.98:
	s_wait_loadcnt 0x4
	v_mov_b32_e32 v1, v77
	s_swap_pc_i64 s[30:31], s[52:53]
	v_mov_b32_e32 v85, v0
.LBB40_99:
	s_or_b32 exec_lo, exec_lo, s26
	s_wait_loadcnt 0x13
	v_cvt_f32_f16_e32 v0, v102
                                        ; implicit-def: $vgpr76
	s_and_saveexec_b32 s0, s55
	s_delay_alu instid0(SALU_CYCLE_1)
	s_xor_b32 s56, exec_lo, s0
	s_cbranch_execz .LBB40_101
; %bb.100:
	s_wait_loadcnt 0x3
	v_mov_b32_e32 v1, v72
	s_swap_pc_i64 s[30:31], s[50:51]
	v_mov_b32_e32 v76, v0
                                        ; implicit-def: $vgpr0
.LBB40_101:
	s_and_not1_saveexec_b32 s26, s56
	s_cbranch_execz .LBB40_103
; %bb.102:
	s_wait_loadcnt 0x3
	v_mov_b32_e32 v1, v72
	s_swap_pc_i64 s[30:31], s[52:53]
	v_mov_b32_e32 v76, v0
.LBB40_103:
	s_or_b32 exec_lo, exec_lo, s26
	v_lshrrev_b32_e32 v0, 16, v102
	s_delay_alu instid0(VALU_DEP_1) | instskip(SKIP_1) | instid1(SALU_CYCLE_1)
	v_cvt_f32_f16_e32 v0, v0
	s_and_saveexec_b32 s0, s55
	s_xor_b32 s56, exec_lo, s0
	s_cbranch_execz .LBB40_105
; %bb.104:
	s_wait_loadcnt 0x3
	v_mov_b32_e32 v1, v73
	s_swap_pc_i64 s[30:31], s[50:51]
	v_mov_b32_e32 v77, v0
                                        ; implicit-def: $vgpr0
                                        ; implicit-def: $vgpr73
.LBB40_105:
	s_and_not1_saveexec_b32 s26, s56
	s_cbranch_execz .LBB40_107
; %bb.106:
	s_wait_loadcnt 0x3
	v_mov_b32_e32 v1, v73
	s_swap_pc_i64 s[30:31], s[52:53]
	v_mov_b32_e32 v77, v0
.LBB40_107:
	s_or_b32 exec_lo, exec_lo, s26
	s_wait_loadcnt 0x12
	v_cvt_f32_f16_e32 v0, v101
                                        ; implicit-def: $vgpr72
	s_and_saveexec_b32 s0, s55
	s_delay_alu instid0(SALU_CYCLE_1)
	s_xor_b32 s56, exec_lo, s0
	s_cbranch_execz .LBB40_109
; %bb.108:
	s_wait_loadcnt 0x2
	v_mov_b32_e32 v1, v60
	s_swap_pc_i64 s[30:31], s[50:51]
	v_mov_b32_e32 v72, v0
                                        ; implicit-def: $vgpr0
.LBB40_109:
	s_and_not1_saveexec_b32 s26, s56
	s_cbranch_execz .LBB40_111
; %bb.110:
	s_wait_loadcnt 0x2
	v_mov_b32_e32 v1, v60
	s_swap_pc_i64 s[30:31], s[52:53]
	v_mov_b32_e32 v72, v0
.LBB40_111:
	s_or_b32 exec_lo, exec_lo, s26
	v_lshrrev_b32_e32 v0, 16, v101
	s_delay_alu instid0(VALU_DEP_1) | instskip(SKIP_1) | instid1(SALU_CYCLE_1)
	v_cvt_f32_f16_e32 v0, v0
	s_and_saveexec_b32 s0, s55
	s_xor_b32 s56, exec_lo, s0
	s_cbranch_execz .LBB40_113
; %bb.112:
	s_wait_loadcnt 0x2
	v_mov_b32_e32 v1, v61
	s_swap_pc_i64 s[30:31], s[50:51]
	v_mov_b32_e32 v73, v0
                                        ; implicit-def: $vgpr0
                                        ; implicit-def: $vgpr61
.LBB40_113:
	s_and_not1_saveexec_b32 s26, s56
	s_cbranch_execz .LBB40_115
; %bb.114:
	s_wait_loadcnt 0x2
	v_mov_b32_e32 v1, v61
	s_swap_pc_i64 s[30:31], s[52:53]
	v_mov_b32_e32 v73, v0
.LBB40_115:
	s_or_b32 exec_lo, exec_lo, s26
	s_wait_loadcnt 0x11
	v_cvt_f32_f16_e32 v0, v100
                                        ; implicit-def: $vgpr60
	s_and_saveexec_b32 s0, s55
	s_delay_alu instid0(SALU_CYCLE_1)
	s_xor_b32 s56, exec_lo, s0
	s_cbranch_execz .LBB40_117
; %bb.116:
	s_wait_loadcnt 0x1
	v_mov_b32_e32 v1, v46
	s_swap_pc_i64 s[30:31], s[50:51]
	v_mov_b32_e32 v60, v0
                                        ; implicit-def: $vgpr0
.LBB40_117:
	s_and_not1_saveexec_b32 s26, s56
	s_cbranch_execz .LBB40_119
; %bb.118:
	s_wait_loadcnt 0x1
	v_mov_b32_e32 v1, v46
	s_swap_pc_i64 s[30:31], s[52:53]
	v_mov_b32_e32 v60, v0
.LBB40_119:
	s_or_b32 exec_lo, exec_lo, s26
	v_lshrrev_b32_e32 v0, 16, v100
	s_delay_alu instid0(VALU_DEP_1) | instskip(SKIP_1) | instid1(SALU_CYCLE_1)
	v_cvt_f32_f16_e32 v0, v0
	s_and_saveexec_b32 s0, s55
	s_xor_b32 s56, exec_lo, s0
	s_cbranch_execz .LBB40_121
; %bb.120:
	s_wait_loadcnt 0x1
	v_mov_b32_e32 v1, v47
	s_swap_pc_i64 s[30:31], s[50:51]
	v_mov_b32_e32 v61, v0
                                        ; implicit-def: $vgpr0
                                        ; implicit-def: $vgpr47
.LBB40_121:
	s_and_not1_saveexec_b32 s26, s56
	s_cbranch_execz .LBB40_123
; %bb.122:
	s_wait_loadcnt 0x1
	v_mov_b32_e32 v1, v47
	s_swap_pc_i64 s[30:31], s[52:53]
	v_mov_b32_e32 v61, v0
.LBB40_123:
	s_or_b32 exec_lo, exec_lo, s26
	s_wait_loadcnt 0x10
	v_cvt_f32_f16_e32 v0, v99
                                        ; implicit-def: $vgpr46
	s_and_saveexec_b32 s0, s55
	s_delay_alu instid0(SALU_CYCLE_1)
	s_xor_b32 s56, exec_lo, s0
	s_cbranch_execz .LBB40_125
; %bb.124:
	s_wait_loadcnt 0x0
	v_mov_b32_e32 v1, v44
	s_swap_pc_i64 s[30:31], s[50:51]
	v_mov_b32_e32 v46, v0
                                        ; implicit-def: $vgpr0
.LBB40_125:
	s_and_not1_saveexec_b32 s26, s56
	s_cbranch_execz .LBB40_127
; %bb.126:
	s_wait_loadcnt 0x0
	v_mov_b32_e32 v1, v44
	s_swap_pc_i64 s[30:31], s[52:53]
	v_mov_b32_e32 v46, v0
.LBB40_127:
	s_or_b32 exec_lo, exec_lo, s26
	v_lshrrev_b32_e32 v0, 16, v99
	s_delay_alu instid0(VALU_DEP_1) | instskip(SKIP_1) | instid1(SALU_CYCLE_1)
	v_cvt_f32_f16_e32 v0, v0
	s_and_saveexec_b32 s0, s55
	s_xor_b32 s55, exec_lo, s0
	s_cbranch_execz .LBB40_129
; %bb.128:
	s_wait_loadcnt 0x0
	v_mov_b32_e32 v1, v45
	s_swap_pc_i64 s[30:31], s[50:51]
	v_mov_b32_e32 v47, v0
                                        ; implicit-def: $vgpr0
                                        ; implicit-def: $vgpr45
.LBB40_129:
	s_and_not1_saveexec_b32 s26, s55
	s_cbranch_execz .LBB40_131
; %bb.130:
	s_wait_loadcnt 0x0
	v_mov_b32_e32 v1, v45
	s_swap_pc_i64 s[30:31], s[52:53]
	v_mov_b32_e32 v47, v0
.LBB40_131:
	s_or_b32 exec_lo, exec_lo, s26
	s_add_nc_u64 s[2:3], s[36:37], s[48:49]
	global_store_b64 v98, v[42:43], s[2:3] scale_offset
	s_wait_loadcnt 0xf
	global_store_b64 v98, v[56:57], s[2:3] offset:4096 scale_offset
	s_wait_loadcnt 0xe
	global_store_b64 v98, v[58:59], s[2:3] offset:8192 scale_offset
	;; [unrolled: 2-line block ×15, first 2 shown]
	s_branch .LBB40_2
.LBB40_132:
	s_clause 0x1
	s_load_b32 s6, s[34:35], 0x24
	s_load_b128 s[0:3], s[34:35], 0x28
	ds_load_u8 v0, v97
	v_dual_mov_b32 v31, v96 :: v_dual_mov_b32 v1, s36
	v_dual_mov_b32 v2, s37 :: v_dual_mov_b32 v3, s38
	;; [unrolled: 1-line block ×4, first 2 shown]
	s_add_nc_u64 s[8:9], s[34:35], 56
	s_get_pc_i64 s[4:5]
	s_add_nc_u64 s[4:5], s[4:5], _ZN2at6native25elementwise_kernel_helperILb1EN12_GLOBAL__N_110CalcIgammaIfEENS0_6memory8policies11unroll_baseILi512ESt5arrayIPcLm3EE23TrivialOffsetCalculatorILi2EjESB_ILi1EjENS5_12LoadWithCastILi2EEENS5_13StoreWithCastILi1EEELi32ELi1EEEEEvT0_T1_@rel64+4
	s_wait_kmcnt 0x0
	s_bfe_u32 s7, s6, 0x80008
	v_dual_mov_b32 v8, s6 :: v_dual_mov_b32 v10, s0
	v_dual_mov_b32 v11, s1 :: v_dual_mov_b32 v12, s2
	;; [unrolled: 1-line block ×3, first 2 shown]
	s_swap_pc_i64 s[30:31], s[4:5]
	s_endpgm
	.section	.rodata,"a",@progbits
	.p2align	6, 0x0
	.amdhsa_kernel _ZN2at6native39vectorized_templated_elementwise_kernelILi2EN12_GLOBAL__N_110CalcIgammaIfEESt5arrayIPcLm3EE23TrivialOffsetCalculatorILi2EjES8_ILi1EjENS0_6memory12LoadWithCastILi2EEENSB_13StoreWithCastILi1EEEfJN3c104HalfEfEEEviT0_T1_T2_T3_T4_T5_
		.amdhsa_group_segment_fixed_size 1024
		.amdhsa_private_segment_fixed_size 448
		.amdhsa_kernarg_size 312
		.amdhsa_user_sgpr_count 4
		.amdhsa_user_sgpr_dispatch_ptr 1
		.amdhsa_user_sgpr_queue_ptr 0
		.amdhsa_user_sgpr_kernarg_segment_ptr 1
		.amdhsa_user_sgpr_dispatch_id 0
		.amdhsa_user_sgpr_kernarg_preload_length 0
		.amdhsa_user_sgpr_kernarg_preload_offset 0
		.amdhsa_user_sgpr_private_segment_size 0
		.amdhsa_wavefront_size32 1
		.amdhsa_uses_dynamic_stack 0
		.amdhsa_enable_private_segment 1
		.amdhsa_system_sgpr_workgroup_id_x 1
		.amdhsa_system_sgpr_workgroup_id_y 0
		.amdhsa_system_sgpr_workgroup_id_z 0
		.amdhsa_system_sgpr_workgroup_info 0
		.amdhsa_system_vgpr_workitem_id 2
		.amdhsa_next_free_vgpr 214
		.amdhsa_next_free_sgpr 96
		.amdhsa_named_barrier_count 0
		.amdhsa_reserve_vcc 1
		.amdhsa_float_round_mode_32 0
		.amdhsa_float_round_mode_16_64 0
		.amdhsa_float_denorm_mode_32 3
		.amdhsa_float_denorm_mode_16_64 3
		.amdhsa_fp16_overflow 0
		.amdhsa_memory_ordered 1
		.amdhsa_forward_progress 1
		.amdhsa_inst_pref_size 26
		.amdhsa_round_robin_scheduling 0
		.amdhsa_exception_fp_ieee_invalid_op 0
		.amdhsa_exception_fp_denorm_src 0
		.amdhsa_exception_fp_ieee_div_zero 0
		.amdhsa_exception_fp_ieee_overflow 0
		.amdhsa_exception_fp_ieee_underflow 0
		.amdhsa_exception_fp_ieee_inexact 0
		.amdhsa_exception_int_div_zero 0
	.end_amdhsa_kernel
	.section	.text._ZN2at6native39vectorized_templated_elementwise_kernelILi2EN12_GLOBAL__N_110CalcIgammaIfEESt5arrayIPcLm3EE23TrivialOffsetCalculatorILi2EjES8_ILi1EjENS0_6memory12LoadWithCastILi2EEENSB_13StoreWithCastILi1EEEfJN3c104HalfEfEEEviT0_T1_T2_T3_T4_T5_,"axG",@progbits,_ZN2at6native39vectorized_templated_elementwise_kernelILi2EN12_GLOBAL__N_110CalcIgammaIfEESt5arrayIPcLm3EE23TrivialOffsetCalculatorILi2EjES8_ILi1EjENS0_6memory12LoadWithCastILi2EEENSB_13StoreWithCastILi1EEEfJN3c104HalfEfEEEviT0_T1_T2_T3_T4_T5_,comdat
.Lfunc_end40:
	.size	_ZN2at6native39vectorized_templated_elementwise_kernelILi2EN12_GLOBAL__N_110CalcIgammaIfEESt5arrayIPcLm3EE23TrivialOffsetCalculatorILi2EjES8_ILi1EjENS0_6memory12LoadWithCastILi2EEENSB_13StoreWithCastILi1EEEfJN3c104HalfEfEEEviT0_T1_T2_T3_T4_T5_, .Lfunc_end40-_ZN2at6native39vectorized_templated_elementwise_kernelILi2EN12_GLOBAL__N_110CalcIgammaIfEESt5arrayIPcLm3EE23TrivialOffsetCalculatorILi2EjES8_ILi1EjENS0_6memory12LoadWithCastILi2EEENSB_13StoreWithCastILi1EEEfJN3c104HalfEfEEEviT0_T1_T2_T3_T4_T5_
                                        ; -- End function
	.set _ZN2at6native39vectorized_templated_elementwise_kernelILi2EN12_GLOBAL__N_110CalcIgammaIfEESt5arrayIPcLm3EE23TrivialOffsetCalculatorILi2EjES8_ILi1EjENS0_6memory12LoadWithCastILi2EEENSB_13StoreWithCastILi1EEEfJN3c104HalfEfEEEviT0_T1_T2_T3_T4_T5_.num_vgpr, max(114, .L_ZN12_GLOBAL__N_111calc_igammaIfEET_S1_S1_.num_vgpr, .L_ZN12_GLOBAL__N_112calc_igammacIfEET_S1_S1_.num_vgpr, .L_ZN2at6native25elementwise_kernel_helperILb1EN12_GLOBAL__N_110CalcIgammaIfEENS0_6memory8policies11unroll_baseILi512ESt5arrayIPcLm3EE23TrivialOffsetCalculatorILi2EjESB_ILi1EjENS5_12LoadWithCastILi2EEENS5_13StoreWithCastILi1EEELi32ELi1EEEEEvT0_T1_.num_vgpr)
	.set _ZN2at6native39vectorized_templated_elementwise_kernelILi2EN12_GLOBAL__N_110CalcIgammaIfEESt5arrayIPcLm3EE23TrivialOffsetCalculatorILi2EjES8_ILi1EjENS0_6memory12LoadWithCastILi2EEENSB_13StoreWithCastILi1EEEfJN3c104HalfEfEEEviT0_T1_T2_T3_T4_T5_.num_agpr, max(0, .L_ZN12_GLOBAL__N_111calc_igammaIfEET_S1_S1_.num_agpr, .L_ZN12_GLOBAL__N_112calc_igammacIfEET_S1_S1_.num_agpr, .L_ZN2at6native25elementwise_kernel_helperILb1EN12_GLOBAL__N_110CalcIgammaIfEENS0_6memory8policies11unroll_baseILi512ESt5arrayIPcLm3EE23TrivialOffsetCalculatorILi2EjESB_ILi1EjENS5_12LoadWithCastILi2EEENS5_13StoreWithCastILi1EEELi32ELi1EEEEEvT0_T1_.num_agpr)
	.set _ZN2at6native39vectorized_templated_elementwise_kernelILi2EN12_GLOBAL__N_110CalcIgammaIfEESt5arrayIPcLm3EE23TrivialOffsetCalculatorILi2EjES8_ILi1EjENS0_6memory12LoadWithCastILi2EEENSB_13StoreWithCastILi1EEEfJN3c104HalfEfEEEviT0_T1_T2_T3_T4_T5_.numbered_sgpr, max(57, .L_ZN12_GLOBAL__N_111calc_igammaIfEET_S1_S1_.numbered_sgpr, .L_ZN12_GLOBAL__N_112calc_igammacIfEET_S1_S1_.numbered_sgpr, .L_ZN2at6native25elementwise_kernel_helperILb1EN12_GLOBAL__N_110CalcIgammaIfEENS0_6memory8policies11unroll_baseILi512ESt5arrayIPcLm3EE23TrivialOffsetCalculatorILi2EjESB_ILi1EjENS5_12LoadWithCastILi2EEENS5_13StoreWithCastILi1EEELi32ELi1EEEEEvT0_T1_.numbered_sgpr)
	.set _ZN2at6native39vectorized_templated_elementwise_kernelILi2EN12_GLOBAL__N_110CalcIgammaIfEESt5arrayIPcLm3EE23TrivialOffsetCalculatorILi2EjES8_ILi1EjENS0_6memory12LoadWithCastILi2EEENSB_13StoreWithCastILi1EEEfJN3c104HalfEfEEEviT0_T1_T2_T3_T4_T5_.num_named_barrier, max(0, .L_ZN12_GLOBAL__N_111calc_igammaIfEET_S1_S1_.num_named_barrier, .L_ZN12_GLOBAL__N_112calc_igammacIfEET_S1_S1_.num_named_barrier, .L_ZN2at6native25elementwise_kernel_helperILb1EN12_GLOBAL__N_110CalcIgammaIfEENS0_6memory8policies11unroll_baseILi512ESt5arrayIPcLm3EE23TrivialOffsetCalculatorILi2EjESB_ILi1EjENS5_12LoadWithCastILi2EEENS5_13StoreWithCastILi1EEELi32ELi1EEEEEvT0_T1_.num_named_barrier)
	.set _ZN2at6native39vectorized_templated_elementwise_kernelILi2EN12_GLOBAL__N_110CalcIgammaIfEESt5arrayIPcLm3EE23TrivialOffsetCalculatorILi2EjES8_ILi1EjENS0_6memory12LoadWithCastILi2EEENSB_13StoreWithCastILi1EEEfJN3c104HalfEfEEEviT0_T1_T2_T3_T4_T5_.private_seg_size, 0+max(.L_ZN12_GLOBAL__N_111calc_igammaIfEET_S1_S1_.private_seg_size, .L_ZN12_GLOBAL__N_112calc_igammacIfEET_S1_S1_.private_seg_size, .L_ZN2at6native25elementwise_kernel_helperILb1EN12_GLOBAL__N_110CalcIgammaIfEENS0_6memory8policies11unroll_baseILi512ESt5arrayIPcLm3EE23TrivialOffsetCalculatorILi2EjESB_ILi1EjENS5_12LoadWithCastILi2EEENS5_13StoreWithCastILi1EEELi32ELi1EEEEEvT0_T1_.private_seg_size)
	.set _ZN2at6native39vectorized_templated_elementwise_kernelILi2EN12_GLOBAL__N_110CalcIgammaIfEESt5arrayIPcLm3EE23TrivialOffsetCalculatorILi2EjES8_ILi1EjENS0_6memory12LoadWithCastILi2EEENSB_13StoreWithCastILi1EEEfJN3c104HalfEfEEEviT0_T1_T2_T3_T4_T5_.uses_vcc, or(1, .L_ZN12_GLOBAL__N_111calc_igammaIfEET_S1_S1_.uses_vcc, .L_ZN12_GLOBAL__N_112calc_igammacIfEET_S1_S1_.uses_vcc, .L_ZN2at6native25elementwise_kernel_helperILb1EN12_GLOBAL__N_110CalcIgammaIfEENS0_6memory8policies11unroll_baseILi512ESt5arrayIPcLm3EE23TrivialOffsetCalculatorILi2EjESB_ILi1EjENS5_12LoadWithCastILi2EEENS5_13StoreWithCastILi1EEELi32ELi1EEEEEvT0_T1_.uses_vcc)
	.set _ZN2at6native39vectorized_templated_elementwise_kernelILi2EN12_GLOBAL__N_110CalcIgammaIfEESt5arrayIPcLm3EE23TrivialOffsetCalculatorILi2EjES8_ILi1EjENS0_6memory12LoadWithCastILi2EEENSB_13StoreWithCastILi1EEEfJN3c104HalfEfEEEviT0_T1_T2_T3_T4_T5_.uses_flat_scratch, or(0, .L_ZN12_GLOBAL__N_111calc_igammaIfEET_S1_S1_.uses_flat_scratch, .L_ZN12_GLOBAL__N_112calc_igammacIfEET_S1_S1_.uses_flat_scratch, .L_ZN2at6native25elementwise_kernel_helperILb1EN12_GLOBAL__N_110CalcIgammaIfEENS0_6memory8policies11unroll_baseILi512ESt5arrayIPcLm3EE23TrivialOffsetCalculatorILi2EjESB_ILi1EjENS5_12LoadWithCastILi2EEENS5_13StoreWithCastILi1EEELi32ELi1EEEEEvT0_T1_.uses_flat_scratch)
	.set _ZN2at6native39vectorized_templated_elementwise_kernelILi2EN12_GLOBAL__N_110CalcIgammaIfEESt5arrayIPcLm3EE23TrivialOffsetCalculatorILi2EjES8_ILi1EjENS0_6memory12LoadWithCastILi2EEENSB_13StoreWithCastILi1EEEfJN3c104HalfEfEEEviT0_T1_T2_T3_T4_T5_.has_dyn_sized_stack, or(0, .L_ZN12_GLOBAL__N_111calc_igammaIfEET_S1_S1_.has_dyn_sized_stack, .L_ZN12_GLOBAL__N_112calc_igammacIfEET_S1_S1_.has_dyn_sized_stack, .L_ZN2at6native25elementwise_kernel_helperILb1EN12_GLOBAL__N_110CalcIgammaIfEENS0_6memory8policies11unroll_baseILi512ESt5arrayIPcLm3EE23TrivialOffsetCalculatorILi2EjESB_ILi1EjENS5_12LoadWithCastILi2EEENS5_13StoreWithCastILi1EEELi32ELi1EEEEEvT0_T1_.has_dyn_sized_stack)
	.set _ZN2at6native39vectorized_templated_elementwise_kernelILi2EN12_GLOBAL__N_110CalcIgammaIfEESt5arrayIPcLm3EE23TrivialOffsetCalculatorILi2EjES8_ILi1EjENS0_6memory12LoadWithCastILi2EEENSB_13StoreWithCastILi1EEEfJN3c104HalfEfEEEviT0_T1_T2_T3_T4_T5_.has_recursion, or(0, .L_ZN12_GLOBAL__N_111calc_igammaIfEET_S1_S1_.has_recursion, .L_ZN12_GLOBAL__N_112calc_igammacIfEET_S1_S1_.has_recursion, .L_ZN2at6native25elementwise_kernel_helperILb1EN12_GLOBAL__N_110CalcIgammaIfEENS0_6memory8policies11unroll_baseILi512ESt5arrayIPcLm3EE23TrivialOffsetCalculatorILi2EjESB_ILi1EjENS5_12LoadWithCastILi2EEENS5_13StoreWithCastILi1EEELi32ELi1EEEEEvT0_T1_.has_recursion)
	.set _ZN2at6native39vectorized_templated_elementwise_kernelILi2EN12_GLOBAL__N_110CalcIgammaIfEESt5arrayIPcLm3EE23TrivialOffsetCalculatorILi2EjES8_ILi1EjENS0_6memory12LoadWithCastILi2EEENSB_13StoreWithCastILi1EEEfJN3c104HalfEfEEEviT0_T1_T2_T3_T4_T5_.has_indirect_call, or(0, .L_ZN12_GLOBAL__N_111calc_igammaIfEET_S1_S1_.has_indirect_call, .L_ZN12_GLOBAL__N_112calc_igammacIfEET_S1_S1_.has_indirect_call, .L_ZN2at6native25elementwise_kernel_helperILb1EN12_GLOBAL__N_110CalcIgammaIfEENS0_6memory8policies11unroll_baseILi512ESt5arrayIPcLm3EE23TrivialOffsetCalculatorILi2EjESB_ILi1EjENS5_12LoadWithCastILi2EEENS5_13StoreWithCastILi1EEELi32ELi1EEEEEvT0_T1_.has_indirect_call)
	.section	.AMDGPU.csdata,"",@progbits
; Kernel info:
; codeLenInByte = 3284
; TotalNumSgprs: 98
; NumVgprs: 214
; ScratchSize: 448
; MemoryBound: 0
; FloatMode: 240
; IeeeMode: 1
; LDSByteSize: 1024 bytes/workgroup (compile time only)
; SGPRBlocks: 0
; VGPRBlocks: 13
; NumSGPRsForWavesPerEU: 98
; NumVGPRsForWavesPerEU: 214
; NamedBarCnt: 0
; Occupancy: 4
; WaveLimiterHint : 0
; COMPUTE_PGM_RSRC2:SCRATCH_EN: 1
; COMPUTE_PGM_RSRC2:USER_SGPR: 4
; COMPUTE_PGM_RSRC2:TRAP_HANDLER: 0
; COMPUTE_PGM_RSRC2:TGID_X_EN: 1
; COMPUTE_PGM_RSRC2:TGID_Y_EN: 0
; COMPUTE_PGM_RSRC2:TGID_Z_EN: 0
; COMPUTE_PGM_RSRC2:TIDIG_COMP_CNT: 2
	.section	.text._ZN2at6native39vectorized_templated_elementwise_kernelILi8EN12_GLOBAL__N_110CalcIgammaIfEESt5arrayIPcLm3EE23TrivialOffsetCalculatorILi2EjES8_ILi1EjENS0_6memory12LoadWithCastILi2EEENSB_13StoreWithCastILi1EEEN3c104HalfEJSH_fEEEviT0_T1_T2_T3_T4_T5_,"axG",@progbits,_ZN2at6native39vectorized_templated_elementwise_kernelILi8EN12_GLOBAL__N_110CalcIgammaIfEESt5arrayIPcLm3EE23TrivialOffsetCalculatorILi2EjES8_ILi1EjENS0_6memory12LoadWithCastILi2EEENSB_13StoreWithCastILi1EEEN3c104HalfEJSH_fEEEviT0_T1_T2_T3_T4_T5_,comdat
	.globl	_ZN2at6native39vectorized_templated_elementwise_kernelILi8EN12_GLOBAL__N_110CalcIgammaIfEESt5arrayIPcLm3EE23TrivialOffsetCalculatorILi2EjES8_ILi1EjENS0_6memory12LoadWithCastILi2EEENSB_13StoreWithCastILi1EEEN3c104HalfEJSH_fEEEviT0_T1_T2_T3_T4_T5_ ; -- Begin function _ZN2at6native39vectorized_templated_elementwise_kernelILi8EN12_GLOBAL__N_110CalcIgammaIfEESt5arrayIPcLm3EE23TrivialOffsetCalculatorILi2EjES8_ILi1EjENS0_6memory12LoadWithCastILi2EEENSB_13StoreWithCastILi1EEEN3c104HalfEJSH_fEEEviT0_T1_T2_T3_T4_T5_
	.p2align	8
	.type	_ZN2at6native39vectorized_templated_elementwise_kernelILi8EN12_GLOBAL__N_110CalcIgammaIfEESt5arrayIPcLm3EE23TrivialOffsetCalculatorILi2EjES8_ILi1EjENS0_6memory12LoadWithCastILi2EEENSB_13StoreWithCastILi1EEEN3c104HalfEJSH_fEEEviT0_T1_T2_T3_T4_T5_,@function
_ZN2at6native39vectorized_templated_elementwise_kernelILi8EN12_GLOBAL__N_110CalcIgammaIfEESt5arrayIPcLm3EE23TrivialOffsetCalculatorILi2EjES8_ILi1EjENS0_6memory12LoadWithCastILi2EEENSB_13StoreWithCastILi1EEEN3c104HalfEJSH_fEEEviT0_T1_T2_T3_T4_T5_: ; @_ZN2at6native39vectorized_templated_elementwise_kernelILi8EN12_GLOBAL__N_110CalcIgammaIfEESt5arrayIPcLm3EE23TrivialOffsetCalculatorILi2EjES8_ILi1EjENS0_6memory12LoadWithCastILi2EEENSB_13StoreWithCastILi1EEEN3c104HalfEJSH_fEEEviT0_T1_T2_T3_T4_T5_
; %bb.0:
	s_mov_b64 s[34:35], s[2:3]
	s_load_b64 s[2:3], s[0:1], 0x4
	s_clause 0x2
	s_load_b64 s[4:5], s[34:35], 0x0
	s_load_b64 s[46:47], s[34:35], 0x18
	s_load_b32 s6, s[34:35], 0x38
	s_wait_xcnt 0x0
	s_bfe_u32 s1, ttmp6, 0x4000c
	s_and_b32 s0, ttmp6, 15
	s_add_co_i32 s1, s1, 1
	s_load_b128 s[36:39], s[34:35], 0x8
	s_mul_i32 s1, ttmp9, s1
	s_getreg_b32 s7, hwreg(HW_REG_IB_STS2, 6, 4)
	s_add_co_i32 s0, s0, s1
	s_mov_b32 s32, 0
	s_wait_kmcnt 0x0
	s_lshr_b32 s2, s2, 16
	s_and_b32 s1, s5, 1
	v_mov_b32_e32 v42, v0
	s_mul_i32 s2, s2, s3
	s_cmp_eq_u32 s7, 0
	s_cselect_b32 s0, ttmp9, s0
	s_delay_alu instid0(VALU_DEP_1) | instskip(SKIP_3) | instid1(VALU_DEP_3)
	v_and_b32_e32 v113, 0x3ff, v42
	v_bfe_u32 v0, v42, 10, 10
	v_bfe_u32 v2, v42, 20, 10
	s_not_b32 s0, s0
	v_mul_lo_u32 v1, s2, v113
	s_delay_alu instid0(VALU_DEP_3) | instskip(SKIP_1) | instid1(SALU_CYCLE_1)
	v_mul_u32_u24_e32 v0, s3, v0
	s_add_co_i32 s6, s6, s0
	s_lshl_b32 s0, s6, 14
	s_delay_alu instid0(SALU_CYCLE_1) | instskip(NEXT) | instid1(SALU_CYCLE_1)
	s_sub_co_i32 s54, s4, s0
	s_cmp_gt_i32 s54, 0x3fff
	s_delay_alu instid0(VALU_DEP_2)
	v_add3_u32 v112, v1, v0, v2
	v_mov_b32_e32 v0, s1
	s_mov_b32 s1, -1
	ds_store_b8 v112, v0
	s_cbranch_scc1 .LBB41_3
; %bb.1:
	s_and_b32 vcc_lo, exec_lo, s1
	s_cbranch_vccnz .LBB41_132
.LBB41_2:
	s_endpgm
.LBB41_3:
	s_ashr_i32 s1, s0, 31
	v_lshlrev_b32_e32 v0, 5, v113
	s_lshl_b64 s[2:3], s[0:1], 2
	s_lshl_b64 s[48:49], s[0:1], 1
	s_add_nc_u64 s[0:1], s[46:47], s[2:3]
	s_add_nc_u64 s[2:3], s[38:39], s[48:49]
	s_clause 0x1
	global_load_b128 v[44:47], v0, s[0:1]
	global_load_b128 v[56:59], v0, s[0:1] offset:16
	s_clause 0x3
	global_load_b128 v[108:111], v113, s[2:3] scale_offset
	global_load_b128 v[72:75], v113, s[2:3] offset:8192 scale_offset
	global_load_b128 v[84:87], v113, s[2:3] offset:16384 scale_offset
	;; [unrolled: 1-line block ×3, first 2 shown]
	s_clause 0x5
	global_load_b128 v[104:107], v0, s[0:1] offset:16400
	global_load_b128 v[60:63], v0, s[0:1] offset:16384
	;; [unrolled: 1-line block ×6, first 2 shown]
	s_wait_xcnt 0x0
	ds_load_u8 v0, v112
	s_get_pc_i64 s[50:51]
	s_add_nc_u64 s[50:51], s[50:51], _ZN12_GLOBAL__N_111calc_igammaIfEET_S1_S1_@rel64+4
                                        ; implicit-def: $vgpr43
	s_wait_dscnt 0x0
	v_and_b32_e32 v2, 1, v0
	s_delay_alu instid0(VALU_DEP_1)
	v_cmp_eq_u32_e32 vcc_lo, 1, v2
	ds_store_b8 v112, v2 offset:512
	s_xor_b32 s55, vcc_lo, -1
	s_wait_loadcnt 0xb
	v_cvt_f16_f32_e32 v1, v44
	s_wait_loadcnt 0x9
	v_cvt_f32_f16_e32 v0, v108
	s_delay_alu instid0(VALU_DEP_2) | instskip(SKIP_1) | instid1(SALU_CYCLE_1)
	v_cvt_f32_f16_e32 v1, v1
	s_and_saveexec_b32 s0, s55
	s_xor_b32 s52, exec_lo, s0
	s_cbranch_execz .LBB41_5
; %bb.4:
	s_swap_pc_i64 s[30:31], s[50:51]
	v_mov_b32_e32 v43, v0
                                        ; implicit-def: $vgpr0
                                        ; implicit-def: $vgpr1
.LBB41_5:
	s_or_saveexec_b32 s26, s52
	s_get_pc_i64 s[52:53]
	s_add_nc_u64 s[52:53], s[52:53], _ZN12_GLOBAL__N_112calc_igammacIfEET_S1_S1_@rel64+4
	s_xor_b32 exec_lo, exec_lo, s26
	s_cbranch_execz .LBB41_7
; %bb.6:
	s_swap_pc_i64 s[30:31], s[52:53]
	v_mov_b32_e32 v43, v0
.LBB41_7:
	s_or_b32 exec_lo, exec_lo, s26
	v_lshrrev_b32_e32 v0, 16, v108
	v_cvt_f16_f32_e32 v1, v45
                                        ; implicit-def: $vgpr44
	s_delay_alu instid0(VALU_DEP_2) | instskip(NEXT) | instid1(VALU_DEP_2)
	v_cvt_f32_f16_e32 v0, v0
	v_cvt_f32_f16_e32 v1, v1
	s_and_saveexec_b32 s0, s55
	s_delay_alu instid0(SALU_CYCLE_1)
	s_xor_b32 s56, exec_lo, s0
	s_cbranch_execz .LBB41_9
; %bb.8:
	s_swap_pc_i64 s[30:31], s[50:51]
	v_mov_b32_e32 v44, v0
                                        ; implicit-def: $vgpr0
                                        ; implicit-def: $vgpr1
.LBB41_9:
	s_and_not1_saveexec_b32 s26, s56
	s_cbranch_execz .LBB41_11
; %bb.10:
	s_swap_pc_i64 s[30:31], s[52:53]
	v_mov_b32_e32 v44, v0
.LBB41_11:
	s_or_b32 exec_lo, exec_lo, s26
	v_cvt_f16_f32_e32 v1, v46
	v_cvt_f32_f16_e32 v0, v109
                                        ; implicit-def: $vgpr45
	s_delay_alu instid0(VALU_DEP_2) | instskip(SKIP_1) | instid1(SALU_CYCLE_1)
	v_cvt_f32_f16_e32 v1, v1
	s_and_saveexec_b32 s0, s55
	s_xor_b32 s56, exec_lo, s0
	s_cbranch_execz .LBB41_13
; %bb.12:
	s_swap_pc_i64 s[30:31], s[50:51]
	v_mov_b32_e32 v45, v0
                                        ; implicit-def: $vgpr0
                                        ; implicit-def: $vgpr1
.LBB41_13:
	s_and_not1_saveexec_b32 s26, s56
	s_cbranch_execz .LBB41_15
; %bb.14:
	s_swap_pc_i64 s[30:31], s[52:53]
	v_mov_b32_e32 v45, v0
.LBB41_15:
	s_or_b32 exec_lo, exec_lo, s26
	v_lshrrev_b32_e32 v0, 16, v109
	v_cvt_f16_f32_e32 v1, v47
                                        ; implicit-def: $vgpr46
	s_delay_alu instid0(VALU_DEP_2) | instskip(NEXT) | instid1(VALU_DEP_2)
	v_cvt_f32_f16_e32 v0, v0
	v_cvt_f32_f16_e32 v1, v1
	s_and_saveexec_b32 s0, s55
	s_delay_alu instid0(SALU_CYCLE_1)
	s_xor_b32 s56, exec_lo, s0
	s_cbranch_execz .LBB41_17
; %bb.16:
	s_swap_pc_i64 s[30:31], s[50:51]
	v_mov_b32_e32 v46, v0
                                        ; implicit-def: $vgpr0
                                        ; implicit-def: $vgpr1
.LBB41_17:
	s_and_not1_saveexec_b32 s26, s56
	s_cbranch_execz .LBB41_19
; %bb.18:
	s_swap_pc_i64 s[30:31], s[52:53]
	v_mov_b32_e32 v46, v0
.LBB41_19:
	s_or_b32 exec_lo, exec_lo, s26
	v_cvt_f16_f32_e32 v1, v56
	v_cvt_f32_f16_e32 v0, v110
                                        ; implicit-def: $vgpr47
	s_delay_alu instid0(VALU_DEP_2) | instskip(SKIP_1) | instid1(SALU_CYCLE_1)
	v_cvt_f32_f16_e32 v1, v1
	s_and_saveexec_b32 s0, s55
	s_xor_b32 s56, exec_lo, s0
	s_cbranch_execz .LBB41_21
; %bb.20:
	s_swap_pc_i64 s[30:31], s[50:51]
	v_mov_b32_e32 v47, v0
                                        ; implicit-def: $vgpr0
                                        ; implicit-def: $vgpr1
.LBB41_21:
	s_and_not1_saveexec_b32 s26, s56
	s_cbranch_execz .LBB41_23
; %bb.22:
	s_swap_pc_i64 s[30:31], s[52:53]
	v_mov_b32_e32 v47, v0
.LBB41_23:
	s_or_b32 exec_lo, exec_lo, s26
	v_lshrrev_b32_e32 v0, 16, v110
	v_cvt_f16_f32_e32 v1, v57
                                        ; implicit-def: $vgpr56
	s_delay_alu instid0(VALU_DEP_2) | instskip(NEXT) | instid1(VALU_DEP_2)
	v_cvt_f32_f16_e32 v0, v0
	v_cvt_f32_f16_e32 v1, v1
	s_and_saveexec_b32 s0, s55
	s_delay_alu instid0(SALU_CYCLE_1)
	s_xor_b32 s56, exec_lo, s0
	s_cbranch_execz .LBB41_25
; %bb.24:
	s_swap_pc_i64 s[30:31], s[50:51]
	v_mov_b32_e32 v56, v0
                                        ; implicit-def: $vgpr0
                                        ; implicit-def: $vgpr1
.LBB41_25:
	s_and_not1_saveexec_b32 s26, s56
	s_cbranch_execz .LBB41_27
; %bb.26:
	s_swap_pc_i64 s[30:31], s[52:53]
	v_mov_b32_e32 v56, v0
.LBB41_27:
	s_or_b32 exec_lo, exec_lo, s26
	v_cvt_f16_f32_e32 v1, v58
	v_cvt_f32_f16_e32 v0, v111
                                        ; implicit-def: $vgpr57
	s_delay_alu instid0(VALU_DEP_2) | instskip(SKIP_1) | instid1(SALU_CYCLE_1)
	v_cvt_f32_f16_e32 v1, v1
	s_and_saveexec_b32 s0, s55
	s_xor_b32 s56, exec_lo, s0
	s_cbranch_execz .LBB41_29
; %bb.28:
	s_swap_pc_i64 s[30:31], s[50:51]
	v_mov_b32_e32 v57, v0
                                        ; implicit-def: $vgpr0
                                        ; implicit-def: $vgpr1
.LBB41_29:
	s_and_not1_saveexec_b32 s26, s56
	s_cbranch_execz .LBB41_31
; %bb.30:
	s_swap_pc_i64 s[30:31], s[52:53]
	v_mov_b32_e32 v57, v0
.LBB41_31:
	s_or_b32 exec_lo, exec_lo, s26
	v_lshrrev_b32_e32 v0, 16, v111
	v_cvt_f16_f32_e32 v1, v59
                                        ; implicit-def: $vgpr58
	s_delay_alu instid0(VALU_DEP_2) | instskip(NEXT) | instid1(VALU_DEP_2)
	v_cvt_f32_f16_e32 v0, v0
	v_cvt_f32_f16_e32 v1, v1
	s_and_saveexec_b32 s0, s55
	s_delay_alu instid0(SALU_CYCLE_1)
	s_xor_b32 s56, exec_lo, s0
	s_cbranch_execz .LBB41_33
; %bb.32:
	s_swap_pc_i64 s[30:31], s[50:51]
	v_mov_b32_e32 v58, v0
                                        ; implicit-def: $vgpr0
                                        ; implicit-def: $vgpr1
.LBB41_33:
	s_and_not1_saveexec_b32 s26, s56
	s_cbranch_execz .LBB41_35
; %bb.34:
	s_swap_pc_i64 s[30:31], s[52:53]
	v_mov_b32_e32 v58, v0
.LBB41_35:
	s_or_b32 exec_lo, exec_lo, s26
	s_wait_loadcnt 0x4
	v_cvt_f16_f32_e32 v1, v60
	v_cvt_f32_f16_e32 v0, v72
                                        ; implicit-def: $vgpr59
	s_delay_alu instid0(VALU_DEP_2) | instskip(SKIP_1) | instid1(SALU_CYCLE_1)
	v_cvt_f32_f16_e32 v1, v1
	s_and_saveexec_b32 s0, s55
	s_xor_b32 s56, exec_lo, s0
	s_cbranch_execz .LBB41_37
; %bb.36:
	s_swap_pc_i64 s[30:31], s[50:51]
	v_mov_b32_e32 v59, v0
                                        ; implicit-def: $vgpr0
                                        ; implicit-def: $vgpr1
.LBB41_37:
	s_and_not1_saveexec_b32 s26, s56
	s_cbranch_execz .LBB41_39
; %bb.38:
	s_swap_pc_i64 s[30:31], s[52:53]
	v_mov_b32_e32 v59, v0
.LBB41_39:
	s_or_b32 exec_lo, exec_lo, s26
	v_lshrrev_b32_e32 v0, 16, v72
	v_cvt_f16_f32_e32 v1, v61
                                        ; implicit-def: $vgpr60
	s_delay_alu instid0(VALU_DEP_2) | instskip(NEXT) | instid1(VALU_DEP_2)
	v_cvt_f32_f16_e32 v0, v0
	v_cvt_f32_f16_e32 v1, v1
	s_and_saveexec_b32 s0, s55
	s_delay_alu instid0(SALU_CYCLE_1)
	s_xor_b32 s56, exec_lo, s0
	s_cbranch_execz .LBB41_41
; %bb.40:
	s_swap_pc_i64 s[30:31], s[50:51]
	v_mov_b32_e32 v60, v0
                                        ; implicit-def: $vgpr0
                                        ; implicit-def: $vgpr1
.LBB41_41:
	s_and_not1_saveexec_b32 s26, s56
	s_cbranch_execz .LBB41_43
; %bb.42:
	s_swap_pc_i64 s[30:31], s[52:53]
	v_mov_b32_e32 v60, v0
.LBB41_43:
	s_or_b32 exec_lo, exec_lo, s26
	v_cvt_f16_f32_e32 v1, v62
	v_cvt_f32_f16_e32 v0, v73
                                        ; implicit-def: $vgpr61
	s_delay_alu instid0(VALU_DEP_2) | instskip(SKIP_1) | instid1(SALU_CYCLE_1)
	v_cvt_f32_f16_e32 v1, v1
	s_and_saveexec_b32 s0, s55
	s_xor_b32 s56, exec_lo, s0
	s_cbranch_execz .LBB41_45
; %bb.44:
	s_swap_pc_i64 s[30:31], s[50:51]
	v_mov_b32_e32 v61, v0
                                        ; implicit-def: $vgpr0
                                        ; implicit-def: $vgpr1
.LBB41_45:
	s_and_not1_saveexec_b32 s26, s56
	s_cbranch_execz .LBB41_47
; %bb.46:
	s_swap_pc_i64 s[30:31], s[52:53]
	v_mov_b32_e32 v61, v0
.LBB41_47:
	s_or_b32 exec_lo, exec_lo, s26
	v_lshrrev_b32_e32 v0, 16, v73
	v_cvt_f16_f32_e32 v1, v63
                                        ; implicit-def: $vgpr62
	s_delay_alu instid0(VALU_DEP_2) | instskip(NEXT) | instid1(VALU_DEP_2)
	v_cvt_f32_f16_e32 v0, v0
	v_cvt_f32_f16_e32 v1, v1
	s_and_saveexec_b32 s0, s55
	s_delay_alu instid0(SALU_CYCLE_1)
	s_xor_b32 s56, exec_lo, s0
	s_cbranch_execz .LBB41_49
; %bb.48:
	s_swap_pc_i64 s[30:31], s[50:51]
	v_mov_b32_e32 v62, v0
                                        ; implicit-def: $vgpr0
                                        ; implicit-def: $vgpr1
.LBB41_49:
	s_and_not1_saveexec_b32 s26, s56
	s_cbranch_execz .LBB41_51
; %bb.50:
	s_swap_pc_i64 s[30:31], s[52:53]
	v_mov_b32_e32 v62, v0
.LBB41_51:
	s_or_b32 exec_lo, exec_lo, s26
	v_cvt_f16_f32_e32 v1, v104
	v_cvt_f32_f16_e32 v0, v74
                                        ; implicit-def: $vgpr63
	s_delay_alu instid0(VALU_DEP_2) | instskip(SKIP_1) | instid1(SALU_CYCLE_1)
	v_cvt_f32_f16_e32 v1, v1
	s_and_saveexec_b32 s0, s55
	s_xor_b32 s56, exec_lo, s0
	s_cbranch_execz .LBB41_53
; %bb.52:
	s_swap_pc_i64 s[30:31], s[50:51]
	v_mov_b32_e32 v63, v0
                                        ; implicit-def: $vgpr0
                                        ; implicit-def: $vgpr1
.LBB41_53:
	s_and_not1_saveexec_b32 s26, s56
	s_cbranch_execz .LBB41_55
; %bb.54:
	s_swap_pc_i64 s[30:31], s[52:53]
	v_mov_b32_e32 v63, v0
.LBB41_55:
	s_or_b32 exec_lo, exec_lo, s26
	v_lshrrev_b32_e32 v0, 16, v74
	v_cvt_f16_f32_e32 v1, v105
                                        ; implicit-def: $vgpr72
	s_delay_alu instid0(VALU_DEP_2) | instskip(NEXT) | instid1(VALU_DEP_2)
	v_cvt_f32_f16_e32 v0, v0
	v_cvt_f32_f16_e32 v1, v1
	s_and_saveexec_b32 s0, s55
	s_delay_alu instid0(SALU_CYCLE_1)
	s_xor_b32 s56, exec_lo, s0
	s_cbranch_execz .LBB41_57
; %bb.56:
	s_swap_pc_i64 s[30:31], s[50:51]
	v_mov_b32_e32 v72, v0
                                        ; implicit-def: $vgpr0
                                        ; implicit-def: $vgpr1
.LBB41_57:
	s_and_not1_saveexec_b32 s26, s56
	s_cbranch_execz .LBB41_59
; %bb.58:
	s_swap_pc_i64 s[30:31], s[52:53]
	v_mov_b32_e32 v72, v0
.LBB41_59:
	s_or_b32 exec_lo, exec_lo, s26
	v_cvt_f16_f32_e32 v1, v106
	v_cvt_f32_f16_e32 v0, v75
                                        ; implicit-def: $vgpr73
	s_delay_alu instid0(VALU_DEP_2) | instskip(SKIP_1) | instid1(SALU_CYCLE_1)
	v_cvt_f32_f16_e32 v1, v1
	s_and_saveexec_b32 s0, s55
	s_xor_b32 s56, exec_lo, s0
	s_cbranch_execz .LBB41_61
; %bb.60:
	s_swap_pc_i64 s[30:31], s[50:51]
	v_mov_b32_e32 v73, v0
                                        ; implicit-def: $vgpr0
                                        ; implicit-def: $vgpr1
.LBB41_61:
	s_and_not1_saveexec_b32 s26, s56
	s_cbranch_execz .LBB41_63
; %bb.62:
	s_swap_pc_i64 s[30:31], s[52:53]
	v_mov_b32_e32 v73, v0
.LBB41_63:
	s_or_b32 exec_lo, exec_lo, s26
	v_lshrrev_b32_e32 v0, 16, v75
	v_cvt_f16_f32_e32 v1, v107
                                        ; implicit-def: $vgpr74
	s_delay_alu instid0(VALU_DEP_2) | instskip(NEXT) | instid1(VALU_DEP_2)
	v_cvt_f32_f16_e32 v0, v0
	v_cvt_f32_f16_e32 v1, v1
	s_and_saveexec_b32 s0, s55
	s_delay_alu instid0(SALU_CYCLE_1)
	s_xor_b32 s56, exec_lo, s0
	s_cbranch_execz .LBB41_65
; %bb.64:
	s_swap_pc_i64 s[30:31], s[50:51]
	v_mov_b32_e32 v74, v0
                                        ; implicit-def: $vgpr0
                                        ; implicit-def: $vgpr1
.LBB41_65:
	s_and_not1_saveexec_b32 s26, s56
	s_cbranch_execz .LBB41_67
; %bb.66:
	s_swap_pc_i64 s[30:31], s[52:53]
	v_mov_b32_e32 v74, v0
.LBB41_67:
	s_or_b32 exec_lo, exec_lo, s26
	s_wait_loadcnt 0x2
	v_cvt_f16_f32_e32 v1, v76
	v_cvt_f32_f16_e32 v0, v84
                                        ; implicit-def: $vgpr75
	s_delay_alu instid0(VALU_DEP_2) | instskip(SKIP_1) | instid1(SALU_CYCLE_1)
	v_cvt_f32_f16_e32 v1, v1
	s_and_saveexec_b32 s0, s55
	s_xor_b32 s56, exec_lo, s0
	s_cbranch_execz .LBB41_69
; %bb.68:
	s_swap_pc_i64 s[30:31], s[50:51]
	v_mov_b32_e32 v75, v0
                                        ; implicit-def: $vgpr0
                                        ; implicit-def: $vgpr1
.LBB41_69:
	s_and_not1_saveexec_b32 s26, s56
	s_cbranch_execz .LBB41_71
; %bb.70:
	s_swap_pc_i64 s[30:31], s[52:53]
	v_mov_b32_e32 v75, v0
.LBB41_71:
	s_or_b32 exec_lo, exec_lo, s26
	v_lshrrev_b32_e32 v0, 16, v84
	v_cvt_f16_f32_e32 v1, v77
                                        ; implicit-def: $vgpr76
	s_delay_alu instid0(VALU_DEP_2) | instskip(NEXT) | instid1(VALU_DEP_2)
	v_cvt_f32_f16_e32 v0, v0
	v_cvt_f32_f16_e32 v1, v1
	s_and_saveexec_b32 s0, s55
	s_delay_alu instid0(SALU_CYCLE_1)
	s_xor_b32 s56, exec_lo, s0
	s_cbranch_execz .LBB41_73
; %bb.72:
	s_swap_pc_i64 s[30:31], s[50:51]
	v_mov_b32_e32 v76, v0
                                        ; implicit-def: $vgpr0
                                        ; implicit-def: $vgpr1
.LBB41_73:
	s_and_not1_saveexec_b32 s26, s56
	s_cbranch_execz .LBB41_75
; %bb.74:
	s_swap_pc_i64 s[30:31], s[52:53]
	v_mov_b32_e32 v76, v0
.LBB41_75:
	s_or_b32 exec_lo, exec_lo, s26
	v_cvt_f16_f32_e32 v1, v78
	v_cvt_f32_f16_e32 v0, v85
                                        ; implicit-def: $vgpr77
	s_delay_alu instid0(VALU_DEP_2) | instskip(SKIP_1) | instid1(SALU_CYCLE_1)
	v_cvt_f32_f16_e32 v1, v1
	s_and_saveexec_b32 s0, s55
	s_xor_b32 s56, exec_lo, s0
	s_cbranch_execz .LBB41_77
; %bb.76:
	s_swap_pc_i64 s[30:31], s[50:51]
	v_mov_b32_e32 v77, v0
                                        ; implicit-def: $vgpr0
                                        ; implicit-def: $vgpr1
.LBB41_77:
	s_and_not1_saveexec_b32 s26, s56
	s_cbranch_execz .LBB41_79
; %bb.78:
	s_swap_pc_i64 s[30:31], s[52:53]
	v_mov_b32_e32 v77, v0
.LBB41_79:
	s_or_b32 exec_lo, exec_lo, s26
	v_lshrrev_b32_e32 v0, 16, v85
	v_cvt_f16_f32_e32 v1, v79
                                        ; implicit-def: $vgpr78
	s_delay_alu instid0(VALU_DEP_2) | instskip(NEXT) | instid1(VALU_DEP_2)
	v_cvt_f32_f16_e32 v0, v0
	v_cvt_f32_f16_e32 v1, v1
	s_and_saveexec_b32 s0, s55
	s_delay_alu instid0(SALU_CYCLE_1)
	s_xor_b32 s56, exec_lo, s0
	s_cbranch_execz .LBB41_81
; %bb.80:
	s_swap_pc_i64 s[30:31], s[50:51]
	v_mov_b32_e32 v78, v0
                                        ; implicit-def: $vgpr0
                                        ; implicit-def: $vgpr1
.LBB41_81:
	s_and_not1_saveexec_b32 s26, s56
	s_cbranch_execz .LBB41_83
; %bb.82:
	s_swap_pc_i64 s[30:31], s[52:53]
	v_mov_b32_e32 v78, v0
.LBB41_83:
	s_or_b32 exec_lo, exec_lo, s26
	v_cvt_f16_f32_e32 v1, v100
	v_cvt_f32_f16_e32 v0, v86
                                        ; implicit-def: $vgpr79
	s_delay_alu instid0(VALU_DEP_2) | instskip(SKIP_1) | instid1(SALU_CYCLE_1)
	v_cvt_f32_f16_e32 v1, v1
	s_and_saveexec_b32 s0, s55
	s_xor_b32 s56, exec_lo, s0
	s_cbranch_execz .LBB41_85
; %bb.84:
	s_swap_pc_i64 s[30:31], s[50:51]
	v_mov_b32_e32 v79, v0
                                        ; implicit-def: $vgpr0
                                        ; implicit-def: $vgpr1
.LBB41_85:
	s_and_not1_saveexec_b32 s26, s56
	s_cbranch_execz .LBB41_87
; %bb.86:
	s_swap_pc_i64 s[30:31], s[52:53]
	v_mov_b32_e32 v79, v0
.LBB41_87:
	s_or_b32 exec_lo, exec_lo, s26
	v_lshrrev_b32_e32 v0, 16, v86
	v_cvt_f16_f32_e32 v1, v101
                                        ; implicit-def: $vgpr84
	s_delay_alu instid0(VALU_DEP_2) | instskip(NEXT) | instid1(VALU_DEP_2)
	v_cvt_f32_f16_e32 v0, v0
	v_cvt_f32_f16_e32 v1, v1
	s_and_saveexec_b32 s0, s55
	s_delay_alu instid0(SALU_CYCLE_1)
	s_xor_b32 s56, exec_lo, s0
	s_cbranch_execz .LBB41_89
; %bb.88:
	s_swap_pc_i64 s[30:31], s[50:51]
	v_mov_b32_e32 v84, v0
                                        ; implicit-def: $vgpr0
                                        ; implicit-def: $vgpr1
.LBB41_89:
	s_and_not1_saveexec_b32 s26, s56
	s_cbranch_execz .LBB41_91
; %bb.90:
	s_swap_pc_i64 s[30:31], s[52:53]
	v_mov_b32_e32 v84, v0
.LBB41_91:
	s_or_b32 exec_lo, exec_lo, s26
	v_cvt_f16_f32_e32 v1, v102
	v_cvt_f32_f16_e32 v0, v87
                                        ; implicit-def: $vgpr85
	s_delay_alu instid0(VALU_DEP_2) | instskip(SKIP_1) | instid1(SALU_CYCLE_1)
	v_cvt_f32_f16_e32 v1, v1
	s_and_saveexec_b32 s0, s55
	s_xor_b32 s56, exec_lo, s0
	s_cbranch_execz .LBB41_93
; %bb.92:
	s_swap_pc_i64 s[30:31], s[50:51]
	v_mov_b32_e32 v85, v0
                                        ; implicit-def: $vgpr0
                                        ; implicit-def: $vgpr1
.LBB41_93:
	s_and_not1_saveexec_b32 s26, s56
	s_cbranch_execz .LBB41_95
; %bb.94:
	s_swap_pc_i64 s[30:31], s[52:53]
	v_mov_b32_e32 v85, v0
.LBB41_95:
	s_or_b32 exec_lo, exec_lo, s26
	v_lshrrev_b32_e32 v0, 16, v87
	v_cvt_f16_f32_e32 v1, v103
                                        ; implicit-def: $vgpr86
	s_delay_alu instid0(VALU_DEP_2) | instskip(NEXT) | instid1(VALU_DEP_2)
	v_cvt_f32_f16_e32 v0, v0
	v_cvt_f32_f16_e32 v1, v1
	s_and_saveexec_b32 s0, s55
	s_delay_alu instid0(SALU_CYCLE_1)
	s_xor_b32 s56, exec_lo, s0
	s_cbranch_execz .LBB41_97
; %bb.96:
	s_swap_pc_i64 s[30:31], s[50:51]
	v_mov_b32_e32 v86, v0
                                        ; implicit-def: $vgpr0
                                        ; implicit-def: $vgpr1
.LBB41_97:
	s_and_not1_saveexec_b32 s26, s56
	s_cbranch_execz .LBB41_99
; %bb.98:
	s_swap_pc_i64 s[30:31], s[52:53]
	v_mov_b32_e32 v86, v0
.LBB41_99:
	s_or_b32 exec_lo, exec_lo, s26
	s_wait_loadcnt 0x0
	v_cvt_f16_f32_e32 v1, v88
	v_cvt_f32_f16_e32 v0, v92
                                        ; implicit-def: $vgpr87
	s_delay_alu instid0(VALU_DEP_2) | instskip(SKIP_1) | instid1(SALU_CYCLE_1)
	v_cvt_f32_f16_e32 v1, v1
	s_and_saveexec_b32 s0, s55
	s_xor_b32 s56, exec_lo, s0
	s_cbranch_execz .LBB41_101
; %bb.100:
	s_swap_pc_i64 s[30:31], s[50:51]
	v_mov_b32_e32 v87, v0
                                        ; implicit-def: $vgpr0
                                        ; implicit-def: $vgpr1
.LBB41_101:
	s_and_not1_saveexec_b32 s26, s56
	s_cbranch_execz .LBB41_103
; %bb.102:
	s_swap_pc_i64 s[30:31], s[52:53]
	v_mov_b32_e32 v87, v0
.LBB41_103:
	s_or_b32 exec_lo, exec_lo, s26
	v_lshrrev_b32_e32 v0, 16, v92
	v_cvt_f16_f32_e32 v1, v89
                                        ; implicit-def: $vgpr88
	s_delay_alu instid0(VALU_DEP_2) | instskip(NEXT) | instid1(VALU_DEP_2)
	v_cvt_f32_f16_e32 v0, v0
	v_cvt_f32_f16_e32 v1, v1
	s_and_saveexec_b32 s0, s55
	s_delay_alu instid0(SALU_CYCLE_1)
	s_xor_b32 s56, exec_lo, s0
	s_cbranch_execz .LBB41_105
; %bb.104:
	s_swap_pc_i64 s[30:31], s[50:51]
	v_mov_b32_e32 v88, v0
                                        ; implicit-def: $vgpr0
                                        ; implicit-def: $vgpr1
.LBB41_105:
	s_and_not1_saveexec_b32 s26, s56
	s_cbranch_execz .LBB41_107
; %bb.106:
	s_swap_pc_i64 s[30:31], s[52:53]
	v_mov_b32_e32 v88, v0
.LBB41_107:
	s_or_b32 exec_lo, exec_lo, s26
	v_cvt_f16_f32_e32 v1, v90
	v_cvt_f32_f16_e32 v0, v93
                                        ; implicit-def: $vgpr89
	s_delay_alu instid0(VALU_DEP_2) | instskip(SKIP_1) | instid1(SALU_CYCLE_1)
	v_cvt_f32_f16_e32 v1, v1
	s_and_saveexec_b32 s0, s55
	s_xor_b32 s56, exec_lo, s0
	s_cbranch_execz .LBB41_109
; %bb.108:
	s_swap_pc_i64 s[30:31], s[50:51]
	v_mov_b32_e32 v89, v0
                                        ; implicit-def: $vgpr0
                                        ; implicit-def: $vgpr1
.LBB41_109:
	s_and_not1_saveexec_b32 s26, s56
	s_cbranch_execz .LBB41_111
; %bb.110:
	s_swap_pc_i64 s[30:31], s[52:53]
	v_mov_b32_e32 v89, v0
.LBB41_111:
	s_or_b32 exec_lo, exec_lo, s26
	v_lshrrev_b32_e32 v0, 16, v93
	v_cvt_f16_f32_e32 v1, v91
                                        ; implicit-def: $vgpr90
	s_delay_alu instid0(VALU_DEP_2) | instskip(NEXT) | instid1(VALU_DEP_2)
	v_cvt_f32_f16_e32 v0, v0
	v_cvt_f32_f16_e32 v1, v1
	s_and_saveexec_b32 s0, s55
	s_delay_alu instid0(SALU_CYCLE_1)
	s_xor_b32 s56, exec_lo, s0
	s_cbranch_execz .LBB41_113
; %bb.112:
	s_swap_pc_i64 s[30:31], s[50:51]
	v_mov_b32_e32 v90, v0
                                        ; implicit-def: $vgpr0
                                        ; implicit-def: $vgpr1
.LBB41_113:
	s_and_not1_saveexec_b32 s26, s56
	s_cbranch_execz .LBB41_115
; %bb.114:
	s_swap_pc_i64 s[30:31], s[52:53]
	v_mov_b32_e32 v90, v0
.LBB41_115:
	s_or_b32 exec_lo, exec_lo, s26
	v_cvt_f16_f32_e32 v1, v96
	v_cvt_f32_f16_e32 v0, v94
                                        ; implicit-def: $vgpr91
	s_delay_alu instid0(VALU_DEP_2) | instskip(SKIP_1) | instid1(SALU_CYCLE_1)
	v_cvt_f32_f16_e32 v1, v1
	s_and_saveexec_b32 s0, s55
	s_xor_b32 s56, exec_lo, s0
	s_cbranch_execz .LBB41_117
; %bb.116:
	s_swap_pc_i64 s[30:31], s[50:51]
	v_mov_b32_e32 v91, v0
                                        ; implicit-def: $vgpr0
                                        ; implicit-def: $vgpr1
.LBB41_117:
	s_and_not1_saveexec_b32 s26, s56
	s_cbranch_execz .LBB41_119
; %bb.118:
	s_swap_pc_i64 s[30:31], s[52:53]
	v_mov_b32_e32 v91, v0
.LBB41_119:
	s_or_b32 exec_lo, exec_lo, s26
	v_lshrrev_b32_e32 v0, 16, v94
	v_cvt_f16_f32_e32 v1, v97
                                        ; implicit-def: $vgpr92
	s_delay_alu instid0(VALU_DEP_2) | instskip(NEXT) | instid1(VALU_DEP_2)
	v_cvt_f32_f16_e32 v0, v0
	v_cvt_f32_f16_e32 v1, v1
	s_and_saveexec_b32 s0, s55
	s_delay_alu instid0(SALU_CYCLE_1)
	s_xor_b32 s56, exec_lo, s0
	s_cbranch_execz .LBB41_121
; %bb.120:
	s_swap_pc_i64 s[30:31], s[50:51]
	v_mov_b32_e32 v92, v0
                                        ; implicit-def: $vgpr0
                                        ; implicit-def: $vgpr1
.LBB41_121:
	s_and_not1_saveexec_b32 s26, s56
	s_cbranch_execz .LBB41_123
; %bb.122:
	s_swap_pc_i64 s[30:31], s[52:53]
	v_mov_b32_e32 v92, v0
.LBB41_123:
	s_or_b32 exec_lo, exec_lo, s26
	v_cvt_f16_f32_e32 v1, v98
	v_cvt_f32_f16_e32 v0, v95
                                        ; implicit-def: $vgpr93
	s_delay_alu instid0(VALU_DEP_2) | instskip(SKIP_1) | instid1(SALU_CYCLE_1)
	v_cvt_f32_f16_e32 v1, v1
	s_and_saveexec_b32 s0, s55
	s_xor_b32 s56, exec_lo, s0
	s_cbranch_execz .LBB41_125
; %bb.124:
	s_swap_pc_i64 s[30:31], s[50:51]
	v_mov_b32_e32 v93, v0
                                        ; implicit-def: $vgpr0
                                        ; implicit-def: $vgpr1
.LBB41_125:
	s_and_not1_saveexec_b32 s26, s56
	s_cbranch_execz .LBB41_127
; %bb.126:
	s_swap_pc_i64 s[30:31], s[52:53]
	v_mov_b32_e32 v93, v0
.LBB41_127:
	s_or_b32 exec_lo, exec_lo, s26
	v_lshrrev_b32_e32 v0, 16, v95
	v_cvt_f16_f32_e32 v1, v99
	s_delay_alu instid0(VALU_DEP_2) | instskip(NEXT) | instid1(VALU_DEP_2)
	v_cvt_f32_f16_e32 v2, v0
	v_cvt_f32_f16_e32 v1, v1
                                        ; implicit-def: $vgpr0
	s_and_saveexec_b32 s0, s55
	s_delay_alu instid0(SALU_CYCLE_1)
	s_xor_b32 s55, exec_lo, s0
	s_cbranch_execz .LBB41_129
; %bb.128:
	v_mov_b32_e32 v0, v2
	s_swap_pc_i64 s[30:31], s[50:51]
                                        ; implicit-def: $vgpr2
                                        ; implicit-def: $vgpr1
.LBB41_129:
	s_and_not1_saveexec_b32 s26, s55
	s_cbranch_execz .LBB41_131
; %bb.130:
	v_mov_b32_e32 v0, v2
	s_swap_pc_i64 s[30:31], s[52:53]
.LBB41_131:
	s_or_b32 exec_lo, exec_lo, s26
	v_cvt_pk_f16_f32 v5, v57, v58
	v_cvt_pk_f16_f32 v4, v47, v56
	v_cvt_pk_f16_f32 v3, v45, v46
	v_cvt_pk_f16_f32 v2, v43, v44
	v_cvt_pk_f16_f32 v13, v85, v86
	v_cvt_pk_f16_f32 v12, v79, v84
	v_cvt_pk_f16_f32 v11, v77, v78
	v_cvt_pk_f16_f32 v10, v75, v76
	v_cvt_pk_f16_f32 v9, v73, v74
	v_cvt_pk_f16_f32 v8, v63, v72
	v_cvt_pk_f16_f32 v7, v61, v62
	v_cvt_pk_f16_f32 v6, v59, v60
	v_cvt_pk_f16_f32 v17, v93, v0
	v_cvt_pk_f16_f32 v16, v91, v92
	v_cvt_pk_f16_f32 v15, v89, v90
	v_cvt_pk_f16_f32 v14, v87, v88
	s_add_nc_u64 s[2:3], s[36:37], s[48:49]
	s_clause 0x3
	global_store_b128 v113, v[2:5], s[2:3] scale_offset
	global_store_b128 v113, v[6:9], s[2:3] offset:8192 scale_offset
	global_store_b128 v113, v[10:13], s[2:3] offset:16384 scale_offset
	;; [unrolled: 1-line block ×3, first 2 shown]
	s_branch .LBB41_2
.LBB41_132:
	s_clause 0x1
	s_load_b32 s6, s[34:35], 0x24
	s_load_b128 s[0:3], s[34:35], 0x28
	ds_load_u8 v0, v112
	v_dual_mov_b32 v31, v42 :: v_dual_mov_b32 v1, s36
	v_dual_mov_b32 v2, s37 :: v_dual_mov_b32 v3, s38
	;; [unrolled: 1-line block ×4, first 2 shown]
	s_add_nc_u64 s[8:9], s[34:35], 56
	s_get_pc_i64 s[4:5]
	s_add_nc_u64 s[4:5], s[4:5], _ZN2at6native25elementwise_kernel_helperILb1EN12_GLOBAL__N_110CalcIgammaIfEENS0_6memory8policies11unroll_baseILi512ESt5arrayIPcLm3EE23TrivialOffsetCalculatorILi2EjESB_ILi1EjENS5_12LoadWithCastILi2EEENS5_13StoreWithCastILi1EEELi32ELi1EEEEEvT0_T1_@rel64+4
	s_wait_kmcnt 0x0
	s_bfe_u32 s7, s6, 0x80008
	v_dual_mov_b32 v8, s6 :: v_dual_mov_b32 v10, s0
	v_dual_mov_b32 v11, s1 :: v_dual_mov_b32 v12, s2
	;; [unrolled: 1-line block ×3, first 2 shown]
	s_swap_pc_i64 s[30:31], s[4:5]
	s_endpgm
	.section	.rodata,"a",@progbits
	.p2align	6, 0x0
	.amdhsa_kernel _ZN2at6native39vectorized_templated_elementwise_kernelILi8EN12_GLOBAL__N_110CalcIgammaIfEESt5arrayIPcLm3EE23TrivialOffsetCalculatorILi2EjES8_ILi1EjENS0_6memory12LoadWithCastILi2EEENSB_13StoreWithCastILi1EEEN3c104HalfEJSH_fEEEviT0_T1_T2_T3_T4_T5_
		.amdhsa_group_segment_fixed_size 1024
		.amdhsa_private_segment_fixed_size 448
		.amdhsa_kernarg_size 312
		.amdhsa_user_sgpr_count 4
		.amdhsa_user_sgpr_dispatch_ptr 1
		.amdhsa_user_sgpr_queue_ptr 0
		.amdhsa_user_sgpr_kernarg_segment_ptr 1
		.amdhsa_user_sgpr_dispatch_id 0
		.amdhsa_user_sgpr_kernarg_preload_length 0
		.amdhsa_user_sgpr_kernarg_preload_offset 0
		.amdhsa_user_sgpr_private_segment_size 0
		.amdhsa_wavefront_size32 1
		.amdhsa_uses_dynamic_stack 0
		.amdhsa_enable_private_segment 1
		.amdhsa_system_sgpr_workgroup_id_x 1
		.amdhsa_system_sgpr_workgroup_id_y 0
		.amdhsa_system_sgpr_workgroup_id_z 0
		.amdhsa_system_sgpr_workgroup_info 0
		.amdhsa_system_vgpr_workitem_id 2
		.amdhsa_next_free_vgpr 214
		.amdhsa_next_free_sgpr 96
		.amdhsa_named_barrier_count 0
		.amdhsa_reserve_vcc 1
		.amdhsa_float_round_mode_32 0
		.amdhsa_float_round_mode_16_64 0
		.amdhsa_float_denorm_mode_32 3
		.amdhsa_float_denorm_mode_16_64 3
		.amdhsa_fp16_overflow 0
		.amdhsa_memory_ordered 1
		.amdhsa_forward_progress 1
		.amdhsa_inst_pref_size 22
		.amdhsa_round_robin_scheduling 0
		.amdhsa_exception_fp_ieee_invalid_op 0
		.amdhsa_exception_fp_denorm_src 0
		.amdhsa_exception_fp_ieee_div_zero 0
		.amdhsa_exception_fp_ieee_overflow 0
		.amdhsa_exception_fp_ieee_underflow 0
		.amdhsa_exception_fp_ieee_inexact 0
		.amdhsa_exception_int_div_zero 0
	.end_amdhsa_kernel
	.section	.text._ZN2at6native39vectorized_templated_elementwise_kernelILi8EN12_GLOBAL__N_110CalcIgammaIfEESt5arrayIPcLm3EE23TrivialOffsetCalculatorILi2EjES8_ILi1EjENS0_6memory12LoadWithCastILi2EEENSB_13StoreWithCastILi1EEEN3c104HalfEJSH_fEEEviT0_T1_T2_T3_T4_T5_,"axG",@progbits,_ZN2at6native39vectorized_templated_elementwise_kernelILi8EN12_GLOBAL__N_110CalcIgammaIfEESt5arrayIPcLm3EE23TrivialOffsetCalculatorILi2EjES8_ILi1EjENS0_6memory12LoadWithCastILi2EEENSB_13StoreWithCastILi1EEEN3c104HalfEJSH_fEEEviT0_T1_T2_T3_T4_T5_,comdat
.Lfunc_end41:
	.size	_ZN2at6native39vectorized_templated_elementwise_kernelILi8EN12_GLOBAL__N_110CalcIgammaIfEESt5arrayIPcLm3EE23TrivialOffsetCalculatorILi2EjES8_ILi1EjENS0_6memory12LoadWithCastILi2EEENSB_13StoreWithCastILi1EEEN3c104HalfEJSH_fEEEviT0_T1_T2_T3_T4_T5_, .Lfunc_end41-_ZN2at6native39vectorized_templated_elementwise_kernelILi8EN12_GLOBAL__N_110CalcIgammaIfEESt5arrayIPcLm3EE23TrivialOffsetCalculatorILi2EjES8_ILi1EjENS0_6memory12LoadWithCastILi2EEENSB_13StoreWithCastILi1EEEN3c104HalfEJSH_fEEEviT0_T1_T2_T3_T4_T5_
                                        ; -- End function
	.set _ZN2at6native39vectorized_templated_elementwise_kernelILi8EN12_GLOBAL__N_110CalcIgammaIfEESt5arrayIPcLm3EE23TrivialOffsetCalculatorILi2EjES8_ILi1EjENS0_6memory12LoadWithCastILi2EEENSB_13StoreWithCastILi1EEEN3c104HalfEJSH_fEEEviT0_T1_T2_T3_T4_T5_.num_vgpr, max(114, .L_ZN12_GLOBAL__N_111calc_igammaIfEET_S1_S1_.num_vgpr, .L_ZN12_GLOBAL__N_112calc_igammacIfEET_S1_S1_.num_vgpr, .L_ZN2at6native25elementwise_kernel_helperILb1EN12_GLOBAL__N_110CalcIgammaIfEENS0_6memory8policies11unroll_baseILi512ESt5arrayIPcLm3EE23TrivialOffsetCalculatorILi2EjESB_ILi1EjENS5_12LoadWithCastILi2EEENS5_13StoreWithCastILi1EEELi32ELi1EEEEEvT0_T1_.num_vgpr)
	.set _ZN2at6native39vectorized_templated_elementwise_kernelILi8EN12_GLOBAL__N_110CalcIgammaIfEESt5arrayIPcLm3EE23TrivialOffsetCalculatorILi2EjES8_ILi1EjENS0_6memory12LoadWithCastILi2EEENSB_13StoreWithCastILi1EEEN3c104HalfEJSH_fEEEviT0_T1_T2_T3_T4_T5_.num_agpr, max(0, .L_ZN12_GLOBAL__N_111calc_igammaIfEET_S1_S1_.num_agpr, .L_ZN12_GLOBAL__N_112calc_igammacIfEET_S1_S1_.num_agpr, .L_ZN2at6native25elementwise_kernel_helperILb1EN12_GLOBAL__N_110CalcIgammaIfEENS0_6memory8policies11unroll_baseILi512ESt5arrayIPcLm3EE23TrivialOffsetCalculatorILi2EjESB_ILi1EjENS5_12LoadWithCastILi2EEENS5_13StoreWithCastILi1EEELi32ELi1EEEEEvT0_T1_.num_agpr)
	.set _ZN2at6native39vectorized_templated_elementwise_kernelILi8EN12_GLOBAL__N_110CalcIgammaIfEESt5arrayIPcLm3EE23TrivialOffsetCalculatorILi2EjES8_ILi1EjENS0_6memory12LoadWithCastILi2EEENSB_13StoreWithCastILi1EEEN3c104HalfEJSH_fEEEviT0_T1_T2_T3_T4_T5_.numbered_sgpr, max(57, .L_ZN12_GLOBAL__N_111calc_igammaIfEET_S1_S1_.numbered_sgpr, .L_ZN12_GLOBAL__N_112calc_igammacIfEET_S1_S1_.numbered_sgpr, .L_ZN2at6native25elementwise_kernel_helperILb1EN12_GLOBAL__N_110CalcIgammaIfEENS0_6memory8policies11unroll_baseILi512ESt5arrayIPcLm3EE23TrivialOffsetCalculatorILi2EjESB_ILi1EjENS5_12LoadWithCastILi2EEENS5_13StoreWithCastILi1EEELi32ELi1EEEEEvT0_T1_.numbered_sgpr)
	.set _ZN2at6native39vectorized_templated_elementwise_kernelILi8EN12_GLOBAL__N_110CalcIgammaIfEESt5arrayIPcLm3EE23TrivialOffsetCalculatorILi2EjES8_ILi1EjENS0_6memory12LoadWithCastILi2EEENSB_13StoreWithCastILi1EEEN3c104HalfEJSH_fEEEviT0_T1_T2_T3_T4_T5_.num_named_barrier, max(0, .L_ZN12_GLOBAL__N_111calc_igammaIfEET_S1_S1_.num_named_barrier, .L_ZN12_GLOBAL__N_112calc_igammacIfEET_S1_S1_.num_named_barrier, .L_ZN2at6native25elementwise_kernel_helperILb1EN12_GLOBAL__N_110CalcIgammaIfEENS0_6memory8policies11unroll_baseILi512ESt5arrayIPcLm3EE23TrivialOffsetCalculatorILi2EjESB_ILi1EjENS5_12LoadWithCastILi2EEENS5_13StoreWithCastILi1EEELi32ELi1EEEEEvT0_T1_.num_named_barrier)
	.set _ZN2at6native39vectorized_templated_elementwise_kernelILi8EN12_GLOBAL__N_110CalcIgammaIfEESt5arrayIPcLm3EE23TrivialOffsetCalculatorILi2EjES8_ILi1EjENS0_6memory12LoadWithCastILi2EEENSB_13StoreWithCastILi1EEEN3c104HalfEJSH_fEEEviT0_T1_T2_T3_T4_T5_.private_seg_size, 0+max(.L_ZN12_GLOBAL__N_111calc_igammaIfEET_S1_S1_.private_seg_size, .L_ZN12_GLOBAL__N_112calc_igammacIfEET_S1_S1_.private_seg_size, .L_ZN2at6native25elementwise_kernel_helperILb1EN12_GLOBAL__N_110CalcIgammaIfEENS0_6memory8policies11unroll_baseILi512ESt5arrayIPcLm3EE23TrivialOffsetCalculatorILi2EjESB_ILi1EjENS5_12LoadWithCastILi2EEENS5_13StoreWithCastILi1EEELi32ELi1EEEEEvT0_T1_.private_seg_size)
	.set _ZN2at6native39vectorized_templated_elementwise_kernelILi8EN12_GLOBAL__N_110CalcIgammaIfEESt5arrayIPcLm3EE23TrivialOffsetCalculatorILi2EjES8_ILi1EjENS0_6memory12LoadWithCastILi2EEENSB_13StoreWithCastILi1EEEN3c104HalfEJSH_fEEEviT0_T1_T2_T3_T4_T5_.uses_vcc, or(1, .L_ZN12_GLOBAL__N_111calc_igammaIfEET_S1_S1_.uses_vcc, .L_ZN12_GLOBAL__N_112calc_igammacIfEET_S1_S1_.uses_vcc, .L_ZN2at6native25elementwise_kernel_helperILb1EN12_GLOBAL__N_110CalcIgammaIfEENS0_6memory8policies11unroll_baseILi512ESt5arrayIPcLm3EE23TrivialOffsetCalculatorILi2EjESB_ILi1EjENS5_12LoadWithCastILi2EEENS5_13StoreWithCastILi1EEELi32ELi1EEEEEvT0_T1_.uses_vcc)
	.set _ZN2at6native39vectorized_templated_elementwise_kernelILi8EN12_GLOBAL__N_110CalcIgammaIfEESt5arrayIPcLm3EE23TrivialOffsetCalculatorILi2EjES8_ILi1EjENS0_6memory12LoadWithCastILi2EEENSB_13StoreWithCastILi1EEEN3c104HalfEJSH_fEEEviT0_T1_T2_T3_T4_T5_.uses_flat_scratch, or(0, .L_ZN12_GLOBAL__N_111calc_igammaIfEET_S1_S1_.uses_flat_scratch, .L_ZN12_GLOBAL__N_112calc_igammacIfEET_S1_S1_.uses_flat_scratch, .L_ZN2at6native25elementwise_kernel_helperILb1EN12_GLOBAL__N_110CalcIgammaIfEENS0_6memory8policies11unroll_baseILi512ESt5arrayIPcLm3EE23TrivialOffsetCalculatorILi2EjESB_ILi1EjENS5_12LoadWithCastILi2EEENS5_13StoreWithCastILi1EEELi32ELi1EEEEEvT0_T1_.uses_flat_scratch)
	.set _ZN2at6native39vectorized_templated_elementwise_kernelILi8EN12_GLOBAL__N_110CalcIgammaIfEESt5arrayIPcLm3EE23TrivialOffsetCalculatorILi2EjES8_ILi1EjENS0_6memory12LoadWithCastILi2EEENSB_13StoreWithCastILi1EEEN3c104HalfEJSH_fEEEviT0_T1_T2_T3_T4_T5_.has_dyn_sized_stack, or(0, .L_ZN12_GLOBAL__N_111calc_igammaIfEET_S1_S1_.has_dyn_sized_stack, .L_ZN12_GLOBAL__N_112calc_igammacIfEET_S1_S1_.has_dyn_sized_stack, .L_ZN2at6native25elementwise_kernel_helperILb1EN12_GLOBAL__N_110CalcIgammaIfEENS0_6memory8policies11unroll_baseILi512ESt5arrayIPcLm3EE23TrivialOffsetCalculatorILi2EjESB_ILi1EjENS5_12LoadWithCastILi2EEENS5_13StoreWithCastILi1EEELi32ELi1EEEEEvT0_T1_.has_dyn_sized_stack)
	.set _ZN2at6native39vectorized_templated_elementwise_kernelILi8EN12_GLOBAL__N_110CalcIgammaIfEESt5arrayIPcLm3EE23TrivialOffsetCalculatorILi2EjES8_ILi1EjENS0_6memory12LoadWithCastILi2EEENSB_13StoreWithCastILi1EEEN3c104HalfEJSH_fEEEviT0_T1_T2_T3_T4_T5_.has_recursion, or(0, .L_ZN12_GLOBAL__N_111calc_igammaIfEET_S1_S1_.has_recursion, .L_ZN12_GLOBAL__N_112calc_igammacIfEET_S1_S1_.has_recursion, .L_ZN2at6native25elementwise_kernel_helperILb1EN12_GLOBAL__N_110CalcIgammaIfEENS0_6memory8policies11unroll_baseILi512ESt5arrayIPcLm3EE23TrivialOffsetCalculatorILi2EjESB_ILi1EjENS5_12LoadWithCastILi2EEENS5_13StoreWithCastILi1EEELi32ELi1EEEEEvT0_T1_.has_recursion)
	.set _ZN2at6native39vectorized_templated_elementwise_kernelILi8EN12_GLOBAL__N_110CalcIgammaIfEESt5arrayIPcLm3EE23TrivialOffsetCalculatorILi2EjES8_ILi1EjENS0_6memory12LoadWithCastILi2EEENSB_13StoreWithCastILi1EEEN3c104HalfEJSH_fEEEviT0_T1_T2_T3_T4_T5_.has_indirect_call, or(0, .L_ZN12_GLOBAL__N_111calc_igammaIfEET_S1_S1_.has_indirect_call, .L_ZN12_GLOBAL__N_112calc_igammacIfEET_S1_S1_.has_indirect_call, .L_ZN2at6native25elementwise_kernel_helperILb1EN12_GLOBAL__N_110CalcIgammaIfEENS0_6memory8policies11unroll_baseILi512ESt5arrayIPcLm3EE23TrivialOffsetCalculatorILi2EjESB_ILi1EjENS5_12LoadWithCastILi2EEENS5_13StoreWithCastILi1EEELi32ELi1EEEEEvT0_T1_.has_indirect_call)
	.section	.AMDGPU.csdata,"",@progbits
; Kernel info:
; codeLenInByte = 2748
; TotalNumSgprs: 98
; NumVgprs: 214
; ScratchSize: 448
; MemoryBound: 0
; FloatMode: 240
; IeeeMode: 1
; LDSByteSize: 1024 bytes/workgroup (compile time only)
; SGPRBlocks: 0
; VGPRBlocks: 13
; NumSGPRsForWavesPerEU: 98
; NumVGPRsForWavesPerEU: 214
; NamedBarCnt: 0
; Occupancy: 4
; WaveLimiterHint : 0
; COMPUTE_PGM_RSRC2:SCRATCH_EN: 1
; COMPUTE_PGM_RSRC2:USER_SGPR: 4
; COMPUTE_PGM_RSRC2:TRAP_HANDLER: 0
; COMPUTE_PGM_RSRC2:TGID_X_EN: 1
; COMPUTE_PGM_RSRC2:TGID_Y_EN: 0
; COMPUTE_PGM_RSRC2:TGID_Z_EN: 0
; COMPUTE_PGM_RSRC2:TIDIG_COMP_CNT: 2
	.section	.text._ZN2at6native39vectorized_templated_elementwise_kernelILi4EN12_GLOBAL__N_110CalcIgammaIfEESt5arrayIPcLm3EE23TrivialOffsetCalculatorILi2EjES8_ILi1EjENS0_6memory12LoadWithCastILi2EEENSB_13StoreWithCastILi1EEEN3c104HalfEJSH_fEEEviT0_T1_T2_T3_T4_T5_,"axG",@progbits,_ZN2at6native39vectorized_templated_elementwise_kernelILi4EN12_GLOBAL__N_110CalcIgammaIfEESt5arrayIPcLm3EE23TrivialOffsetCalculatorILi2EjES8_ILi1EjENS0_6memory12LoadWithCastILi2EEENSB_13StoreWithCastILi1EEEN3c104HalfEJSH_fEEEviT0_T1_T2_T3_T4_T5_,comdat
	.globl	_ZN2at6native39vectorized_templated_elementwise_kernelILi4EN12_GLOBAL__N_110CalcIgammaIfEESt5arrayIPcLm3EE23TrivialOffsetCalculatorILi2EjES8_ILi1EjENS0_6memory12LoadWithCastILi2EEENSB_13StoreWithCastILi1EEEN3c104HalfEJSH_fEEEviT0_T1_T2_T3_T4_T5_ ; -- Begin function _ZN2at6native39vectorized_templated_elementwise_kernelILi4EN12_GLOBAL__N_110CalcIgammaIfEESt5arrayIPcLm3EE23TrivialOffsetCalculatorILi2EjES8_ILi1EjENS0_6memory12LoadWithCastILi2EEENSB_13StoreWithCastILi1EEEN3c104HalfEJSH_fEEEviT0_T1_T2_T3_T4_T5_
	.p2align	8
	.type	_ZN2at6native39vectorized_templated_elementwise_kernelILi4EN12_GLOBAL__N_110CalcIgammaIfEESt5arrayIPcLm3EE23TrivialOffsetCalculatorILi2EjES8_ILi1EjENS0_6memory12LoadWithCastILi2EEENSB_13StoreWithCastILi1EEEN3c104HalfEJSH_fEEEviT0_T1_T2_T3_T4_T5_,@function
_ZN2at6native39vectorized_templated_elementwise_kernelILi4EN12_GLOBAL__N_110CalcIgammaIfEESt5arrayIPcLm3EE23TrivialOffsetCalculatorILi2EjES8_ILi1EjENS0_6memory12LoadWithCastILi2EEENSB_13StoreWithCastILi1EEEN3c104HalfEJSH_fEEEviT0_T1_T2_T3_T4_T5_: ; @_ZN2at6native39vectorized_templated_elementwise_kernelILi4EN12_GLOBAL__N_110CalcIgammaIfEESt5arrayIPcLm3EE23TrivialOffsetCalculatorILi2EjES8_ILi1EjENS0_6memory12LoadWithCastILi2EEENSB_13StoreWithCastILi1EEEN3c104HalfEJSH_fEEEviT0_T1_T2_T3_T4_T5_
; %bb.0:
	s_mov_b64 s[34:35], s[2:3]
	s_load_b64 s[2:3], s[0:1], 0x4
	s_clause 0x2
	s_load_b64 s[4:5], s[34:35], 0x0
	s_load_b64 s[46:47], s[34:35], 0x18
	s_load_b32 s6, s[34:35], 0x38
	s_wait_xcnt 0x0
	s_bfe_u32 s1, ttmp6, 0x4000c
	s_and_b32 s0, ttmp6, 15
	s_add_co_i32 s1, s1, 1
	s_load_b128 s[36:39], s[34:35], 0x8
	s_mul_i32 s1, ttmp9, s1
	s_getreg_b32 s7, hwreg(HW_REG_IB_STS2, 6, 4)
	s_add_co_i32 s0, s0, s1
	s_mov_b32 s32, 0
	s_wait_kmcnt 0x0
	s_lshr_b32 s2, s2, 16
	s_and_b32 s1, s5, 1
	v_mov_b32_e32 v42, v0
	s_mul_i32 s2, s2, s3
	s_cmp_eq_u32 s7, 0
	s_cselect_b32 s0, ttmp9, s0
	s_delay_alu instid0(VALU_DEP_1) | instskip(SKIP_3) | instid1(VALU_DEP_3)
	v_and_b32_e32 v113, 0x3ff, v42
	v_bfe_u32 v0, v42, 10, 10
	v_bfe_u32 v2, v42, 20, 10
	s_not_b32 s0, s0
	v_mul_lo_u32 v1, s2, v113
	s_delay_alu instid0(VALU_DEP_3) | instskip(SKIP_1) | instid1(SALU_CYCLE_1)
	v_mul_u32_u24_e32 v0, s3, v0
	s_add_co_i32 s6, s6, s0
	s_lshl_b32 s0, s6, 14
	s_delay_alu instid0(SALU_CYCLE_1) | instskip(NEXT) | instid1(SALU_CYCLE_1)
	s_sub_co_i32 s54, s4, s0
	s_cmp_gt_i32 s54, 0x3fff
	s_delay_alu instid0(VALU_DEP_2)
	v_add3_u32 v112, v1, v0, v2
	v_mov_b32_e32 v0, s1
	s_mov_b32 s1, -1
	ds_store_b8 v112, v0
	s_cbranch_scc1 .LBB42_3
; %bb.1:
	s_and_b32 vcc_lo, exec_lo, s1
	s_cbranch_vccnz .LBB42_132
.LBB42_2:
	s_endpgm
.LBB42_3:
	s_ashr_i32 s1, s0, 31
	s_get_pc_i64 s[50:51]
	s_add_nc_u64 s[50:51], s[50:51], _ZN12_GLOBAL__N_111calc_igammaIfEET_S1_S1_@rel64+4
	s_lshl_b64 s[48:49], s[0:1], 1
	s_lshl_b64 s[0:1], s[0:1], 2
	s_add_nc_u64 s[2:3], s[38:39], s[48:49]
	s_add_nc_u64 s[0:1], s[46:47], s[0:1]
	s_clause 0xf
	global_load_b64 v[110:111], v113, s[2:3] scale_offset
	global_load_b64 v[108:109], v113, s[2:3] offset:4096 scale_offset
	global_load_b64 v[106:107], v113, s[2:3] offset:8192 scale_offset
	global_load_b64 v[104:105], v113, s[2:3] offset:12288 scale_offset
	global_load_b128 v[44:47], v113, s[0:1] scale_offset
	global_load_b64 v[102:103], v113, s[2:3] offset:16384 scale_offset
	global_load_b64 v[100:101], v113, s[2:3] offset:20480 scale_offset
	;; [unrolled: 1-line block ×4, first 2 shown]
	global_load_b128 v[56:59], v113, s[0:1] offset:8192 scale_offset
	global_load_b128 v[60:63], v113, s[0:1] offset:16384 scale_offset
	;; [unrolled: 1-line block ×6, first 2 shown]
	; meta instruction
	global_load_b128 v[92:95], v113, s[0:1] offset:57344 scale_offset
	ds_load_u8 v0, v112
                                        ; implicit-def: $vgpr43
	s_wait_dscnt 0x0
	v_and_b32_e32 v2, 1, v0
	s_delay_alu instid0(VALU_DEP_1)
	v_cmp_eq_u32_e32 vcc_lo, 1, v2
	ds_store_b8 v112, v2 offset:512
	s_xor_b32 s55, vcc_lo, -1
	s_wait_loadcnt 0xf
	v_cvt_f32_f16_e32 v0, v110
	s_wait_loadcnt 0xb
	v_cvt_f16_f32_e32 v1, v44
	s_delay_alu instid0(VALU_DEP_1) | instskip(SKIP_2) | instid1(SALU_CYCLE_1)
	v_cvt_f32_f16_e32 v1, v1
	s_wait_xcnt 0x0
	s_and_saveexec_b32 s0, s55
	s_xor_b32 s52, exec_lo, s0
	s_cbranch_execz .LBB42_5
; %bb.4:
	s_swap_pc_i64 s[30:31], s[50:51]
	v_mov_b32_e32 v43, v0
                                        ; implicit-def: $vgpr0
                                        ; implicit-def: $vgpr1
.LBB42_5:
	s_or_saveexec_b32 s26, s52
	s_get_pc_i64 s[52:53]
	s_add_nc_u64 s[52:53], s[52:53], _ZN12_GLOBAL__N_112calc_igammacIfEET_S1_S1_@rel64+4
	s_xor_b32 exec_lo, exec_lo, s26
	s_cbranch_execz .LBB42_7
; %bb.6:
	s_swap_pc_i64 s[30:31], s[52:53]
	v_mov_b32_e32 v43, v0
.LBB42_7:
	s_or_b32 exec_lo, exec_lo, s26
	v_lshrrev_b32_e32 v0, 16, v110
	v_cvt_f16_f32_e32 v1, v45
                                        ; implicit-def: $vgpr44
	s_delay_alu instid0(VALU_DEP_2) | instskip(NEXT) | instid1(VALU_DEP_2)
	v_cvt_f32_f16_e32 v0, v0
	v_cvt_f32_f16_e32 v1, v1
	s_and_saveexec_b32 s0, s55
	s_delay_alu instid0(SALU_CYCLE_1)
	s_xor_b32 s56, exec_lo, s0
	s_cbranch_execz .LBB42_9
; %bb.8:
	s_swap_pc_i64 s[30:31], s[50:51]
	v_mov_b32_e32 v44, v0
                                        ; implicit-def: $vgpr0
                                        ; implicit-def: $vgpr1
.LBB42_9:
	s_and_not1_saveexec_b32 s26, s56
	s_cbranch_execz .LBB42_11
; %bb.10:
	s_swap_pc_i64 s[30:31], s[52:53]
	v_mov_b32_e32 v44, v0
.LBB42_11:
	s_or_b32 exec_lo, exec_lo, s26
	v_cvt_f16_f32_e32 v1, v46
	v_cvt_f32_f16_e32 v0, v111
                                        ; implicit-def: $vgpr45
	s_delay_alu instid0(VALU_DEP_2) | instskip(SKIP_1) | instid1(SALU_CYCLE_1)
	v_cvt_f32_f16_e32 v1, v1
	s_and_saveexec_b32 s0, s55
	s_xor_b32 s56, exec_lo, s0
	s_cbranch_execz .LBB42_13
; %bb.12:
	s_swap_pc_i64 s[30:31], s[50:51]
	v_mov_b32_e32 v45, v0
                                        ; implicit-def: $vgpr0
                                        ; implicit-def: $vgpr1
.LBB42_13:
	s_and_not1_saveexec_b32 s26, s56
	s_cbranch_execz .LBB42_15
; %bb.14:
	s_swap_pc_i64 s[30:31], s[52:53]
	v_mov_b32_e32 v45, v0
.LBB42_15:
	s_or_b32 exec_lo, exec_lo, s26
	v_lshrrev_b32_e32 v0, 16, v111
	v_cvt_f16_f32_e32 v1, v47
                                        ; implicit-def: $vgpr46
	s_delay_alu instid0(VALU_DEP_2) | instskip(NEXT) | instid1(VALU_DEP_2)
	v_cvt_f32_f16_e32 v0, v0
	v_cvt_f32_f16_e32 v1, v1
	s_and_saveexec_b32 s0, s55
	s_delay_alu instid0(SALU_CYCLE_1)
	s_xor_b32 s56, exec_lo, s0
	s_cbranch_execz .LBB42_17
; %bb.16:
	s_swap_pc_i64 s[30:31], s[50:51]
	v_mov_b32_e32 v46, v0
                                        ; implicit-def: $vgpr0
                                        ; implicit-def: $vgpr1
.LBB42_17:
	s_and_not1_saveexec_b32 s26, s56
	s_cbranch_execz .LBB42_19
; %bb.18:
	s_swap_pc_i64 s[30:31], s[52:53]
	v_mov_b32_e32 v46, v0
.LBB42_19:
	s_or_b32 exec_lo, exec_lo, s26
	s_wait_loadcnt 0x6
	v_cvt_f16_f32_e32 v1, v56
	v_cvt_f32_f16_e32 v0, v108
                                        ; implicit-def: $vgpr47
	s_delay_alu instid0(VALU_DEP_2) | instskip(SKIP_1) | instid1(SALU_CYCLE_1)
	v_cvt_f32_f16_e32 v1, v1
	s_and_saveexec_b32 s0, s55
	s_xor_b32 s56, exec_lo, s0
	s_cbranch_execz .LBB42_21
; %bb.20:
	s_swap_pc_i64 s[30:31], s[50:51]
	v_mov_b32_e32 v47, v0
                                        ; implicit-def: $vgpr0
                                        ; implicit-def: $vgpr1
.LBB42_21:
	s_and_not1_saveexec_b32 s26, s56
	s_cbranch_execz .LBB42_23
; %bb.22:
	s_swap_pc_i64 s[30:31], s[52:53]
	v_mov_b32_e32 v47, v0
.LBB42_23:
	s_or_b32 exec_lo, exec_lo, s26
	v_lshrrev_b32_e32 v0, 16, v108
	v_cvt_f16_f32_e32 v1, v57
                                        ; implicit-def: $vgpr56
	s_delay_alu instid0(VALU_DEP_2) | instskip(NEXT) | instid1(VALU_DEP_2)
	v_cvt_f32_f16_e32 v0, v0
	v_cvt_f32_f16_e32 v1, v1
	s_and_saveexec_b32 s0, s55
	s_delay_alu instid0(SALU_CYCLE_1)
	s_xor_b32 s56, exec_lo, s0
	s_cbranch_execz .LBB42_25
; %bb.24:
	s_swap_pc_i64 s[30:31], s[50:51]
	v_mov_b32_e32 v56, v0
                                        ; implicit-def: $vgpr0
                                        ; implicit-def: $vgpr1
.LBB42_25:
	s_and_not1_saveexec_b32 s26, s56
	s_cbranch_execz .LBB42_27
; %bb.26:
	s_swap_pc_i64 s[30:31], s[52:53]
	v_mov_b32_e32 v56, v0
.LBB42_27:
	s_or_b32 exec_lo, exec_lo, s26
	v_cvt_f16_f32_e32 v1, v58
	v_cvt_f32_f16_e32 v0, v109
                                        ; implicit-def: $vgpr57
	s_delay_alu instid0(VALU_DEP_2) | instskip(SKIP_1) | instid1(SALU_CYCLE_1)
	v_cvt_f32_f16_e32 v1, v1
	s_and_saveexec_b32 s0, s55
	s_xor_b32 s56, exec_lo, s0
	s_cbranch_execz .LBB42_29
; %bb.28:
	s_swap_pc_i64 s[30:31], s[50:51]
	v_mov_b32_e32 v57, v0
                                        ; implicit-def: $vgpr0
                                        ; implicit-def: $vgpr1
.LBB42_29:
	s_and_not1_saveexec_b32 s26, s56
	s_cbranch_execz .LBB42_31
; %bb.30:
	s_swap_pc_i64 s[30:31], s[52:53]
	v_mov_b32_e32 v57, v0
.LBB42_31:
	s_or_b32 exec_lo, exec_lo, s26
	v_lshrrev_b32_e32 v0, 16, v109
	v_cvt_f16_f32_e32 v1, v59
                                        ; implicit-def: $vgpr58
	s_delay_alu instid0(VALU_DEP_2) | instskip(NEXT) | instid1(VALU_DEP_2)
	v_cvt_f32_f16_e32 v0, v0
	v_cvt_f32_f16_e32 v1, v1
	s_and_saveexec_b32 s0, s55
	s_delay_alu instid0(SALU_CYCLE_1)
	s_xor_b32 s56, exec_lo, s0
	s_cbranch_execz .LBB42_33
; %bb.32:
	s_swap_pc_i64 s[30:31], s[50:51]
	v_mov_b32_e32 v58, v0
                                        ; implicit-def: $vgpr0
                                        ; implicit-def: $vgpr1
.LBB42_33:
	s_and_not1_saveexec_b32 s26, s56
	s_cbranch_execz .LBB42_35
; %bb.34:
	s_swap_pc_i64 s[30:31], s[52:53]
	v_mov_b32_e32 v58, v0
.LBB42_35:
	s_or_b32 exec_lo, exec_lo, s26
	s_wait_loadcnt 0x5
	v_cvt_f16_f32_e32 v1, v60
	v_cvt_f32_f16_e32 v0, v106
                                        ; implicit-def: $vgpr59
	s_delay_alu instid0(VALU_DEP_2) | instskip(SKIP_1) | instid1(SALU_CYCLE_1)
	v_cvt_f32_f16_e32 v1, v1
	s_and_saveexec_b32 s0, s55
	s_xor_b32 s56, exec_lo, s0
	s_cbranch_execz .LBB42_37
; %bb.36:
	s_swap_pc_i64 s[30:31], s[50:51]
	v_mov_b32_e32 v59, v0
                                        ; implicit-def: $vgpr0
                                        ; implicit-def: $vgpr1
.LBB42_37:
	s_and_not1_saveexec_b32 s26, s56
	s_cbranch_execz .LBB42_39
; %bb.38:
	s_swap_pc_i64 s[30:31], s[52:53]
	v_mov_b32_e32 v59, v0
.LBB42_39:
	s_or_b32 exec_lo, exec_lo, s26
	v_lshrrev_b32_e32 v0, 16, v106
	v_cvt_f16_f32_e32 v1, v61
                                        ; implicit-def: $vgpr60
	s_delay_alu instid0(VALU_DEP_2) | instskip(NEXT) | instid1(VALU_DEP_2)
	v_cvt_f32_f16_e32 v0, v0
	v_cvt_f32_f16_e32 v1, v1
	s_and_saveexec_b32 s0, s55
	s_delay_alu instid0(SALU_CYCLE_1)
	s_xor_b32 s56, exec_lo, s0
	s_cbranch_execz .LBB42_41
; %bb.40:
	s_swap_pc_i64 s[30:31], s[50:51]
	v_mov_b32_e32 v60, v0
                                        ; implicit-def: $vgpr0
                                        ; implicit-def: $vgpr1
.LBB42_41:
	s_and_not1_saveexec_b32 s26, s56
	s_cbranch_execz .LBB42_43
; %bb.42:
	s_swap_pc_i64 s[30:31], s[52:53]
	v_mov_b32_e32 v60, v0
.LBB42_43:
	s_or_b32 exec_lo, exec_lo, s26
	v_cvt_f16_f32_e32 v1, v62
	v_cvt_f32_f16_e32 v0, v107
                                        ; implicit-def: $vgpr61
	s_delay_alu instid0(VALU_DEP_2) | instskip(SKIP_1) | instid1(SALU_CYCLE_1)
	v_cvt_f32_f16_e32 v1, v1
	s_and_saveexec_b32 s0, s55
	s_xor_b32 s56, exec_lo, s0
	s_cbranch_execz .LBB42_45
; %bb.44:
	s_swap_pc_i64 s[30:31], s[50:51]
	v_mov_b32_e32 v61, v0
                                        ; implicit-def: $vgpr0
                                        ; implicit-def: $vgpr1
.LBB42_45:
	s_and_not1_saveexec_b32 s26, s56
	s_cbranch_execz .LBB42_47
; %bb.46:
	s_swap_pc_i64 s[30:31], s[52:53]
	v_mov_b32_e32 v61, v0
.LBB42_47:
	s_or_b32 exec_lo, exec_lo, s26
	v_lshrrev_b32_e32 v0, 16, v107
	v_cvt_f16_f32_e32 v1, v63
                                        ; implicit-def: $vgpr62
	s_delay_alu instid0(VALU_DEP_2) | instskip(NEXT) | instid1(VALU_DEP_2)
	v_cvt_f32_f16_e32 v0, v0
	v_cvt_f32_f16_e32 v1, v1
	s_and_saveexec_b32 s0, s55
	s_delay_alu instid0(SALU_CYCLE_1)
	s_xor_b32 s56, exec_lo, s0
	s_cbranch_execz .LBB42_49
; %bb.48:
	s_swap_pc_i64 s[30:31], s[50:51]
	v_mov_b32_e32 v62, v0
                                        ; implicit-def: $vgpr0
                                        ; implicit-def: $vgpr1
.LBB42_49:
	s_and_not1_saveexec_b32 s26, s56
	s_cbranch_execz .LBB42_51
; %bb.50:
	s_swap_pc_i64 s[30:31], s[52:53]
	v_mov_b32_e32 v62, v0
.LBB42_51:
	s_or_b32 exec_lo, exec_lo, s26
	s_wait_loadcnt 0x4
	v_cvt_f16_f32_e32 v1, v72
	v_cvt_f32_f16_e32 v0, v104
                                        ; implicit-def: $vgpr63
	s_delay_alu instid0(VALU_DEP_2) | instskip(SKIP_1) | instid1(SALU_CYCLE_1)
	v_cvt_f32_f16_e32 v1, v1
	s_and_saveexec_b32 s0, s55
	s_xor_b32 s56, exec_lo, s0
	s_cbranch_execz .LBB42_53
; %bb.52:
	s_swap_pc_i64 s[30:31], s[50:51]
	v_mov_b32_e32 v63, v0
                                        ; implicit-def: $vgpr0
                                        ; implicit-def: $vgpr1
.LBB42_53:
	s_and_not1_saveexec_b32 s26, s56
	s_cbranch_execz .LBB42_55
; %bb.54:
	s_swap_pc_i64 s[30:31], s[52:53]
	v_mov_b32_e32 v63, v0
.LBB42_55:
	s_or_b32 exec_lo, exec_lo, s26
	v_lshrrev_b32_e32 v0, 16, v104
	v_cvt_f16_f32_e32 v1, v73
                                        ; implicit-def: $vgpr72
	s_delay_alu instid0(VALU_DEP_2) | instskip(NEXT) | instid1(VALU_DEP_2)
	v_cvt_f32_f16_e32 v0, v0
	v_cvt_f32_f16_e32 v1, v1
	s_and_saveexec_b32 s0, s55
	s_delay_alu instid0(SALU_CYCLE_1)
	s_xor_b32 s56, exec_lo, s0
	s_cbranch_execz .LBB42_57
; %bb.56:
	s_swap_pc_i64 s[30:31], s[50:51]
	v_mov_b32_e32 v72, v0
                                        ; implicit-def: $vgpr0
                                        ; implicit-def: $vgpr1
.LBB42_57:
	s_and_not1_saveexec_b32 s26, s56
	s_cbranch_execz .LBB42_59
; %bb.58:
	s_swap_pc_i64 s[30:31], s[52:53]
	v_mov_b32_e32 v72, v0
.LBB42_59:
	s_or_b32 exec_lo, exec_lo, s26
	v_cvt_f16_f32_e32 v1, v74
	v_cvt_f32_f16_e32 v0, v105
                                        ; implicit-def: $vgpr73
	s_delay_alu instid0(VALU_DEP_2) | instskip(SKIP_1) | instid1(SALU_CYCLE_1)
	v_cvt_f32_f16_e32 v1, v1
	s_and_saveexec_b32 s0, s55
	s_xor_b32 s56, exec_lo, s0
	s_cbranch_execz .LBB42_61
; %bb.60:
	s_swap_pc_i64 s[30:31], s[50:51]
	v_mov_b32_e32 v73, v0
                                        ; implicit-def: $vgpr0
                                        ; implicit-def: $vgpr1
.LBB42_61:
	s_and_not1_saveexec_b32 s26, s56
	s_cbranch_execz .LBB42_63
; %bb.62:
	s_swap_pc_i64 s[30:31], s[52:53]
	v_mov_b32_e32 v73, v0
.LBB42_63:
	s_or_b32 exec_lo, exec_lo, s26
	v_lshrrev_b32_e32 v0, 16, v105
	v_cvt_f16_f32_e32 v1, v75
                                        ; implicit-def: $vgpr74
	s_delay_alu instid0(VALU_DEP_2) | instskip(NEXT) | instid1(VALU_DEP_2)
	v_cvt_f32_f16_e32 v0, v0
	v_cvt_f32_f16_e32 v1, v1
	s_and_saveexec_b32 s0, s55
	s_delay_alu instid0(SALU_CYCLE_1)
	s_xor_b32 s56, exec_lo, s0
	s_cbranch_execz .LBB42_65
; %bb.64:
	s_swap_pc_i64 s[30:31], s[50:51]
	v_mov_b32_e32 v74, v0
                                        ; implicit-def: $vgpr0
                                        ; implicit-def: $vgpr1
.LBB42_65:
	s_and_not1_saveexec_b32 s26, s56
	s_cbranch_execz .LBB42_67
; %bb.66:
	s_swap_pc_i64 s[30:31], s[52:53]
	v_mov_b32_e32 v74, v0
.LBB42_67:
	s_or_b32 exec_lo, exec_lo, s26
	s_wait_loadcnt 0x3
	v_cvt_f16_f32_e32 v1, v76
	v_cvt_f32_f16_e32 v0, v102
                                        ; implicit-def: $vgpr75
	s_delay_alu instid0(VALU_DEP_2) | instskip(SKIP_1) | instid1(SALU_CYCLE_1)
	v_cvt_f32_f16_e32 v1, v1
	s_and_saveexec_b32 s0, s55
	s_xor_b32 s56, exec_lo, s0
	s_cbranch_execz .LBB42_69
; %bb.68:
	s_swap_pc_i64 s[30:31], s[50:51]
	v_mov_b32_e32 v75, v0
                                        ; implicit-def: $vgpr0
                                        ; implicit-def: $vgpr1
.LBB42_69:
	s_and_not1_saveexec_b32 s26, s56
	s_cbranch_execz .LBB42_71
; %bb.70:
	s_swap_pc_i64 s[30:31], s[52:53]
	v_mov_b32_e32 v75, v0
.LBB42_71:
	s_or_b32 exec_lo, exec_lo, s26
	v_lshrrev_b32_e32 v0, 16, v102
	v_cvt_f16_f32_e32 v1, v77
                                        ; implicit-def: $vgpr76
	s_delay_alu instid0(VALU_DEP_2) | instskip(NEXT) | instid1(VALU_DEP_2)
	v_cvt_f32_f16_e32 v0, v0
	v_cvt_f32_f16_e32 v1, v1
	s_and_saveexec_b32 s0, s55
	s_delay_alu instid0(SALU_CYCLE_1)
	s_xor_b32 s56, exec_lo, s0
	s_cbranch_execz .LBB42_73
; %bb.72:
	s_swap_pc_i64 s[30:31], s[50:51]
	v_mov_b32_e32 v76, v0
                                        ; implicit-def: $vgpr0
                                        ; implicit-def: $vgpr1
.LBB42_73:
	s_and_not1_saveexec_b32 s26, s56
	s_cbranch_execz .LBB42_75
; %bb.74:
	s_swap_pc_i64 s[30:31], s[52:53]
	v_mov_b32_e32 v76, v0
.LBB42_75:
	s_or_b32 exec_lo, exec_lo, s26
	v_cvt_f16_f32_e32 v1, v78
	v_cvt_f32_f16_e32 v0, v103
                                        ; implicit-def: $vgpr77
	s_delay_alu instid0(VALU_DEP_2) | instskip(SKIP_1) | instid1(SALU_CYCLE_1)
	v_cvt_f32_f16_e32 v1, v1
	s_and_saveexec_b32 s0, s55
	s_xor_b32 s56, exec_lo, s0
	s_cbranch_execz .LBB42_77
; %bb.76:
	s_swap_pc_i64 s[30:31], s[50:51]
	v_mov_b32_e32 v77, v0
                                        ; implicit-def: $vgpr0
                                        ; implicit-def: $vgpr1
.LBB42_77:
	s_and_not1_saveexec_b32 s26, s56
	s_cbranch_execz .LBB42_79
; %bb.78:
	s_swap_pc_i64 s[30:31], s[52:53]
	v_mov_b32_e32 v77, v0
.LBB42_79:
	s_or_b32 exec_lo, exec_lo, s26
	v_lshrrev_b32_e32 v0, 16, v103
	v_cvt_f16_f32_e32 v1, v79
                                        ; implicit-def: $vgpr78
	s_delay_alu instid0(VALU_DEP_2) | instskip(NEXT) | instid1(VALU_DEP_2)
	v_cvt_f32_f16_e32 v0, v0
	v_cvt_f32_f16_e32 v1, v1
	s_and_saveexec_b32 s0, s55
	s_delay_alu instid0(SALU_CYCLE_1)
	s_xor_b32 s56, exec_lo, s0
	s_cbranch_execz .LBB42_81
; %bb.80:
	s_swap_pc_i64 s[30:31], s[50:51]
	v_mov_b32_e32 v78, v0
                                        ; implicit-def: $vgpr0
                                        ; implicit-def: $vgpr1
.LBB42_81:
	s_and_not1_saveexec_b32 s26, s56
	s_cbranch_execz .LBB42_83
; %bb.82:
	s_swap_pc_i64 s[30:31], s[52:53]
	v_mov_b32_e32 v78, v0
.LBB42_83:
	s_or_b32 exec_lo, exec_lo, s26
	s_wait_loadcnt 0x2
	v_cvt_f16_f32_e32 v1, v84
	v_cvt_f32_f16_e32 v0, v100
                                        ; implicit-def: $vgpr79
	s_delay_alu instid0(VALU_DEP_2) | instskip(SKIP_1) | instid1(SALU_CYCLE_1)
	v_cvt_f32_f16_e32 v1, v1
	s_and_saveexec_b32 s0, s55
	s_xor_b32 s56, exec_lo, s0
	s_cbranch_execz .LBB42_85
; %bb.84:
	s_swap_pc_i64 s[30:31], s[50:51]
	v_mov_b32_e32 v79, v0
                                        ; implicit-def: $vgpr0
                                        ; implicit-def: $vgpr1
.LBB42_85:
	s_and_not1_saveexec_b32 s26, s56
	s_cbranch_execz .LBB42_87
; %bb.86:
	s_swap_pc_i64 s[30:31], s[52:53]
	v_mov_b32_e32 v79, v0
.LBB42_87:
	s_or_b32 exec_lo, exec_lo, s26
	v_lshrrev_b32_e32 v0, 16, v100
	v_cvt_f16_f32_e32 v1, v85
                                        ; implicit-def: $vgpr84
	s_delay_alu instid0(VALU_DEP_2) | instskip(NEXT) | instid1(VALU_DEP_2)
	v_cvt_f32_f16_e32 v0, v0
	v_cvt_f32_f16_e32 v1, v1
	s_and_saveexec_b32 s0, s55
	s_delay_alu instid0(SALU_CYCLE_1)
	s_xor_b32 s56, exec_lo, s0
	s_cbranch_execz .LBB42_89
; %bb.88:
	s_swap_pc_i64 s[30:31], s[50:51]
	v_mov_b32_e32 v84, v0
                                        ; implicit-def: $vgpr0
                                        ; implicit-def: $vgpr1
.LBB42_89:
	s_and_not1_saveexec_b32 s26, s56
	s_cbranch_execz .LBB42_91
; %bb.90:
	s_swap_pc_i64 s[30:31], s[52:53]
	v_mov_b32_e32 v84, v0
.LBB42_91:
	s_or_b32 exec_lo, exec_lo, s26
	v_cvt_f16_f32_e32 v1, v86
	v_cvt_f32_f16_e32 v0, v101
                                        ; implicit-def: $vgpr85
	s_delay_alu instid0(VALU_DEP_2) | instskip(SKIP_1) | instid1(SALU_CYCLE_1)
	v_cvt_f32_f16_e32 v1, v1
	s_and_saveexec_b32 s0, s55
	s_xor_b32 s56, exec_lo, s0
	s_cbranch_execz .LBB42_93
; %bb.92:
	s_swap_pc_i64 s[30:31], s[50:51]
	v_mov_b32_e32 v85, v0
                                        ; implicit-def: $vgpr0
                                        ; implicit-def: $vgpr1
.LBB42_93:
	s_and_not1_saveexec_b32 s26, s56
	s_cbranch_execz .LBB42_95
; %bb.94:
	s_swap_pc_i64 s[30:31], s[52:53]
	v_mov_b32_e32 v85, v0
.LBB42_95:
	s_or_b32 exec_lo, exec_lo, s26
	v_lshrrev_b32_e32 v0, 16, v101
	v_cvt_f16_f32_e32 v1, v87
                                        ; implicit-def: $vgpr86
	s_delay_alu instid0(VALU_DEP_2) | instskip(NEXT) | instid1(VALU_DEP_2)
	v_cvt_f32_f16_e32 v0, v0
	v_cvt_f32_f16_e32 v1, v1
	s_and_saveexec_b32 s0, s55
	s_delay_alu instid0(SALU_CYCLE_1)
	s_xor_b32 s56, exec_lo, s0
	s_cbranch_execz .LBB42_97
; %bb.96:
	s_swap_pc_i64 s[30:31], s[50:51]
	v_mov_b32_e32 v86, v0
                                        ; implicit-def: $vgpr0
                                        ; implicit-def: $vgpr1
.LBB42_97:
	s_and_not1_saveexec_b32 s26, s56
	s_cbranch_execz .LBB42_99
; %bb.98:
	s_swap_pc_i64 s[30:31], s[52:53]
	v_mov_b32_e32 v86, v0
.LBB42_99:
	s_or_b32 exec_lo, exec_lo, s26
	s_wait_loadcnt 0x1
	v_cvt_f16_f32_e32 v1, v88
	v_cvt_f32_f16_e32 v0, v98
                                        ; implicit-def: $vgpr87
	s_delay_alu instid0(VALU_DEP_2) | instskip(SKIP_1) | instid1(SALU_CYCLE_1)
	v_cvt_f32_f16_e32 v1, v1
	s_and_saveexec_b32 s0, s55
	s_xor_b32 s56, exec_lo, s0
	s_cbranch_execz .LBB42_101
; %bb.100:
	s_swap_pc_i64 s[30:31], s[50:51]
	v_mov_b32_e32 v87, v0
                                        ; implicit-def: $vgpr0
                                        ; implicit-def: $vgpr1
.LBB42_101:
	s_and_not1_saveexec_b32 s26, s56
	s_cbranch_execz .LBB42_103
; %bb.102:
	s_swap_pc_i64 s[30:31], s[52:53]
	v_mov_b32_e32 v87, v0
.LBB42_103:
	s_or_b32 exec_lo, exec_lo, s26
	v_lshrrev_b32_e32 v0, 16, v98
	v_cvt_f16_f32_e32 v1, v89
                                        ; implicit-def: $vgpr88
	s_delay_alu instid0(VALU_DEP_2) | instskip(NEXT) | instid1(VALU_DEP_2)
	v_cvt_f32_f16_e32 v0, v0
	v_cvt_f32_f16_e32 v1, v1
	s_and_saveexec_b32 s0, s55
	s_delay_alu instid0(SALU_CYCLE_1)
	s_xor_b32 s56, exec_lo, s0
	s_cbranch_execz .LBB42_105
; %bb.104:
	s_swap_pc_i64 s[30:31], s[50:51]
	v_mov_b32_e32 v88, v0
                                        ; implicit-def: $vgpr0
                                        ; implicit-def: $vgpr1
.LBB42_105:
	s_and_not1_saveexec_b32 s26, s56
	s_cbranch_execz .LBB42_107
; %bb.106:
	s_swap_pc_i64 s[30:31], s[52:53]
	v_mov_b32_e32 v88, v0
.LBB42_107:
	s_or_b32 exec_lo, exec_lo, s26
	v_cvt_f16_f32_e32 v1, v90
	v_cvt_f32_f16_e32 v0, v99
                                        ; implicit-def: $vgpr89
	s_delay_alu instid0(VALU_DEP_2) | instskip(SKIP_1) | instid1(SALU_CYCLE_1)
	v_cvt_f32_f16_e32 v1, v1
	s_and_saveexec_b32 s0, s55
	s_xor_b32 s56, exec_lo, s0
	s_cbranch_execz .LBB42_109
; %bb.108:
	s_swap_pc_i64 s[30:31], s[50:51]
	v_mov_b32_e32 v89, v0
                                        ; implicit-def: $vgpr0
                                        ; implicit-def: $vgpr1
.LBB42_109:
	s_and_not1_saveexec_b32 s26, s56
	s_cbranch_execz .LBB42_111
; %bb.110:
	s_swap_pc_i64 s[30:31], s[52:53]
	v_mov_b32_e32 v89, v0
.LBB42_111:
	s_or_b32 exec_lo, exec_lo, s26
	v_lshrrev_b32_e32 v0, 16, v99
	v_cvt_f16_f32_e32 v1, v91
                                        ; implicit-def: $vgpr90
	s_delay_alu instid0(VALU_DEP_2) | instskip(NEXT) | instid1(VALU_DEP_2)
	v_cvt_f32_f16_e32 v0, v0
	v_cvt_f32_f16_e32 v1, v1
	s_and_saveexec_b32 s0, s55
	s_delay_alu instid0(SALU_CYCLE_1)
	s_xor_b32 s56, exec_lo, s0
	s_cbranch_execz .LBB42_113
; %bb.112:
	s_swap_pc_i64 s[30:31], s[50:51]
	v_mov_b32_e32 v90, v0
                                        ; implicit-def: $vgpr0
                                        ; implicit-def: $vgpr1
.LBB42_113:
	s_and_not1_saveexec_b32 s26, s56
	s_cbranch_execz .LBB42_115
; %bb.114:
	s_swap_pc_i64 s[30:31], s[52:53]
	v_mov_b32_e32 v90, v0
.LBB42_115:
	s_or_b32 exec_lo, exec_lo, s26
	s_wait_loadcnt 0x0
	v_cvt_f16_f32_e32 v1, v92
	v_cvt_f32_f16_e32 v0, v96
                                        ; implicit-def: $vgpr91
	s_delay_alu instid0(VALU_DEP_2) | instskip(SKIP_1) | instid1(SALU_CYCLE_1)
	v_cvt_f32_f16_e32 v1, v1
	s_and_saveexec_b32 s0, s55
	s_xor_b32 s56, exec_lo, s0
	s_cbranch_execz .LBB42_117
; %bb.116:
	s_swap_pc_i64 s[30:31], s[50:51]
	v_mov_b32_e32 v91, v0
                                        ; implicit-def: $vgpr0
                                        ; implicit-def: $vgpr1
.LBB42_117:
	s_and_not1_saveexec_b32 s26, s56
	s_cbranch_execz .LBB42_119
; %bb.118:
	s_swap_pc_i64 s[30:31], s[52:53]
	v_mov_b32_e32 v91, v0
.LBB42_119:
	s_or_b32 exec_lo, exec_lo, s26
	v_lshrrev_b32_e32 v0, 16, v96
	v_cvt_f16_f32_e32 v1, v93
                                        ; implicit-def: $vgpr92
	s_delay_alu instid0(VALU_DEP_2) | instskip(NEXT) | instid1(VALU_DEP_2)
	v_cvt_f32_f16_e32 v0, v0
	v_cvt_f32_f16_e32 v1, v1
	s_and_saveexec_b32 s0, s55
	s_delay_alu instid0(SALU_CYCLE_1)
	s_xor_b32 s56, exec_lo, s0
	s_cbranch_execz .LBB42_121
; %bb.120:
	s_swap_pc_i64 s[30:31], s[50:51]
	v_mov_b32_e32 v92, v0
                                        ; implicit-def: $vgpr0
                                        ; implicit-def: $vgpr1
.LBB42_121:
	s_and_not1_saveexec_b32 s26, s56
	s_cbranch_execz .LBB42_123
; %bb.122:
	s_swap_pc_i64 s[30:31], s[52:53]
	v_mov_b32_e32 v92, v0
.LBB42_123:
	s_or_b32 exec_lo, exec_lo, s26
	v_cvt_f16_f32_e32 v1, v94
	v_cvt_f32_f16_e32 v0, v97
                                        ; implicit-def: $vgpr93
	s_delay_alu instid0(VALU_DEP_2) | instskip(SKIP_1) | instid1(SALU_CYCLE_1)
	v_cvt_f32_f16_e32 v1, v1
	s_and_saveexec_b32 s0, s55
	s_xor_b32 s56, exec_lo, s0
	s_cbranch_execz .LBB42_125
; %bb.124:
	s_swap_pc_i64 s[30:31], s[50:51]
	v_mov_b32_e32 v93, v0
                                        ; implicit-def: $vgpr0
                                        ; implicit-def: $vgpr1
.LBB42_125:
	s_and_not1_saveexec_b32 s26, s56
	s_cbranch_execz .LBB42_127
; %bb.126:
	s_swap_pc_i64 s[30:31], s[52:53]
	v_mov_b32_e32 v93, v0
.LBB42_127:
	s_or_b32 exec_lo, exec_lo, s26
	v_lshrrev_b32_e32 v0, 16, v97
	v_cvt_f16_f32_e32 v1, v95
	s_delay_alu instid0(VALU_DEP_2) | instskip(NEXT) | instid1(VALU_DEP_2)
	v_cvt_f32_f16_e32 v2, v0
	v_cvt_f32_f16_e32 v1, v1
                                        ; implicit-def: $vgpr0
	s_and_saveexec_b32 s0, s55
	s_delay_alu instid0(SALU_CYCLE_1)
	s_xor_b32 s55, exec_lo, s0
	s_cbranch_execz .LBB42_129
; %bb.128:
	v_mov_b32_e32 v0, v2
	s_swap_pc_i64 s[30:31], s[50:51]
                                        ; implicit-def: $vgpr2
                                        ; implicit-def: $vgpr1
.LBB42_129:
	s_and_not1_saveexec_b32 s26, s55
	s_cbranch_execz .LBB42_131
; %bb.130:
	v_mov_b32_e32 v0, v2
	s_swap_pc_i64 s[30:31], s[52:53]
.LBB42_131:
	s_or_b32 exec_lo, exec_lo, s26
	v_cvt_pk_f16_f32 v3, v45, v46
	v_cvt_pk_f16_f32 v2, v43, v44
	;; [unrolled: 1-line block ×6, first 2 shown]
	s_add_nc_u64 s[2:3], s[36:37], s[48:49]
	v_cvt_pk_f16_f32 v9, v73, v74
	v_cvt_pk_f16_f32 v8, v63, v72
	s_clause 0x3
	global_store_b64 v113, v[2:3], s[2:3] scale_offset
	global_store_b64 v113, v[4:5], s[2:3] offset:4096 scale_offset
	global_store_b64 v113, v[6:7], s[2:3] offset:8192 scale_offset
	;; [unrolled: 1-line block ×3, first 2 shown]
	s_wait_xcnt 0x3
	v_cvt_pk_f16_f32 v3, v77, v78
	v_cvt_pk_f16_f32 v2, v75, v76
	s_wait_xcnt 0x2
	v_cvt_pk_f16_f32 v5, v85, v86
	v_cvt_pk_f16_f32 v4, v79, v84
	;; [unrolled: 3-line block ×3, first 2 shown]
	v_cvt_pk_f16_f32 v1, v93, v0
	v_cvt_pk_f16_f32 v0, v91, v92
	s_clause 0x3
	global_store_b64 v113, v[2:3], s[2:3] offset:16384 scale_offset
	global_store_b64 v113, v[4:5], s[2:3] offset:20480 scale_offset
	;; [unrolled: 1-line block ×4, first 2 shown]
	s_branch .LBB42_2
.LBB42_132:
	s_clause 0x1
	s_load_b32 s6, s[34:35], 0x24
	s_load_b128 s[0:3], s[34:35], 0x28
	ds_load_u8 v0, v112
	v_dual_mov_b32 v31, v42 :: v_dual_mov_b32 v1, s36
	v_dual_mov_b32 v2, s37 :: v_dual_mov_b32 v3, s38
	;; [unrolled: 1-line block ×4, first 2 shown]
	s_add_nc_u64 s[8:9], s[34:35], 56
	s_get_pc_i64 s[4:5]
	s_add_nc_u64 s[4:5], s[4:5], _ZN2at6native25elementwise_kernel_helperILb1EN12_GLOBAL__N_110CalcIgammaIfEENS0_6memory8policies11unroll_baseILi512ESt5arrayIPcLm3EE23TrivialOffsetCalculatorILi2EjESB_ILi1EjENS5_12LoadWithCastILi2EEENS5_13StoreWithCastILi1EEELi32ELi1EEEEEvT0_T1_@rel64+4
	s_wait_kmcnt 0x0
	s_bfe_u32 s7, s6, 0x80008
	v_dual_mov_b32 v8, s6 :: v_dual_mov_b32 v10, s0
	v_dual_mov_b32 v11, s1 :: v_dual_mov_b32 v12, s2
	;; [unrolled: 1-line block ×3, first 2 shown]
	s_swap_pc_i64 s[30:31], s[4:5]
	s_endpgm
	.section	.rodata,"a",@progbits
	.p2align	6, 0x0
	.amdhsa_kernel _ZN2at6native39vectorized_templated_elementwise_kernelILi4EN12_GLOBAL__N_110CalcIgammaIfEESt5arrayIPcLm3EE23TrivialOffsetCalculatorILi2EjES8_ILi1EjENS0_6memory12LoadWithCastILi2EEENSB_13StoreWithCastILi1EEEN3c104HalfEJSH_fEEEviT0_T1_T2_T3_T4_T5_
		.amdhsa_group_segment_fixed_size 1024
		.amdhsa_private_segment_fixed_size 448
		.amdhsa_kernarg_size 312
		.amdhsa_user_sgpr_count 4
		.amdhsa_user_sgpr_dispatch_ptr 1
		.amdhsa_user_sgpr_queue_ptr 0
		.amdhsa_user_sgpr_kernarg_segment_ptr 1
		.amdhsa_user_sgpr_dispatch_id 0
		.amdhsa_user_sgpr_kernarg_preload_length 0
		.amdhsa_user_sgpr_kernarg_preload_offset 0
		.amdhsa_user_sgpr_private_segment_size 0
		.amdhsa_wavefront_size32 1
		.amdhsa_uses_dynamic_stack 0
		.amdhsa_enable_private_segment 1
		.amdhsa_system_sgpr_workgroup_id_x 1
		.amdhsa_system_sgpr_workgroup_id_y 0
		.amdhsa_system_sgpr_workgroup_id_z 0
		.amdhsa_system_sgpr_workgroup_info 0
		.amdhsa_system_vgpr_workitem_id 2
		.amdhsa_next_free_vgpr 214
		.amdhsa_next_free_sgpr 96
		.amdhsa_named_barrier_count 0
		.amdhsa_reserve_vcc 1
		.amdhsa_float_round_mode_32 0
		.amdhsa_float_round_mode_16_64 0
		.amdhsa_float_denorm_mode_32 3
		.amdhsa_float_denorm_mode_16_64 3
		.amdhsa_fp16_overflow 0
		.amdhsa_memory_ordered 1
		.amdhsa_forward_progress 1
		.amdhsa_inst_pref_size 23
		.amdhsa_round_robin_scheduling 0
		.amdhsa_exception_fp_ieee_invalid_op 0
		.amdhsa_exception_fp_denorm_src 0
		.amdhsa_exception_fp_ieee_div_zero 0
		.amdhsa_exception_fp_ieee_overflow 0
		.amdhsa_exception_fp_ieee_underflow 0
		.amdhsa_exception_fp_ieee_inexact 0
		.amdhsa_exception_int_div_zero 0
	.end_amdhsa_kernel
	.section	.text._ZN2at6native39vectorized_templated_elementwise_kernelILi4EN12_GLOBAL__N_110CalcIgammaIfEESt5arrayIPcLm3EE23TrivialOffsetCalculatorILi2EjES8_ILi1EjENS0_6memory12LoadWithCastILi2EEENSB_13StoreWithCastILi1EEEN3c104HalfEJSH_fEEEviT0_T1_T2_T3_T4_T5_,"axG",@progbits,_ZN2at6native39vectorized_templated_elementwise_kernelILi4EN12_GLOBAL__N_110CalcIgammaIfEESt5arrayIPcLm3EE23TrivialOffsetCalculatorILi2EjES8_ILi1EjENS0_6memory12LoadWithCastILi2EEENSB_13StoreWithCastILi1EEEN3c104HalfEJSH_fEEEviT0_T1_T2_T3_T4_T5_,comdat
.Lfunc_end42:
	.size	_ZN2at6native39vectorized_templated_elementwise_kernelILi4EN12_GLOBAL__N_110CalcIgammaIfEESt5arrayIPcLm3EE23TrivialOffsetCalculatorILi2EjES8_ILi1EjENS0_6memory12LoadWithCastILi2EEENSB_13StoreWithCastILi1EEEN3c104HalfEJSH_fEEEviT0_T1_T2_T3_T4_T5_, .Lfunc_end42-_ZN2at6native39vectorized_templated_elementwise_kernelILi4EN12_GLOBAL__N_110CalcIgammaIfEESt5arrayIPcLm3EE23TrivialOffsetCalculatorILi2EjES8_ILi1EjENS0_6memory12LoadWithCastILi2EEENSB_13StoreWithCastILi1EEEN3c104HalfEJSH_fEEEviT0_T1_T2_T3_T4_T5_
                                        ; -- End function
	.set _ZN2at6native39vectorized_templated_elementwise_kernelILi4EN12_GLOBAL__N_110CalcIgammaIfEESt5arrayIPcLm3EE23TrivialOffsetCalculatorILi2EjES8_ILi1EjENS0_6memory12LoadWithCastILi2EEENSB_13StoreWithCastILi1EEEN3c104HalfEJSH_fEEEviT0_T1_T2_T3_T4_T5_.num_vgpr, max(114, .L_ZN12_GLOBAL__N_111calc_igammaIfEET_S1_S1_.num_vgpr, .L_ZN12_GLOBAL__N_112calc_igammacIfEET_S1_S1_.num_vgpr, .L_ZN2at6native25elementwise_kernel_helperILb1EN12_GLOBAL__N_110CalcIgammaIfEENS0_6memory8policies11unroll_baseILi512ESt5arrayIPcLm3EE23TrivialOffsetCalculatorILi2EjESB_ILi1EjENS5_12LoadWithCastILi2EEENS5_13StoreWithCastILi1EEELi32ELi1EEEEEvT0_T1_.num_vgpr)
	.set _ZN2at6native39vectorized_templated_elementwise_kernelILi4EN12_GLOBAL__N_110CalcIgammaIfEESt5arrayIPcLm3EE23TrivialOffsetCalculatorILi2EjES8_ILi1EjENS0_6memory12LoadWithCastILi2EEENSB_13StoreWithCastILi1EEEN3c104HalfEJSH_fEEEviT0_T1_T2_T3_T4_T5_.num_agpr, max(0, .L_ZN12_GLOBAL__N_111calc_igammaIfEET_S1_S1_.num_agpr, .L_ZN12_GLOBAL__N_112calc_igammacIfEET_S1_S1_.num_agpr, .L_ZN2at6native25elementwise_kernel_helperILb1EN12_GLOBAL__N_110CalcIgammaIfEENS0_6memory8policies11unroll_baseILi512ESt5arrayIPcLm3EE23TrivialOffsetCalculatorILi2EjESB_ILi1EjENS5_12LoadWithCastILi2EEENS5_13StoreWithCastILi1EEELi32ELi1EEEEEvT0_T1_.num_agpr)
	.set _ZN2at6native39vectorized_templated_elementwise_kernelILi4EN12_GLOBAL__N_110CalcIgammaIfEESt5arrayIPcLm3EE23TrivialOffsetCalculatorILi2EjES8_ILi1EjENS0_6memory12LoadWithCastILi2EEENSB_13StoreWithCastILi1EEEN3c104HalfEJSH_fEEEviT0_T1_T2_T3_T4_T5_.numbered_sgpr, max(57, .L_ZN12_GLOBAL__N_111calc_igammaIfEET_S1_S1_.numbered_sgpr, .L_ZN12_GLOBAL__N_112calc_igammacIfEET_S1_S1_.numbered_sgpr, .L_ZN2at6native25elementwise_kernel_helperILb1EN12_GLOBAL__N_110CalcIgammaIfEENS0_6memory8policies11unroll_baseILi512ESt5arrayIPcLm3EE23TrivialOffsetCalculatorILi2EjESB_ILi1EjENS5_12LoadWithCastILi2EEENS5_13StoreWithCastILi1EEELi32ELi1EEEEEvT0_T1_.numbered_sgpr)
	.set _ZN2at6native39vectorized_templated_elementwise_kernelILi4EN12_GLOBAL__N_110CalcIgammaIfEESt5arrayIPcLm3EE23TrivialOffsetCalculatorILi2EjES8_ILi1EjENS0_6memory12LoadWithCastILi2EEENSB_13StoreWithCastILi1EEEN3c104HalfEJSH_fEEEviT0_T1_T2_T3_T4_T5_.num_named_barrier, max(0, .L_ZN12_GLOBAL__N_111calc_igammaIfEET_S1_S1_.num_named_barrier, .L_ZN12_GLOBAL__N_112calc_igammacIfEET_S1_S1_.num_named_barrier, .L_ZN2at6native25elementwise_kernel_helperILb1EN12_GLOBAL__N_110CalcIgammaIfEENS0_6memory8policies11unroll_baseILi512ESt5arrayIPcLm3EE23TrivialOffsetCalculatorILi2EjESB_ILi1EjENS5_12LoadWithCastILi2EEENS5_13StoreWithCastILi1EEELi32ELi1EEEEEvT0_T1_.num_named_barrier)
	.set _ZN2at6native39vectorized_templated_elementwise_kernelILi4EN12_GLOBAL__N_110CalcIgammaIfEESt5arrayIPcLm3EE23TrivialOffsetCalculatorILi2EjES8_ILi1EjENS0_6memory12LoadWithCastILi2EEENSB_13StoreWithCastILi1EEEN3c104HalfEJSH_fEEEviT0_T1_T2_T3_T4_T5_.private_seg_size, 0+max(.L_ZN12_GLOBAL__N_111calc_igammaIfEET_S1_S1_.private_seg_size, .L_ZN12_GLOBAL__N_112calc_igammacIfEET_S1_S1_.private_seg_size, .L_ZN2at6native25elementwise_kernel_helperILb1EN12_GLOBAL__N_110CalcIgammaIfEENS0_6memory8policies11unroll_baseILi512ESt5arrayIPcLm3EE23TrivialOffsetCalculatorILi2EjESB_ILi1EjENS5_12LoadWithCastILi2EEENS5_13StoreWithCastILi1EEELi32ELi1EEEEEvT0_T1_.private_seg_size)
	.set _ZN2at6native39vectorized_templated_elementwise_kernelILi4EN12_GLOBAL__N_110CalcIgammaIfEESt5arrayIPcLm3EE23TrivialOffsetCalculatorILi2EjES8_ILi1EjENS0_6memory12LoadWithCastILi2EEENSB_13StoreWithCastILi1EEEN3c104HalfEJSH_fEEEviT0_T1_T2_T3_T4_T5_.uses_vcc, or(1, .L_ZN12_GLOBAL__N_111calc_igammaIfEET_S1_S1_.uses_vcc, .L_ZN12_GLOBAL__N_112calc_igammacIfEET_S1_S1_.uses_vcc, .L_ZN2at6native25elementwise_kernel_helperILb1EN12_GLOBAL__N_110CalcIgammaIfEENS0_6memory8policies11unroll_baseILi512ESt5arrayIPcLm3EE23TrivialOffsetCalculatorILi2EjESB_ILi1EjENS5_12LoadWithCastILi2EEENS5_13StoreWithCastILi1EEELi32ELi1EEEEEvT0_T1_.uses_vcc)
	.set _ZN2at6native39vectorized_templated_elementwise_kernelILi4EN12_GLOBAL__N_110CalcIgammaIfEESt5arrayIPcLm3EE23TrivialOffsetCalculatorILi2EjES8_ILi1EjENS0_6memory12LoadWithCastILi2EEENSB_13StoreWithCastILi1EEEN3c104HalfEJSH_fEEEviT0_T1_T2_T3_T4_T5_.uses_flat_scratch, or(0, .L_ZN12_GLOBAL__N_111calc_igammaIfEET_S1_S1_.uses_flat_scratch, .L_ZN12_GLOBAL__N_112calc_igammacIfEET_S1_S1_.uses_flat_scratch, .L_ZN2at6native25elementwise_kernel_helperILb1EN12_GLOBAL__N_110CalcIgammaIfEENS0_6memory8policies11unroll_baseILi512ESt5arrayIPcLm3EE23TrivialOffsetCalculatorILi2EjESB_ILi1EjENS5_12LoadWithCastILi2EEENS5_13StoreWithCastILi1EEELi32ELi1EEEEEvT0_T1_.uses_flat_scratch)
	.set _ZN2at6native39vectorized_templated_elementwise_kernelILi4EN12_GLOBAL__N_110CalcIgammaIfEESt5arrayIPcLm3EE23TrivialOffsetCalculatorILi2EjES8_ILi1EjENS0_6memory12LoadWithCastILi2EEENSB_13StoreWithCastILi1EEEN3c104HalfEJSH_fEEEviT0_T1_T2_T3_T4_T5_.has_dyn_sized_stack, or(0, .L_ZN12_GLOBAL__N_111calc_igammaIfEET_S1_S1_.has_dyn_sized_stack, .L_ZN12_GLOBAL__N_112calc_igammacIfEET_S1_S1_.has_dyn_sized_stack, .L_ZN2at6native25elementwise_kernel_helperILb1EN12_GLOBAL__N_110CalcIgammaIfEENS0_6memory8policies11unroll_baseILi512ESt5arrayIPcLm3EE23TrivialOffsetCalculatorILi2EjESB_ILi1EjENS5_12LoadWithCastILi2EEENS5_13StoreWithCastILi1EEELi32ELi1EEEEEvT0_T1_.has_dyn_sized_stack)
	.set _ZN2at6native39vectorized_templated_elementwise_kernelILi4EN12_GLOBAL__N_110CalcIgammaIfEESt5arrayIPcLm3EE23TrivialOffsetCalculatorILi2EjES8_ILi1EjENS0_6memory12LoadWithCastILi2EEENSB_13StoreWithCastILi1EEEN3c104HalfEJSH_fEEEviT0_T1_T2_T3_T4_T5_.has_recursion, or(0, .L_ZN12_GLOBAL__N_111calc_igammaIfEET_S1_S1_.has_recursion, .L_ZN12_GLOBAL__N_112calc_igammacIfEET_S1_S1_.has_recursion, .L_ZN2at6native25elementwise_kernel_helperILb1EN12_GLOBAL__N_110CalcIgammaIfEENS0_6memory8policies11unroll_baseILi512ESt5arrayIPcLm3EE23TrivialOffsetCalculatorILi2EjESB_ILi1EjENS5_12LoadWithCastILi2EEENS5_13StoreWithCastILi1EEELi32ELi1EEEEEvT0_T1_.has_recursion)
	.set _ZN2at6native39vectorized_templated_elementwise_kernelILi4EN12_GLOBAL__N_110CalcIgammaIfEESt5arrayIPcLm3EE23TrivialOffsetCalculatorILi2EjES8_ILi1EjENS0_6memory12LoadWithCastILi2EEENSB_13StoreWithCastILi1EEEN3c104HalfEJSH_fEEEviT0_T1_T2_T3_T4_T5_.has_indirect_call, or(0, .L_ZN12_GLOBAL__N_111calc_igammaIfEET_S1_S1_.has_indirect_call, .L_ZN12_GLOBAL__N_112calc_igammacIfEET_S1_S1_.has_indirect_call, .L_ZN2at6native25elementwise_kernel_helperILb1EN12_GLOBAL__N_110CalcIgammaIfEENS0_6memory8policies11unroll_baseILi512ESt5arrayIPcLm3EE23TrivialOffsetCalculatorILi2EjESB_ILi1EjENS5_12LoadWithCastILi2EEENS5_13StoreWithCastILi1EEELi32ELi1EEEEEvT0_T1_.has_indirect_call)
	.section	.AMDGPU.csdata,"",@progbits
; Kernel info:
; codeLenInByte = 2864
; TotalNumSgprs: 98
; NumVgprs: 214
; ScratchSize: 448
; MemoryBound: 0
; FloatMode: 240
; IeeeMode: 1
; LDSByteSize: 1024 bytes/workgroup (compile time only)
; SGPRBlocks: 0
; VGPRBlocks: 13
; NumSGPRsForWavesPerEU: 98
; NumVGPRsForWavesPerEU: 214
; NamedBarCnt: 0
; Occupancy: 4
; WaveLimiterHint : 0
; COMPUTE_PGM_RSRC2:SCRATCH_EN: 1
; COMPUTE_PGM_RSRC2:USER_SGPR: 4
; COMPUTE_PGM_RSRC2:TRAP_HANDLER: 0
; COMPUTE_PGM_RSRC2:TGID_X_EN: 1
; COMPUTE_PGM_RSRC2:TGID_Y_EN: 0
; COMPUTE_PGM_RSRC2:TGID_Z_EN: 0
; COMPUTE_PGM_RSRC2:TIDIG_COMP_CNT: 2
	.section	.text._ZN2at6native39vectorized_templated_elementwise_kernelILi2EN12_GLOBAL__N_110CalcIgammaIfEESt5arrayIPcLm3EE23TrivialOffsetCalculatorILi2EjES8_ILi1EjENS0_6memory12LoadWithCastILi2EEENSB_13StoreWithCastILi1EEEN3c104HalfEJSH_fEEEviT0_T1_T2_T3_T4_T5_,"axG",@progbits,_ZN2at6native39vectorized_templated_elementwise_kernelILi2EN12_GLOBAL__N_110CalcIgammaIfEESt5arrayIPcLm3EE23TrivialOffsetCalculatorILi2EjES8_ILi1EjENS0_6memory12LoadWithCastILi2EEENSB_13StoreWithCastILi1EEEN3c104HalfEJSH_fEEEviT0_T1_T2_T3_T4_T5_,comdat
	.globl	_ZN2at6native39vectorized_templated_elementwise_kernelILi2EN12_GLOBAL__N_110CalcIgammaIfEESt5arrayIPcLm3EE23TrivialOffsetCalculatorILi2EjES8_ILi1EjENS0_6memory12LoadWithCastILi2EEENSB_13StoreWithCastILi1EEEN3c104HalfEJSH_fEEEviT0_T1_T2_T3_T4_T5_ ; -- Begin function _ZN2at6native39vectorized_templated_elementwise_kernelILi2EN12_GLOBAL__N_110CalcIgammaIfEESt5arrayIPcLm3EE23TrivialOffsetCalculatorILi2EjES8_ILi1EjENS0_6memory12LoadWithCastILi2EEENSB_13StoreWithCastILi1EEEN3c104HalfEJSH_fEEEviT0_T1_T2_T3_T4_T5_
	.p2align	8
	.type	_ZN2at6native39vectorized_templated_elementwise_kernelILi2EN12_GLOBAL__N_110CalcIgammaIfEESt5arrayIPcLm3EE23TrivialOffsetCalculatorILi2EjES8_ILi1EjENS0_6memory12LoadWithCastILi2EEENSB_13StoreWithCastILi1EEEN3c104HalfEJSH_fEEEviT0_T1_T2_T3_T4_T5_,@function
_ZN2at6native39vectorized_templated_elementwise_kernelILi2EN12_GLOBAL__N_110CalcIgammaIfEESt5arrayIPcLm3EE23TrivialOffsetCalculatorILi2EjES8_ILi1EjENS0_6memory12LoadWithCastILi2EEENSB_13StoreWithCastILi1EEEN3c104HalfEJSH_fEEEviT0_T1_T2_T3_T4_T5_: ; @_ZN2at6native39vectorized_templated_elementwise_kernelILi2EN12_GLOBAL__N_110CalcIgammaIfEESt5arrayIPcLm3EE23TrivialOffsetCalculatorILi2EjES8_ILi1EjENS0_6memory12LoadWithCastILi2EEENSB_13StoreWithCastILi1EEEN3c104HalfEJSH_fEEEviT0_T1_T2_T3_T4_T5_
; %bb.0:
	s_mov_b64 s[34:35], s[2:3]
	s_load_b64 s[2:3], s[0:1], 0x4
	s_clause 0x2
	s_load_b64 s[4:5], s[34:35], 0x0
	s_load_b64 s[46:47], s[34:35], 0x18
	s_load_b32 s6, s[34:35], 0x38
	s_wait_xcnt 0x0
	s_bfe_u32 s1, ttmp6, 0x4000c
	s_and_b32 s0, ttmp6, 15
	s_add_co_i32 s1, s1, 1
	s_load_b128 s[36:39], s[34:35], 0x8
	s_mul_i32 s1, ttmp9, s1
	s_getreg_b32 s7, hwreg(HW_REG_IB_STS2, 6, 4)
	s_add_co_i32 s0, s0, s1
	s_mov_b32 s32, 0
	s_wait_kmcnt 0x0
	s_lshr_b32 s2, s2, 16
	s_and_b32 s1, s5, 1
	v_mov_b32_e32 v42, v0
	s_mul_i32 s2, s2, s3
	s_cmp_eq_u32 s7, 0
	s_cselect_b32 s0, ttmp9, s0
	s_delay_alu instid0(VALU_DEP_1) | instskip(SKIP_3) | instid1(VALU_DEP_3)
	v_and_b32_e32 v97, 0x3ff, v42
	v_bfe_u32 v0, v42, 10, 10
	v_bfe_u32 v2, v42, 20, 10
	s_not_b32 s0, s0
	v_mul_lo_u32 v1, s2, v97
	s_delay_alu instid0(VALU_DEP_3) | instskip(SKIP_1) | instid1(SALU_CYCLE_1)
	v_mul_u32_u24_e32 v0, s3, v0
	s_add_co_i32 s6, s6, s0
	s_lshl_b32 s0, s6, 14
	s_delay_alu instid0(SALU_CYCLE_1) | instskip(NEXT) | instid1(SALU_CYCLE_1)
	s_sub_co_i32 s54, s4, s0
	s_cmp_gt_i32 s54, 0x3fff
	s_delay_alu instid0(VALU_DEP_2)
	v_add3_u32 v96, v1, v0, v2
	v_mov_b32_e32 v0, s1
	s_mov_b32 s1, -1
	ds_store_b8 v96, v0
	s_cbranch_scc1 .LBB43_3
; %bb.1:
	s_and_b32 vcc_lo, exec_lo, s1
	s_cbranch_vccnz .LBB43_132
.LBB43_2:
	s_endpgm
.LBB43_3:
	s_ashr_i32 s1, s0, 31
	s_get_pc_i64 s[50:51]
	s_add_nc_u64 s[50:51], s[50:51], _ZN12_GLOBAL__N_111calc_igammaIfEET_S1_S1_@rel64+4
	s_lshl_b64 s[48:49], s[0:1], 1
	s_lshl_b64 s[0:1], s[0:1], 2
	s_add_nc_u64 s[2:3], s[38:39], s[48:49]
	s_add_nc_u64 s[0:1], s[46:47], s[0:1]
	s_clause 0x1f
	global_load_b32 v113, v97, s[2:3] scale_offset
	global_load_b32 v112, v97, s[2:3] offset:2048 scale_offset
	global_load_b32 v111, v97, s[2:3] offset:4096 scale_offset
	;; [unrolled: 1-line block ×15, first 2 shown]
	global_load_b64 v[44:45], v97, s[0:1] scale_offset
	global_load_b64 v[46:47], v97, s[0:1] offset:4096 scale_offset
	global_load_b64 v[56:57], v97, s[0:1] offset:8192 scale_offset
	;; [unrolled: 1-line block ×6, first 2 shown]
	; meta instruction
	global_load_b64 v[74:75], v97, s[0:1] offset:28672 scale_offset
	global_load_b64 v[76:77], v97, s[0:1] offset:32768 scale_offset
	;; [unrolled: 1-line block ×9, first 2 shown]
	ds_load_u8 v0, v96
                                        ; implicit-def: $vgpr43
	s_wait_dscnt 0x0
	v_and_b32_e32 v2, 1, v0
	s_delay_alu instid0(VALU_DEP_1) | instskip(SKIP_4) | instid1(VALU_DEP_1)
	v_cmp_eq_u32_e32 vcc_lo, 1, v2
	ds_store_b8 v96, v2 offset:512
	s_xor_b32 s55, vcc_lo, -1
	s_wait_loadcnt 0xf
	v_cvt_f16_f32_e32 v1, v44
	v_cvt_f32_f16_e32 v1, v1
	v_cvt_f32_f16_e32 v0, v113
	s_wait_xcnt 0x0
	s_and_saveexec_b32 s0, s55
	s_delay_alu instid0(SALU_CYCLE_1)
	s_xor_b32 s52, exec_lo, s0
	s_cbranch_execz .LBB43_5
; %bb.4:
	s_swap_pc_i64 s[30:31], s[50:51]
	v_mov_b32_e32 v43, v0
                                        ; implicit-def: $vgpr0
                                        ; implicit-def: $vgpr1
.LBB43_5:
	s_or_saveexec_b32 s26, s52
	s_get_pc_i64 s[52:53]
	s_add_nc_u64 s[52:53], s[52:53], _ZN12_GLOBAL__N_112calc_igammacIfEET_S1_S1_@rel64+4
	s_xor_b32 exec_lo, exec_lo, s26
	s_cbranch_execz .LBB43_7
; %bb.6:
	s_swap_pc_i64 s[30:31], s[52:53]
	v_mov_b32_e32 v43, v0
.LBB43_7:
	s_or_b32 exec_lo, exec_lo, s26
	v_lshrrev_b32_e32 v0, 16, v113
	v_cvt_f16_f32_e32 v1, v45
                                        ; implicit-def: $vgpr44
	s_delay_alu instid0(VALU_DEP_2) | instskip(NEXT) | instid1(VALU_DEP_2)
	v_cvt_f32_f16_e32 v0, v0
	v_cvt_f32_f16_e32 v1, v1
	s_and_saveexec_b32 s0, s55
	s_delay_alu instid0(SALU_CYCLE_1)
	s_xor_b32 s56, exec_lo, s0
	s_cbranch_execz .LBB43_9
; %bb.8:
	s_swap_pc_i64 s[30:31], s[50:51]
	v_mov_b32_e32 v44, v0
                                        ; implicit-def: $vgpr0
                                        ; implicit-def: $vgpr1
.LBB43_9:
	s_and_not1_saveexec_b32 s26, s56
	s_cbranch_execz .LBB43_11
; %bb.10:
	s_swap_pc_i64 s[30:31], s[52:53]
	v_mov_b32_e32 v44, v0
.LBB43_11:
	s_or_b32 exec_lo, exec_lo, s26
	s_wait_loadcnt 0xe
	v_cvt_f16_f32_e32 v1, v46
	v_cvt_f32_f16_e32 v0, v112
                                        ; implicit-def: $vgpr45
	s_delay_alu instid0(VALU_DEP_2) | instskip(SKIP_1) | instid1(SALU_CYCLE_1)
	v_cvt_f32_f16_e32 v1, v1
	s_and_saveexec_b32 s0, s55
	s_xor_b32 s56, exec_lo, s0
	s_cbranch_execz .LBB43_13
; %bb.12:
	s_swap_pc_i64 s[30:31], s[50:51]
	v_mov_b32_e32 v45, v0
                                        ; implicit-def: $vgpr0
                                        ; implicit-def: $vgpr1
.LBB43_13:
	s_and_not1_saveexec_b32 s26, s56
	s_cbranch_execz .LBB43_15
; %bb.14:
	s_swap_pc_i64 s[30:31], s[52:53]
	v_mov_b32_e32 v45, v0
.LBB43_15:
	s_or_b32 exec_lo, exec_lo, s26
	v_lshrrev_b32_e32 v0, 16, v112
	v_cvt_f16_f32_e32 v1, v47
                                        ; implicit-def: $vgpr46
	s_delay_alu instid0(VALU_DEP_2) | instskip(NEXT) | instid1(VALU_DEP_2)
	v_cvt_f32_f16_e32 v0, v0
	v_cvt_f32_f16_e32 v1, v1
	s_and_saveexec_b32 s0, s55
	s_delay_alu instid0(SALU_CYCLE_1)
	s_xor_b32 s56, exec_lo, s0
	s_cbranch_execz .LBB43_17
; %bb.16:
	s_swap_pc_i64 s[30:31], s[50:51]
	v_mov_b32_e32 v46, v0
                                        ; implicit-def: $vgpr0
                                        ; implicit-def: $vgpr1
.LBB43_17:
	s_and_not1_saveexec_b32 s26, s56
	s_cbranch_execz .LBB43_19
; %bb.18:
	s_swap_pc_i64 s[30:31], s[52:53]
	v_mov_b32_e32 v46, v0
.LBB43_19:
	s_or_b32 exec_lo, exec_lo, s26
	s_wait_loadcnt 0xd
	v_cvt_f16_f32_e32 v1, v56
	v_cvt_f32_f16_e32 v0, v111
                                        ; implicit-def: $vgpr47
	s_delay_alu instid0(VALU_DEP_2) | instskip(SKIP_1) | instid1(SALU_CYCLE_1)
	v_cvt_f32_f16_e32 v1, v1
	s_and_saveexec_b32 s0, s55
	s_xor_b32 s56, exec_lo, s0
	s_cbranch_execz .LBB43_21
; %bb.20:
	s_swap_pc_i64 s[30:31], s[50:51]
	v_mov_b32_e32 v47, v0
                                        ; implicit-def: $vgpr0
                                        ; implicit-def: $vgpr1
.LBB43_21:
	s_and_not1_saveexec_b32 s26, s56
	s_cbranch_execz .LBB43_23
; %bb.22:
	s_swap_pc_i64 s[30:31], s[52:53]
	v_mov_b32_e32 v47, v0
.LBB43_23:
	s_or_b32 exec_lo, exec_lo, s26
	v_lshrrev_b32_e32 v0, 16, v111
	v_cvt_f16_f32_e32 v1, v57
                                        ; implicit-def: $vgpr56
	s_delay_alu instid0(VALU_DEP_2) | instskip(NEXT) | instid1(VALU_DEP_2)
	v_cvt_f32_f16_e32 v0, v0
	v_cvt_f32_f16_e32 v1, v1
	s_and_saveexec_b32 s0, s55
	s_delay_alu instid0(SALU_CYCLE_1)
	s_xor_b32 s56, exec_lo, s0
	s_cbranch_execz .LBB43_25
; %bb.24:
	s_swap_pc_i64 s[30:31], s[50:51]
	v_mov_b32_e32 v56, v0
                                        ; implicit-def: $vgpr0
                                        ; implicit-def: $vgpr1
.LBB43_25:
	s_and_not1_saveexec_b32 s26, s56
	s_cbranch_execz .LBB43_27
; %bb.26:
	s_swap_pc_i64 s[30:31], s[52:53]
	v_mov_b32_e32 v56, v0
.LBB43_27:
	s_or_b32 exec_lo, exec_lo, s26
	s_wait_loadcnt 0xc
	v_cvt_f16_f32_e32 v1, v58
	v_cvt_f32_f16_e32 v0, v110
                                        ; implicit-def: $vgpr57
	s_delay_alu instid0(VALU_DEP_2) | instskip(SKIP_1) | instid1(SALU_CYCLE_1)
	v_cvt_f32_f16_e32 v1, v1
	s_and_saveexec_b32 s0, s55
	s_xor_b32 s56, exec_lo, s0
	s_cbranch_execz .LBB43_29
; %bb.28:
	s_swap_pc_i64 s[30:31], s[50:51]
	v_mov_b32_e32 v57, v0
                                        ; implicit-def: $vgpr0
                                        ; implicit-def: $vgpr1
.LBB43_29:
	s_and_not1_saveexec_b32 s26, s56
	s_cbranch_execz .LBB43_31
; %bb.30:
	s_swap_pc_i64 s[30:31], s[52:53]
	v_mov_b32_e32 v57, v0
.LBB43_31:
	s_or_b32 exec_lo, exec_lo, s26
	v_lshrrev_b32_e32 v0, 16, v110
	v_cvt_f16_f32_e32 v1, v59
                                        ; implicit-def: $vgpr58
	s_delay_alu instid0(VALU_DEP_2) | instskip(NEXT) | instid1(VALU_DEP_2)
	v_cvt_f32_f16_e32 v0, v0
	v_cvt_f32_f16_e32 v1, v1
	s_and_saveexec_b32 s0, s55
	s_delay_alu instid0(SALU_CYCLE_1)
	s_xor_b32 s56, exec_lo, s0
	s_cbranch_execz .LBB43_33
; %bb.32:
	s_swap_pc_i64 s[30:31], s[50:51]
	v_mov_b32_e32 v58, v0
                                        ; implicit-def: $vgpr0
                                        ; implicit-def: $vgpr1
.LBB43_33:
	s_and_not1_saveexec_b32 s26, s56
	s_cbranch_execz .LBB43_35
; %bb.34:
	s_swap_pc_i64 s[30:31], s[52:53]
	v_mov_b32_e32 v58, v0
.LBB43_35:
	s_or_b32 exec_lo, exec_lo, s26
	s_wait_loadcnt 0xb
	v_cvt_f16_f32_e32 v1, v60
	v_cvt_f32_f16_e32 v0, v109
                                        ; implicit-def: $vgpr59
	s_delay_alu instid0(VALU_DEP_2) | instskip(SKIP_1) | instid1(SALU_CYCLE_1)
	v_cvt_f32_f16_e32 v1, v1
	s_and_saveexec_b32 s0, s55
	s_xor_b32 s56, exec_lo, s0
	s_cbranch_execz .LBB43_37
; %bb.36:
	s_swap_pc_i64 s[30:31], s[50:51]
	v_mov_b32_e32 v59, v0
                                        ; implicit-def: $vgpr0
                                        ; implicit-def: $vgpr1
.LBB43_37:
	s_and_not1_saveexec_b32 s26, s56
	s_cbranch_execz .LBB43_39
; %bb.38:
	s_swap_pc_i64 s[30:31], s[52:53]
	v_mov_b32_e32 v59, v0
.LBB43_39:
	s_or_b32 exec_lo, exec_lo, s26
	v_lshrrev_b32_e32 v0, 16, v109
	v_cvt_f16_f32_e32 v1, v61
                                        ; implicit-def: $vgpr60
	s_delay_alu instid0(VALU_DEP_2) | instskip(NEXT) | instid1(VALU_DEP_2)
	v_cvt_f32_f16_e32 v0, v0
	v_cvt_f32_f16_e32 v1, v1
	s_and_saveexec_b32 s0, s55
	s_delay_alu instid0(SALU_CYCLE_1)
	s_xor_b32 s56, exec_lo, s0
	s_cbranch_execz .LBB43_41
; %bb.40:
	s_swap_pc_i64 s[30:31], s[50:51]
	v_mov_b32_e32 v60, v0
                                        ; implicit-def: $vgpr0
                                        ; implicit-def: $vgpr1
.LBB43_41:
	s_and_not1_saveexec_b32 s26, s56
	s_cbranch_execz .LBB43_43
; %bb.42:
	s_swap_pc_i64 s[30:31], s[52:53]
	v_mov_b32_e32 v60, v0
.LBB43_43:
	s_or_b32 exec_lo, exec_lo, s26
	s_wait_loadcnt 0xa
	v_cvt_f16_f32_e32 v1, v62
	v_cvt_f32_f16_e32 v0, v108
                                        ; implicit-def: $vgpr61
	s_delay_alu instid0(VALU_DEP_2) | instskip(SKIP_1) | instid1(SALU_CYCLE_1)
	v_cvt_f32_f16_e32 v1, v1
	s_and_saveexec_b32 s0, s55
	s_xor_b32 s56, exec_lo, s0
	s_cbranch_execz .LBB43_45
; %bb.44:
	s_swap_pc_i64 s[30:31], s[50:51]
	v_mov_b32_e32 v61, v0
                                        ; implicit-def: $vgpr0
                                        ; implicit-def: $vgpr1
.LBB43_45:
	s_and_not1_saveexec_b32 s26, s56
	s_cbranch_execz .LBB43_47
; %bb.46:
	s_swap_pc_i64 s[30:31], s[52:53]
	v_mov_b32_e32 v61, v0
.LBB43_47:
	s_or_b32 exec_lo, exec_lo, s26
	v_lshrrev_b32_e32 v0, 16, v108
	v_cvt_f16_f32_e32 v1, v63
                                        ; implicit-def: $vgpr62
	s_delay_alu instid0(VALU_DEP_2) | instskip(NEXT) | instid1(VALU_DEP_2)
	v_cvt_f32_f16_e32 v0, v0
	v_cvt_f32_f16_e32 v1, v1
	s_and_saveexec_b32 s0, s55
	s_delay_alu instid0(SALU_CYCLE_1)
	s_xor_b32 s56, exec_lo, s0
	s_cbranch_execz .LBB43_49
; %bb.48:
	s_swap_pc_i64 s[30:31], s[50:51]
	v_mov_b32_e32 v62, v0
                                        ; implicit-def: $vgpr0
                                        ; implicit-def: $vgpr1
.LBB43_49:
	s_and_not1_saveexec_b32 s26, s56
	s_cbranch_execz .LBB43_51
; %bb.50:
	s_swap_pc_i64 s[30:31], s[52:53]
	v_mov_b32_e32 v62, v0
.LBB43_51:
	s_or_b32 exec_lo, exec_lo, s26
	s_wait_loadcnt 0x9
	v_cvt_f16_f32_e32 v1, v72
	v_cvt_f32_f16_e32 v0, v107
                                        ; implicit-def: $vgpr63
	s_delay_alu instid0(VALU_DEP_2) | instskip(SKIP_1) | instid1(SALU_CYCLE_1)
	v_cvt_f32_f16_e32 v1, v1
	s_and_saveexec_b32 s0, s55
	s_xor_b32 s56, exec_lo, s0
	s_cbranch_execz .LBB43_53
; %bb.52:
	s_swap_pc_i64 s[30:31], s[50:51]
	v_mov_b32_e32 v63, v0
                                        ; implicit-def: $vgpr0
                                        ; implicit-def: $vgpr1
.LBB43_53:
	s_and_not1_saveexec_b32 s26, s56
	s_cbranch_execz .LBB43_55
; %bb.54:
	s_swap_pc_i64 s[30:31], s[52:53]
	v_mov_b32_e32 v63, v0
.LBB43_55:
	s_or_b32 exec_lo, exec_lo, s26
	v_lshrrev_b32_e32 v0, 16, v107
	v_cvt_f16_f32_e32 v1, v73
                                        ; implicit-def: $vgpr72
	s_delay_alu instid0(VALU_DEP_2) | instskip(NEXT) | instid1(VALU_DEP_2)
	v_cvt_f32_f16_e32 v0, v0
	v_cvt_f32_f16_e32 v1, v1
	s_and_saveexec_b32 s0, s55
	s_delay_alu instid0(SALU_CYCLE_1)
	s_xor_b32 s56, exec_lo, s0
	s_cbranch_execz .LBB43_57
; %bb.56:
	s_swap_pc_i64 s[30:31], s[50:51]
	v_mov_b32_e32 v72, v0
                                        ; implicit-def: $vgpr0
                                        ; implicit-def: $vgpr1
.LBB43_57:
	s_and_not1_saveexec_b32 s26, s56
	s_cbranch_execz .LBB43_59
; %bb.58:
	s_swap_pc_i64 s[30:31], s[52:53]
	v_mov_b32_e32 v72, v0
.LBB43_59:
	s_or_b32 exec_lo, exec_lo, s26
	s_wait_loadcnt 0x8
	v_cvt_f16_f32_e32 v1, v74
	v_cvt_f32_f16_e32 v0, v106
                                        ; implicit-def: $vgpr73
	s_delay_alu instid0(VALU_DEP_2) | instskip(SKIP_1) | instid1(SALU_CYCLE_1)
	v_cvt_f32_f16_e32 v1, v1
	s_and_saveexec_b32 s0, s55
	s_xor_b32 s56, exec_lo, s0
	s_cbranch_execz .LBB43_61
; %bb.60:
	s_swap_pc_i64 s[30:31], s[50:51]
	v_mov_b32_e32 v73, v0
                                        ; implicit-def: $vgpr0
                                        ; implicit-def: $vgpr1
.LBB43_61:
	s_and_not1_saveexec_b32 s26, s56
	s_cbranch_execz .LBB43_63
; %bb.62:
	s_swap_pc_i64 s[30:31], s[52:53]
	v_mov_b32_e32 v73, v0
.LBB43_63:
	s_or_b32 exec_lo, exec_lo, s26
	v_lshrrev_b32_e32 v0, 16, v106
	v_cvt_f16_f32_e32 v1, v75
                                        ; implicit-def: $vgpr74
	s_delay_alu instid0(VALU_DEP_2) | instskip(NEXT) | instid1(VALU_DEP_2)
	v_cvt_f32_f16_e32 v0, v0
	v_cvt_f32_f16_e32 v1, v1
	s_and_saveexec_b32 s0, s55
	s_delay_alu instid0(SALU_CYCLE_1)
	s_xor_b32 s56, exec_lo, s0
	s_cbranch_execz .LBB43_65
; %bb.64:
	s_swap_pc_i64 s[30:31], s[50:51]
	v_mov_b32_e32 v74, v0
                                        ; implicit-def: $vgpr0
                                        ; implicit-def: $vgpr1
.LBB43_65:
	s_and_not1_saveexec_b32 s26, s56
	s_cbranch_execz .LBB43_67
; %bb.66:
	s_swap_pc_i64 s[30:31], s[52:53]
	v_mov_b32_e32 v74, v0
.LBB43_67:
	s_or_b32 exec_lo, exec_lo, s26
	s_wait_loadcnt 0x7
	v_cvt_f16_f32_e32 v1, v76
	v_cvt_f32_f16_e32 v0, v105
                                        ; implicit-def: $vgpr75
	s_delay_alu instid0(VALU_DEP_2) | instskip(SKIP_1) | instid1(SALU_CYCLE_1)
	v_cvt_f32_f16_e32 v1, v1
	s_and_saveexec_b32 s0, s55
	s_xor_b32 s56, exec_lo, s0
	s_cbranch_execz .LBB43_69
; %bb.68:
	s_swap_pc_i64 s[30:31], s[50:51]
	v_mov_b32_e32 v75, v0
                                        ; implicit-def: $vgpr0
                                        ; implicit-def: $vgpr1
.LBB43_69:
	s_and_not1_saveexec_b32 s26, s56
	s_cbranch_execz .LBB43_71
; %bb.70:
	s_swap_pc_i64 s[30:31], s[52:53]
	v_mov_b32_e32 v75, v0
.LBB43_71:
	s_or_b32 exec_lo, exec_lo, s26
	v_lshrrev_b32_e32 v0, 16, v105
	v_cvt_f16_f32_e32 v1, v77
                                        ; implicit-def: $vgpr76
	s_delay_alu instid0(VALU_DEP_2) | instskip(NEXT) | instid1(VALU_DEP_2)
	v_cvt_f32_f16_e32 v0, v0
	v_cvt_f32_f16_e32 v1, v1
	s_and_saveexec_b32 s0, s55
	s_delay_alu instid0(SALU_CYCLE_1)
	s_xor_b32 s56, exec_lo, s0
	s_cbranch_execz .LBB43_73
; %bb.72:
	s_swap_pc_i64 s[30:31], s[50:51]
	v_mov_b32_e32 v76, v0
                                        ; implicit-def: $vgpr0
                                        ; implicit-def: $vgpr1
.LBB43_73:
	s_and_not1_saveexec_b32 s26, s56
	s_cbranch_execz .LBB43_75
; %bb.74:
	s_swap_pc_i64 s[30:31], s[52:53]
	v_mov_b32_e32 v76, v0
.LBB43_75:
	s_or_b32 exec_lo, exec_lo, s26
	s_wait_loadcnt 0x6
	v_cvt_f16_f32_e32 v1, v78
	v_cvt_f32_f16_e32 v0, v104
                                        ; implicit-def: $vgpr77
	s_delay_alu instid0(VALU_DEP_2) | instskip(SKIP_1) | instid1(SALU_CYCLE_1)
	v_cvt_f32_f16_e32 v1, v1
	s_and_saveexec_b32 s0, s55
	s_xor_b32 s56, exec_lo, s0
	s_cbranch_execz .LBB43_77
; %bb.76:
	s_swap_pc_i64 s[30:31], s[50:51]
	v_mov_b32_e32 v77, v0
                                        ; implicit-def: $vgpr0
                                        ; implicit-def: $vgpr1
.LBB43_77:
	s_and_not1_saveexec_b32 s26, s56
	s_cbranch_execz .LBB43_79
; %bb.78:
	s_swap_pc_i64 s[30:31], s[52:53]
	v_mov_b32_e32 v77, v0
.LBB43_79:
	s_or_b32 exec_lo, exec_lo, s26
	v_lshrrev_b32_e32 v0, 16, v104
	v_cvt_f16_f32_e32 v1, v79
                                        ; implicit-def: $vgpr78
	s_delay_alu instid0(VALU_DEP_2) | instskip(NEXT) | instid1(VALU_DEP_2)
	v_cvt_f32_f16_e32 v0, v0
	v_cvt_f32_f16_e32 v1, v1
	s_and_saveexec_b32 s0, s55
	s_delay_alu instid0(SALU_CYCLE_1)
	s_xor_b32 s56, exec_lo, s0
	s_cbranch_execz .LBB43_81
; %bb.80:
	s_swap_pc_i64 s[30:31], s[50:51]
	v_mov_b32_e32 v78, v0
                                        ; implicit-def: $vgpr0
                                        ; implicit-def: $vgpr1
.LBB43_81:
	s_and_not1_saveexec_b32 s26, s56
	s_cbranch_execz .LBB43_83
; %bb.82:
	s_swap_pc_i64 s[30:31], s[52:53]
	v_mov_b32_e32 v78, v0
.LBB43_83:
	s_or_b32 exec_lo, exec_lo, s26
	s_wait_loadcnt 0x5
	v_cvt_f16_f32_e32 v1, v84
	v_cvt_f32_f16_e32 v0, v103
                                        ; implicit-def: $vgpr79
	s_delay_alu instid0(VALU_DEP_2) | instskip(SKIP_1) | instid1(SALU_CYCLE_1)
	v_cvt_f32_f16_e32 v1, v1
	s_and_saveexec_b32 s0, s55
	s_xor_b32 s56, exec_lo, s0
	s_cbranch_execz .LBB43_85
; %bb.84:
	s_swap_pc_i64 s[30:31], s[50:51]
	v_mov_b32_e32 v79, v0
                                        ; implicit-def: $vgpr0
                                        ; implicit-def: $vgpr1
.LBB43_85:
	s_and_not1_saveexec_b32 s26, s56
	s_cbranch_execz .LBB43_87
; %bb.86:
	s_swap_pc_i64 s[30:31], s[52:53]
	v_mov_b32_e32 v79, v0
.LBB43_87:
	s_or_b32 exec_lo, exec_lo, s26
	v_lshrrev_b32_e32 v0, 16, v103
	v_cvt_f16_f32_e32 v1, v85
                                        ; implicit-def: $vgpr84
	s_delay_alu instid0(VALU_DEP_2) | instskip(NEXT) | instid1(VALU_DEP_2)
	v_cvt_f32_f16_e32 v0, v0
	v_cvt_f32_f16_e32 v1, v1
	s_and_saveexec_b32 s0, s55
	s_delay_alu instid0(SALU_CYCLE_1)
	s_xor_b32 s56, exec_lo, s0
	s_cbranch_execz .LBB43_89
; %bb.88:
	s_swap_pc_i64 s[30:31], s[50:51]
	v_mov_b32_e32 v84, v0
                                        ; implicit-def: $vgpr0
                                        ; implicit-def: $vgpr1
.LBB43_89:
	s_and_not1_saveexec_b32 s26, s56
	s_cbranch_execz .LBB43_91
; %bb.90:
	s_swap_pc_i64 s[30:31], s[52:53]
	v_mov_b32_e32 v84, v0
.LBB43_91:
	s_or_b32 exec_lo, exec_lo, s26
	s_wait_loadcnt 0x4
	v_cvt_f16_f32_e32 v1, v86
	v_cvt_f32_f16_e32 v0, v102
                                        ; implicit-def: $vgpr85
	s_delay_alu instid0(VALU_DEP_2) | instskip(SKIP_1) | instid1(SALU_CYCLE_1)
	v_cvt_f32_f16_e32 v1, v1
	s_and_saveexec_b32 s0, s55
	s_xor_b32 s56, exec_lo, s0
	s_cbranch_execz .LBB43_93
; %bb.92:
	s_swap_pc_i64 s[30:31], s[50:51]
	v_mov_b32_e32 v85, v0
                                        ; implicit-def: $vgpr0
                                        ; implicit-def: $vgpr1
.LBB43_93:
	s_and_not1_saveexec_b32 s26, s56
	s_cbranch_execz .LBB43_95
; %bb.94:
	s_swap_pc_i64 s[30:31], s[52:53]
	v_mov_b32_e32 v85, v0
.LBB43_95:
	s_or_b32 exec_lo, exec_lo, s26
	v_lshrrev_b32_e32 v0, 16, v102
	v_cvt_f16_f32_e32 v1, v87
                                        ; implicit-def: $vgpr86
	s_delay_alu instid0(VALU_DEP_2) | instskip(NEXT) | instid1(VALU_DEP_2)
	v_cvt_f32_f16_e32 v0, v0
	v_cvt_f32_f16_e32 v1, v1
	s_and_saveexec_b32 s0, s55
	s_delay_alu instid0(SALU_CYCLE_1)
	s_xor_b32 s56, exec_lo, s0
	s_cbranch_execz .LBB43_97
; %bb.96:
	s_swap_pc_i64 s[30:31], s[50:51]
	v_mov_b32_e32 v86, v0
                                        ; implicit-def: $vgpr0
                                        ; implicit-def: $vgpr1
.LBB43_97:
	s_and_not1_saveexec_b32 s26, s56
	s_cbranch_execz .LBB43_99
; %bb.98:
	s_swap_pc_i64 s[30:31], s[52:53]
	v_mov_b32_e32 v86, v0
.LBB43_99:
	s_or_b32 exec_lo, exec_lo, s26
	s_wait_loadcnt 0x3
	v_cvt_f16_f32_e32 v1, v88
	v_cvt_f32_f16_e32 v0, v101
                                        ; implicit-def: $vgpr87
	s_delay_alu instid0(VALU_DEP_2) | instskip(SKIP_1) | instid1(SALU_CYCLE_1)
	v_cvt_f32_f16_e32 v1, v1
	s_and_saveexec_b32 s0, s55
	s_xor_b32 s56, exec_lo, s0
	s_cbranch_execz .LBB43_101
; %bb.100:
	s_swap_pc_i64 s[30:31], s[50:51]
	v_mov_b32_e32 v87, v0
                                        ; implicit-def: $vgpr0
                                        ; implicit-def: $vgpr1
.LBB43_101:
	s_and_not1_saveexec_b32 s26, s56
	s_cbranch_execz .LBB43_103
; %bb.102:
	s_swap_pc_i64 s[30:31], s[52:53]
	v_mov_b32_e32 v87, v0
.LBB43_103:
	s_or_b32 exec_lo, exec_lo, s26
	v_lshrrev_b32_e32 v0, 16, v101
	v_cvt_f16_f32_e32 v1, v89
                                        ; implicit-def: $vgpr88
	s_delay_alu instid0(VALU_DEP_2) | instskip(NEXT) | instid1(VALU_DEP_2)
	v_cvt_f32_f16_e32 v0, v0
	v_cvt_f32_f16_e32 v1, v1
	s_and_saveexec_b32 s0, s55
	s_delay_alu instid0(SALU_CYCLE_1)
	s_xor_b32 s56, exec_lo, s0
	s_cbranch_execz .LBB43_105
; %bb.104:
	s_swap_pc_i64 s[30:31], s[50:51]
	v_mov_b32_e32 v88, v0
                                        ; implicit-def: $vgpr0
                                        ; implicit-def: $vgpr1
.LBB43_105:
	s_and_not1_saveexec_b32 s26, s56
	s_cbranch_execz .LBB43_107
; %bb.106:
	s_swap_pc_i64 s[30:31], s[52:53]
	v_mov_b32_e32 v88, v0
.LBB43_107:
	s_or_b32 exec_lo, exec_lo, s26
	s_wait_loadcnt 0x2
	v_cvt_f16_f32_e32 v1, v90
	v_cvt_f32_f16_e32 v0, v100
                                        ; implicit-def: $vgpr89
	s_delay_alu instid0(VALU_DEP_2) | instskip(SKIP_1) | instid1(SALU_CYCLE_1)
	v_cvt_f32_f16_e32 v1, v1
	s_and_saveexec_b32 s0, s55
	s_xor_b32 s56, exec_lo, s0
	s_cbranch_execz .LBB43_109
; %bb.108:
	s_swap_pc_i64 s[30:31], s[50:51]
	v_mov_b32_e32 v89, v0
                                        ; implicit-def: $vgpr0
                                        ; implicit-def: $vgpr1
.LBB43_109:
	s_and_not1_saveexec_b32 s26, s56
	s_cbranch_execz .LBB43_111
; %bb.110:
	s_swap_pc_i64 s[30:31], s[52:53]
	v_mov_b32_e32 v89, v0
.LBB43_111:
	s_or_b32 exec_lo, exec_lo, s26
	v_lshrrev_b32_e32 v0, 16, v100
	v_cvt_f16_f32_e32 v1, v91
                                        ; implicit-def: $vgpr90
	s_delay_alu instid0(VALU_DEP_2) | instskip(NEXT) | instid1(VALU_DEP_2)
	v_cvt_f32_f16_e32 v0, v0
	v_cvt_f32_f16_e32 v1, v1
	s_and_saveexec_b32 s0, s55
	s_delay_alu instid0(SALU_CYCLE_1)
	s_xor_b32 s56, exec_lo, s0
	s_cbranch_execz .LBB43_113
; %bb.112:
	s_swap_pc_i64 s[30:31], s[50:51]
	v_mov_b32_e32 v90, v0
                                        ; implicit-def: $vgpr0
                                        ; implicit-def: $vgpr1
.LBB43_113:
	s_and_not1_saveexec_b32 s26, s56
	s_cbranch_execz .LBB43_115
; %bb.114:
	s_swap_pc_i64 s[30:31], s[52:53]
	v_mov_b32_e32 v90, v0
.LBB43_115:
	s_or_b32 exec_lo, exec_lo, s26
	s_wait_loadcnt 0x1
	v_cvt_f16_f32_e32 v1, v92
	v_cvt_f32_f16_e32 v0, v99
                                        ; implicit-def: $vgpr91
	s_delay_alu instid0(VALU_DEP_2) | instskip(SKIP_1) | instid1(SALU_CYCLE_1)
	v_cvt_f32_f16_e32 v1, v1
	s_and_saveexec_b32 s0, s55
	s_xor_b32 s56, exec_lo, s0
	s_cbranch_execz .LBB43_117
; %bb.116:
	s_swap_pc_i64 s[30:31], s[50:51]
	v_mov_b32_e32 v91, v0
                                        ; implicit-def: $vgpr0
                                        ; implicit-def: $vgpr1
.LBB43_117:
	s_and_not1_saveexec_b32 s26, s56
	s_cbranch_execz .LBB43_119
; %bb.118:
	s_swap_pc_i64 s[30:31], s[52:53]
	v_mov_b32_e32 v91, v0
.LBB43_119:
	s_or_b32 exec_lo, exec_lo, s26
	v_lshrrev_b32_e32 v0, 16, v99
	v_cvt_f16_f32_e32 v1, v93
                                        ; implicit-def: $vgpr92
	s_delay_alu instid0(VALU_DEP_2) | instskip(NEXT) | instid1(VALU_DEP_2)
	v_cvt_f32_f16_e32 v0, v0
	v_cvt_f32_f16_e32 v1, v1
	s_and_saveexec_b32 s0, s55
	s_delay_alu instid0(SALU_CYCLE_1)
	s_xor_b32 s56, exec_lo, s0
	s_cbranch_execz .LBB43_121
; %bb.120:
	s_swap_pc_i64 s[30:31], s[50:51]
	v_mov_b32_e32 v92, v0
                                        ; implicit-def: $vgpr0
                                        ; implicit-def: $vgpr1
.LBB43_121:
	s_and_not1_saveexec_b32 s26, s56
	s_cbranch_execz .LBB43_123
; %bb.122:
	s_swap_pc_i64 s[30:31], s[52:53]
	v_mov_b32_e32 v92, v0
.LBB43_123:
	s_or_b32 exec_lo, exec_lo, s26
	s_wait_loadcnt 0x0
	v_cvt_f16_f32_e32 v1, v94
	v_cvt_f32_f16_e32 v0, v98
                                        ; implicit-def: $vgpr93
	s_delay_alu instid0(VALU_DEP_2) | instskip(SKIP_1) | instid1(SALU_CYCLE_1)
	v_cvt_f32_f16_e32 v1, v1
	s_and_saveexec_b32 s0, s55
	s_xor_b32 s56, exec_lo, s0
	s_cbranch_execz .LBB43_125
; %bb.124:
	s_swap_pc_i64 s[30:31], s[50:51]
	v_mov_b32_e32 v93, v0
                                        ; implicit-def: $vgpr0
                                        ; implicit-def: $vgpr1
.LBB43_125:
	s_and_not1_saveexec_b32 s26, s56
	s_cbranch_execz .LBB43_127
; %bb.126:
	s_swap_pc_i64 s[30:31], s[52:53]
	v_mov_b32_e32 v93, v0
.LBB43_127:
	s_or_b32 exec_lo, exec_lo, s26
	v_lshrrev_b32_e32 v0, 16, v98
	v_cvt_f16_f32_e32 v1, v95
	s_delay_alu instid0(VALU_DEP_2) | instskip(NEXT) | instid1(VALU_DEP_2)
	v_cvt_f32_f16_e32 v2, v0
	v_cvt_f32_f16_e32 v1, v1
                                        ; implicit-def: $vgpr0
	s_and_saveexec_b32 s0, s55
	s_delay_alu instid0(SALU_CYCLE_1)
	s_xor_b32 s55, exec_lo, s0
	s_cbranch_execz .LBB43_129
; %bb.128:
	v_mov_b32_e32 v0, v2
	s_swap_pc_i64 s[30:31], s[50:51]
                                        ; implicit-def: $vgpr2
                                        ; implicit-def: $vgpr1
.LBB43_129:
	s_and_not1_saveexec_b32 s26, s55
	s_cbranch_execz .LBB43_131
; %bb.130:
	v_mov_b32_e32 v0, v2
	s_swap_pc_i64 s[30:31], s[52:53]
.LBB43_131:
	s_or_b32 exec_lo, exec_lo, s26
	v_cvt_pk_f16_f32 v1, v43, v44
	v_cvt_pk_f16_f32 v2, v45, v46
	;; [unrolled: 1-line block ×3, first 2 shown]
	s_add_nc_u64 s[2:3], s[36:37], s[48:49]
	v_cvt_pk_f16_f32 v4, v57, v58
	v_cvt_pk_f16_f32 v5, v59, v60
	;; [unrolled: 1-line block ×5, first 2 shown]
	s_clause 0x7
	global_store_b32 v97, v1, s[2:3] scale_offset
	global_store_b32 v97, v2, s[2:3] offset:2048 scale_offset
	global_store_b32 v97, v3, s[2:3] offset:4096 scale_offset
	;; [unrolled: 1-line block ×7, first 2 shown]
	s_wait_xcnt 0x7
	v_cvt_pk_f16_f32 v1, v75, v76
	s_wait_xcnt 0x6
	v_cvt_pk_f16_f32 v2, v77, v78
	;; [unrolled: 2-line block ×7, first 2 shown]
	v_cvt_pk_f16_f32 v0, v93, v0
	s_clause 0x7
	global_store_b32 v97, v1, s[2:3] offset:16384 scale_offset
	global_store_b32 v97, v2, s[2:3] offset:18432 scale_offset
	;; [unrolled: 1-line block ×8, first 2 shown]
	s_branch .LBB43_2
.LBB43_132:
	s_clause 0x1
	s_load_b32 s6, s[34:35], 0x24
	s_load_b128 s[0:3], s[34:35], 0x28
	ds_load_u8 v0, v96
	v_dual_mov_b32 v31, v42 :: v_dual_mov_b32 v1, s36
	v_dual_mov_b32 v2, s37 :: v_dual_mov_b32 v3, s38
	;; [unrolled: 1-line block ×4, first 2 shown]
	s_add_nc_u64 s[8:9], s[34:35], 56
	s_get_pc_i64 s[4:5]
	s_add_nc_u64 s[4:5], s[4:5], _ZN2at6native25elementwise_kernel_helperILb1EN12_GLOBAL__N_110CalcIgammaIfEENS0_6memory8policies11unroll_baseILi512ESt5arrayIPcLm3EE23TrivialOffsetCalculatorILi2EjESB_ILi1EjENS5_12LoadWithCastILi2EEENS5_13StoreWithCastILi1EEELi32ELi1EEEEEvT0_T1_@rel64+4
	s_wait_kmcnt 0x0
	s_bfe_u32 s7, s6, 0x80008
	v_dual_mov_b32 v8, s6 :: v_dual_mov_b32 v10, s0
	v_dual_mov_b32 v11, s1 :: v_dual_mov_b32 v12, s2
	;; [unrolled: 1-line block ×3, first 2 shown]
	s_swap_pc_i64 s[30:31], s[4:5]
	s_endpgm
	.section	.rodata,"a",@progbits
	.p2align	6, 0x0
	.amdhsa_kernel _ZN2at6native39vectorized_templated_elementwise_kernelILi2EN12_GLOBAL__N_110CalcIgammaIfEESt5arrayIPcLm3EE23TrivialOffsetCalculatorILi2EjES8_ILi1EjENS0_6memory12LoadWithCastILi2EEENSB_13StoreWithCastILi1EEEN3c104HalfEJSH_fEEEviT0_T1_T2_T3_T4_T5_
		.amdhsa_group_segment_fixed_size 1024
		.amdhsa_private_segment_fixed_size 448
		.amdhsa_kernarg_size 312
		.amdhsa_user_sgpr_count 4
		.amdhsa_user_sgpr_dispatch_ptr 1
		.amdhsa_user_sgpr_queue_ptr 0
		.amdhsa_user_sgpr_kernarg_segment_ptr 1
		.amdhsa_user_sgpr_dispatch_id 0
		.amdhsa_user_sgpr_kernarg_preload_length 0
		.amdhsa_user_sgpr_kernarg_preload_offset 0
		.amdhsa_user_sgpr_private_segment_size 0
		.amdhsa_wavefront_size32 1
		.amdhsa_uses_dynamic_stack 0
		.amdhsa_enable_private_segment 1
		.amdhsa_system_sgpr_workgroup_id_x 1
		.amdhsa_system_sgpr_workgroup_id_y 0
		.amdhsa_system_sgpr_workgroup_id_z 0
		.amdhsa_system_sgpr_workgroup_info 0
		.amdhsa_system_vgpr_workitem_id 2
		.amdhsa_next_free_vgpr 214
		.amdhsa_next_free_sgpr 96
		.amdhsa_named_barrier_count 0
		.amdhsa_reserve_vcc 1
		.amdhsa_float_round_mode_32 0
		.amdhsa_float_round_mode_16_64 0
		.amdhsa_float_denorm_mode_32 3
		.amdhsa_float_denorm_mode_16_64 3
		.amdhsa_fp16_overflow 0
		.amdhsa_memory_ordered 1
		.amdhsa_forward_progress 1
		.amdhsa_inst_pref_size 25
		.amdhsa_round_robin_scheduling 0
		.amdhsa_exception_fp_ieee_invalid_op 0
		.amdhsa_exception_fp_denorm_src 0
		.amdhsa_exception_fp_ieee_div_zero 0
		.amdhsa_exception_fp_ieee_overflow 0
		.amdhsa_exception_fp_ieee_underflow 0
		.amdhsa_exception_fp_ieee_inexact 0
		.amdhsa_exception_int_div_zero 0
	.end_amdhsa_kernel
	.section	.text._ZN2at6native39vectorized_templated_elementwise_kernelILi2EN12_GLOBAL__N_110CalcIgammaIfEESt5arrayIPcLm3EE23TrivialOffsetCalculatorILi2EjES8_ILi1EjENS0_6memory12LoadWithCastILi2EEENSB_13StoreWithCastILi1EEEN3c104HalfEJSH_fEEEviT0_T1_T2_T3_T4_T5_,"axG",@progbits,_ZN2at6native39vectorized_templated_elementwise_kernelILi2EN12_GLOBAL__N_110CalcIgammaIfEESt5arrayIPcLm3EE23TrivialOffsetCalculatorILi2EjES8_ILi1EjENS0_6memory12LoadWithCastILi2EEENSB_13StoreWithCastILi1EEEN3c104HalfEJSH_fEEEviT0_T1_T2_T3_T4_T5_,comdat
.Lfunc_end43:
	.size	_ZN2at6native39vectorized_templated_elementwise_kernelILi2EN12_GLOBAL__N_110CalcIgammaIfEESt5arrayIPcLm3EE23TrivialOffsetCalculatorILi2EjES8_ILi1EjENS0_6memory12LoadWithCastILi2EEENSB_13StoreWithCastILi1EEEN3c104HalfEJSH_fEEEviT0_T1_T2_T3_T4_T5_, .Lfunc_end43-_ZN2at6native39vectorized_templated_elementwise_kernelILi2EN12_GLOBAL__N_110CalcIgammaIfEESt5arrayIPcLm3EE23TrivialOffsetCalculatorILi2EjES8_ILi1EjENS0_6memory12LoadWithCastILi2EEENSB_13StoreWithCastILi1EEEN3c104HalfEJSH_fEEEviT0_T1_T2_T3_T4_T5_
                                        ; -- End function
	.set _ZN2at6native39vectorized_templated_elementwise_kernelILi2EN12_GLOBAL__N_110CalcIgammaIfEESt5arrayIPcLm3EE23TrivialOffsetCalculatorILi2EjES8_ILi1EjENS0_6memory12LoadWithCastILi2EEENSB_13StoreWithCastILi1EEEN3c104HalfEJSH_fEEEviT0_T1_T2_T3_T4_T5_.num_vgpr, max(114, .L_ZN12_GLOBAL__N_111calc_igammaIfEET_S1_S1_.num_vgpr, .L_ZN12_GLOBAL__N_112calc_igammacIfEET_S1_S1_.num_vgpr, .L_ZN2at6native25elementwise_kernel_helperILb1EN12_GLOBAL__N_110CalcIgammaIfEENS0_6memory8policies11unroll_baseILi512ESt5arrayIPcLm3EE23TrivialOffsetCalculatorILi2EjESB_ILi1EjENS5_12LoadWithCastILi2EEENS5_13StoreWithCastILi1EEELi32ELi1EEEEEvT0_T1_.num_vgpr)
	.set _ZN2at6native39vectorized_templated_elementwise_kernelILi2EN12_GLOBAL__N_110CalcIgammaIfEESt5arrayIPcLm3EE23TrivialOffsetCalculatorILi2EjES8_ILi1EjENS0_6memory12LoadWithCastILi2EEENSB_13StoreWithCastILi1EEEN3c104HalfEJSH_fEEEviT0_T1_T2_T3_T4_T5_.num_agpr, max(0, .L_ZN12_GLOBAL__N_111calc_igammaIfEET_S1_S1_.num_agpr, .L_ZN12_GLOBAL__N_112calc_igammacIfEET_S1_S1_.num_agpr, .L_ZN2at6native25elementwise_kernel_helperILb1EN12_GLOBAL__N_110CalcIgammaIfEENS0_6memory8policies11unroll_baseILi512ESt5arrayIPcLm3EE23TrivialOffsetCalculatorILi2EjESB_ILi1EjENS5_12LoadWithCastILi2EEENS5_13StoreWithCastILi1EEELi32ELi1EEEEEvT0_T1_.num_agpr)
	.set _ZN2at6native39vectorized_templated_elementwise_kernelILi2EN12_GLOBAL__N_110CalcIgammaIfEESt5arrayIPcLm3EE23TrivialOffsetCalculatorILi2EjES8_ILi1EjENS0_6memory12LoadWithCastILi2EEENSB_13StoreWithCastILi1EEEN3c104HalfEJSH_fEEEviT0_T1_T2_T3_T4_T5_.numbered_sgpr, max(57, .L_ZN12_GLOBAL__N_111calc_igammaIfEET_S1_S1_.numbered_sgpr, .L_ZN12_GLOBAL__N_112calc_igammacIfEET_S1_S1_.numbered_sgpr, .L_ZN2at6native25elementwise_kernel_helperILb1EN12_GLOBAL__N_110CalcIgammaIfEENS0_6memory8policies11unroll_baseILi512ESt5arrayIPcLm3EE23TrivialOffsetCalculatorILi2EjESB_ILi1EjENS5_12LoadWithCastILi2EEENS5_13StoreWithCastILi1EEELi32ELi1EEEEEvT0_T1_.numbered_sgpr)
	.set _ZN2at6native39vectorized_templated_elementwise_kernelILi2EN12_GLOBAL__N_110CalcIgammaIfEESt5arrayIPcLm3EE23TrivialOffsetCalculatorILi2EjES8_ILi1EjENS0_6memory12LoadWithCastILi2EEENSB_13StoreWithCastILi1EEEN3c104HalfEJSH_fEEEviT0_T1_T2_T3_T4_T5_.num_named_barrier, max(0, .L_ZN12_GLOBAL__N_111calc_igammaIfEET_S1_S1_.num_named_barrier, .L_ZN12_GLOBAL__N_112calc_igammacIfEET_S1_S1_.num_named_barrier, .L_ZN2at6native25elementwise_kernel_helperILb1EN12_GLOBAL__N_110CalcIgammaIfEENS0_6memory8policies11unroll_baseILi512ESt5arrayIPcLm3EE23TrivialOffsetCalculatorILi2EjESB_ILi1EjENS5_12LoadWithCastILi2EEENS5_13StoreWithCastILi1EEELi32ELi1EEEEEvT0_T1_.num_named_barrier)
	.set _ZN2at6native39vectorized_templated_elementwise_kernelILi2EN12_GLOBAL__N_110CalcIgammaIfEESt5arrayIPcLm3EE23TrivialOffsetCalculatorILi2EjES8_ILi1EjENS0_6memory12LoadWithCastILi2EEENSB_13StoreWithCastILi1EEEN3c104HalfEJSH_fEEEviT0_T1_T2_T3_T4_T5_.private_seg_size, 0+max(.L_ZN12_GLOBAL__N_111calc_igammaIfEET_S1_S1_.private_seg_size, .L_ZN12_GLOBAL__N_112calc_igammacIfEET_S1_S1_.private_seg_size, .L_ZN2at6native25elementwise_kernel_helperILb1EN12_GLOBAL__N_110CalcIgammaIfEENS0_6memory8policies11unroll_baseILi512ESt5arrayIPcLm3EE23TrivialOffsetCalculatorILi2EjESB_ILi1EjENS5_12LoadWithCastILi2EEENS5_13StoreWithCastILi1EEELi32ELi1EEEEEvT0_T1_.private_seg_size)
	.set _ZN2at6native39vectorized_templated_elementwise_kernelILi2EN12_GLOBAL__N_110CalcIgammaIfEESt5arrayIPcLm3EE23TrivialOffsetCalculatorILi2EjES8_ILi1EjENS0_6memory12LoadWithCastILi2EEENSB_13StoreWithCastILi1EEEN3c104HalfEJSH_fEEEviT0_T1_T2_T3_T4_T5_.uses_vcc, or(1, .L_ZN12_GLOBAL__N_111calc_igammaIfEET_S1_S1_.uses_vcc, .L_ZN12_GLOBAL__N_112calc_igammacIfEET_S1_S1_.uses_vcc, .L_ZN2at6native25elementwise_kernel_helperILb1EN12_GLOBAL__N_110CalcIgammaIfEENS0_6memory8policies11unroll_baseILi512ESt5arrayIPcLm3EE23TrivialOffsetCalculatorILi2EjESB_ILi1EjENS5_12LoadWithCastILi2EEENS5_13StoreWithCastILi1EEELi32ELi1EEEEEvT0_T1_.uses_vcc)
	.set _ZN2at6native39vectorized_templated_elementwise_kernelILi2EN12_GLOBAL__N_110CalcIgammaIfEESt5arrayIPcLm3EE23TrivialOffsetCalculatorILi2EjES8_ILi1EjENS0_6memory12LoadWithCastILi2EEENSB_13StoreWithCastILi1EEEN3c104HalfEJSH_fEEEviT0_T1_T2_T3_T4_T5_.uses_flat_scratch, or(0, .L_ZN12_GLOBAL__N_111calc_igammaIfEET_S1_S1_.uses_flat_scratch, .L_ZN12_GLOBAL__N_112calc_igammacIfEET_S1_S1_.uses_flat_scratch, .L_ZN2at6native25elementwise_kernel_helperILb1EN12_GLOBAL__N_110CalcIgammaIfEENS0_6memory8policies11unroll_baseILi512ESt5arrayIPcLm3EE23TrivialOffsetCalculatorILi2EjESB_ILi1EjENS5_12LoadWithCastILi2EEENS5_13StoreWithCastILi1EEELi32ELi1EEEEEvT0_T1_.uses_flat_scratch)
	.set _ZN2at6native39vectorized_templated_elementwise_kernelILi2EN12_GLOBAL__N_110CalcIgammaIfEESt5arrayIPcLm3EE23TrivialOffsetCalculatorILi2EjES8_ILi1EjENS0_6memory12LoadWithCastILi2EEENSB_13StoreWithCastILi1EEEN3c104HalfEJSH_fEEEviT0_T1_T2_T3_T4_T5_.has_dyn_sized_stack, or(0, .L_ZN12_GLOBAL__N_111calc_igammaIfEET_S1_S1_.has_dyn_sized_stack, .L_ZN12_GLOBAL__N_112calc_igammacIfEET_S1_S1_.has_dyn_sized_stack, .L_ZN2at6native25elementwise_kernel_helperILb1EN12_GLOBAL__N_110CalcIgammaIfEENS0_6memory8policies11unroll_baseILi512ESt5arrayIPcLm3EE23TrivialOffsetCalculatorILi2EjESB_ILi1EjENS5_12LoadWithCastILi2EEENS5_13StoreWithCastILi1EEELi32ELi1EEEEEvT0_T1_.has_dyn_sized_stack)
	.set _ZN2at6native39vectorized_templated_elementwise_kernelILi2EN12_GLOBAL__N_110CalcIgammaIfEESt5arrayIPcLm3EE23TrivialOffsetCalculatorILi2EjES8_ILi1EjENS0_6memory12LoadWithCastILi2EEENSB_13StoreWithCastILi1EEEN3c104HalfEJSH_fEEEviT0_T1_T2_T3_T4_T5_.has_recursion, or(0, .L_ZN12_GLOBAL__N_111calc_igammaIfEET_S1_S1_.has_recursion, .L_ZN12_GLOBAL__N_112calc_igammacIfEET_S1_S1_.has_recursion, .L_ZN2at6native25elementwise_kernel_helperILb1EN12_GLOBAL__N_110CalcIgammaIfEENS0_6memory8policies11unroll_baseILi512ESt5arrayIPcLm3EE23TrivialOffsetCalculatorILi2EjESB_ILi1EjENS5_12LoadWithCastILi2EEENS5_13StoreWithCastILi1EEELi32ELi1EEEEEvT0_T1_.has_recursion)
	.set _ZN2at6native39vectorized_templated_elementwise_kernelILi2EN12_GLOBAL__N_110CalcIgammaIfEESt5arrayIPcLm3EE23TrivialOffsetCalculatorILi2EjES8_ILi1EjENS0_6memory12LoadWithCastILi2EEENSB_13StoreWithCastILi1EEEN3c104HalfEJSH_fEEEviT0_T1_T2_T3_T4_T5_.has_indirect_call, or(0, .L_ZN12_GLOBAL__N_111calc_igammaIfEET_S1_S1_.has_indirect_call, .L_ZN12_GLOBAL__N_112calc_igammacIfEET_S1_S1_.has_indirect_call, .L_ZN2at6native25elementwise_kernel_helperILb1EN12_GLOBAL__N_110CalcIgammaIfEENS0_6memory8policies11unroll_baseILi512ESt5arrayIPcLm3EE23TrivialOffsetCalculatorILi2EjESB_ILi1EjENS5_12LoadWithCastILi2EEENS5_13StoreWithCastILi1EEELi32ELi1EEEEEvT0_T1_.has_indirect_call)
	.section	.AMDGPU.csdata,"",@progbits
; Kernel info:
; codeLenInByte = 3196
; TotalNumSgprs: 98
; NumVgprs: 214
; ScratchSize: 448
; MemoryBound: 0
; FloatMode: 240
; IeeeMode: 1
; LDSByteSize: 1024 bytes/workgroup (compile time only)
; SGPRBlocks: 0
; VGPRBlocks: 13
; NumSGPRsForWavesPerEU: 98
; NumVGPRsForWavesPerEU: 214
; NamedBarCnt: 0
; Occupancy: 4
; WaveLimiterHint : 0
; COMPUTE_PGM_RSRC2:SCRATCH_EN: 1
; COMPUTE_PGM_RSRC2:USER_SGPR: 4
; COMPUTE_PGM_RSRC2:TRAP_HANDLER: 0
; COMPUTE_PGM_RSRC2:TGID_X_EN: 1
; COMPUTE_PGM_RSRC2:TGID_Y_EN: 0
; COMPUTE_PGM_RSRC2:TGID_Z_EN: 0
; COMPUTE_PGM_RSRC2:TIDIG_COMP_CNT: 2
	.section	.text._ZN2at6native32elementwise_kernel_manual_unrollILi128ELi4EZNS0_15gpu_kernel_implIN12_GLOBAL__N_110CalcIgammaIfEEEEvRNS_18TensorIteratorBaseERKT_EUlibE_EEviT1_,"axG",@progbits,_ZN2at6native32elementwise_kernel_manual_unrollILi128ELi4EZNS0_15gpu_kernel_implIN12_GLOBAL__N_110CalcIgammaIfEEEEvRNS_18TensorIteratorBaseERKT_EUlibE_EEviT1_,comdat
	.globl	_ZN2at6native32elementwise_kernel_manual_unrollILi128ELi4EZNS0_15gpu_kernel_implIN12_GLOBAL__N_110CalcIgammaIfEEEEvRNS_18TensorIteratorBaseERKT_EUlibE_EEviT1_ ; -- Begin function _ZN2at6native32elementwise_kernel_manual_unrollILi128ELi4EZNS0_15gpu_kernel_implIN12_GLOBAL__N_110CalcIgammaIfEEEEvRNS_18TensorIteratorBaseERKT_EUlibE_EEviT1_
	.p2align	8
	.type	_ZN2at6native32elementwise_kernel_manual_unrollILi128ELi4EZNS0_15gpu_kernel_implIN12_GLOBAL__N_110CalcIgammaIfEEEEvRNS_18TensorIteratorBaseERKT_EUlibE_EEviT1_,@function
_ZN2at6native32elementwise_kernel_manual_unrollILi128ELi4EZNS0_15gpu_kernel_implIN12_GLOBAL__N_110CalcIgammaIfEEEEvRNS_18TensorIteratorBaseERKT_EUlibE_EEviT1_: ; @_ZN2at6native32elementwise_kernel_manual_unrollILi128ELi4EZNS0_15gpu_kernel_implIN12_GLOBAL__N_110CalcIgammaIfEEEEvRNS_18TensorIteratorBaseERKT_EUlibE_EEviT1_
; %bb.0:
	s_clause 0x1
	s_load_b128 s[48:51], s[0:1], 0x20
	s_load_b64 s[34:35], s[0:1], 0x18
	s_bfe_u32 s3, ttmp6, 0x4000c
	s_clause 0x1
	s_load_b32 s56, s[0:1], 0x0
	s_load_b128 s[36:39], s[0:1], 0x8
	s_add_co_i32 s3, s3, 1
	s_and_b32 s2, ttmp6, 15
	s_wait_xcnt 0x0
	s_mul_i32 s0, ttmp9, s3
	s_getreg_b32 s4, hwreg(HW_REG_IB_STS2, 6, 4)
	s_add_co_i32 s2, s2, s0
	s_mov_b32 s52, 0
	s_mov_b32 s55, 0
	;; [unrolled: 1-line block ×3, first 2 shown]
	s_wait_kmcnt 0x0
	s_lshr_b32 s53, s51, 16
	s_lshr_b32 s46, s51, 8
	;; [unrolled: 1-line block ×3, first 2 shown]
	s_cmp_eq_u32 s4, 0
	s_cselect_b32 s0, ttmp9, s2
	s_delay_alu instid0(SALU_CYCLE_1) | instskip(SKIP_1) | instid1(VALU_DEP_1)
	v_lshl_or_b32 v60, s0, 9, v0
	s_mov_b32 s0, exec_lo
	v_or_b32_e32 v0, 0x180, v60
	s_delay_alu instid0(VALU_DEP_1)
	v_cmpx_le_i32_e64 s56, v0
	s_xor_b32 s54, exec_lo, s0
	s_cbranch_execz .LBB44_1565
; %bb.1:
	s_bitcmp1_b32 s51, 0
	s_mov_b32 s2, -1
	s_cselect_b32 s0, -1, 0
	s_mov_b32 s61, 0
	s_xor_b32 s55, s0, -1
	s_mov_b32 s59, 0
	s_mov_b32 s58, 0
	;; [unrolled: 1-line block ×3, first 2 shown]
	s_mov_b32 s60, exec_lo
	v_cmpx_gt_i32_e64 s56, v60
	s_cbranch_execz .LBB44_386
; %bb.2:
	v_mul_lo_u32 v0, v60, s49
	s_and_b32 s0, s53, 0xff
	s_delay_alu instid0(SALU_CYCLE_1) | instskip(NEXT) | instid1(VALU_DEP_1)
	s_cmp_lt_i32 s0, 11
	v_ashrrev_i32_e32 v1, 31, v0
	s_delay_alu instid0(VALU_DEP_1)
	v_add_nc_u64_e32 v[0:1], s[38:39], v[0:1]
	s_cbranch_scc1 .LBB44_9
; %bb.3:
	s_and_b32 s1, 0xffff, s0
	s_delay_alu instid0(SALU_CYCLE_1)
	s_cmp_gt_i32 s1, 25
	s_cbranch_scc0 .LBB44_11
; %bb.4:
	s_cmp_gt_i32 s1, 28
	s_cbranch_scc0 .LBB44_12
; %bb.5:
	s_cmp_gt_i32 s1, 43
	s_cbranch_scc0 .LBB44_13
; %bb.6:
	s_cmp_gt_i32 s1, 45
	s_cbranch_scc0 .LBB44_14
; %bb.7:
	s_cmp_eq_u32 s1, 46
	s_mov_b32 s3, 0
	s_cbranch_scc0 .LBB44_15
; %bb.8:
	global_load_b32 v2, v[0:1], off
	s_wait_loadcnt 0x0
	v_lshlrev_b32_e32 v40, 16, v2
	s_branch .LBB44_17
.LBB44_9:
	s_mov_b32 s2, 0
                                        ; implicit-def: $vgpr40
	s_cbranch_execnz .LBB44_81
.LBB44_10:
	s_and_not1_b32 vcc_lo, exec_lo, s2
	s_cbranch_vccz .LBB44_128
	s_branch .LBB44_383
.LBB44_11:
	s_mov_b32 s2, 0
                                        ; implicit-def: $vgpr40
	s_cbranch_execnz .LBB44_46
	s_branch .LBB44_80
.LBB44_12:
	s_mov_b32 s3, -1
	s_mov_b32 s2, 0
                                        ; implicit-def: $vgpr40
	s_branch .LBB44_27
.LBB44_13:
	s_mov_b32 s3, -1
	s_mov_b32 s2, 0
                                        ; implicit-def: $vgpr40
	s_branch .LBB44_22
.LBB44_14:
	s_mov_b32 s3, -1
	s_branch .LBB44_16
.LBB44_15:
	s_mov_b32 s59, -1
.LBB44_16:
	s_mov_b32 s2, 0
                                        ; implicit-def: $vgpr40
.LBB44_17:
	s_and_b32 vcc_lo, exec_lo, s3
	s_cbranch_vccz .LBB44_21
; %bb.18:
	s_cmp_eq_u32 s1, 44
	s_cbranch_scc0 .LBB44_20
; %bb.19:
	global_load_u8 v2, v[0:1], off
	s_mov_b32 s59, 0
	s_mov_b32 s2, -1
	s_wait_loadcnt 0x0
	v_lshlrev_b32_e32 v3, 23, v2
	v_cmp_ne_u32_e32 vcc_lo, 0xff, v2
	s_delay_alu instid0(VALU_DEP_2) | instskip(SKIP_1) | instid1(VALU_DEP_2)
	v_cndmask_b32_e32 v3, 0x7f800001, v3, vcc_lo
	v_cmp_ne_u32_e32 vcc_lo, 0, v2
	v_cndmask_b32_e32 v40, 0x400000, v3, vcc_lo
	s_branch .LBB44_21
.LBB44_20:
	s_mov_b32 s59, -1
                                        ; implicit-def: $vgpr40
.LBB44_21:
	s_mov_b32 s3, 0
.LBB44_22:
	s_delay_alu instid0(SALU_CYCLE_1)
	s_and_b32 vcc_lo, exec_lo, s3
	s_cbranch_vccz .LBB44_26
; %bb.23:
	s_cmp_eq_u32 s1, 29
	s_cbranch_scc0 .LBB44_25
; %bb.24:
	global_load_b64 v[2:3], v[0:1], off
	s_mov_b32 s2, -1
	s_mov_b32 s59, 0
	s_mov_b32 s3, 0
	s_wait_loadcnt 0x0
	v_clz_i32_u32_e32 v4, v3
	s_delay_alu instid0(VALU_DEP_1) | instskip(NEXT) | instid1(VALU_DEP_1)
	v_min_u32_e32 v4, 32, v4
	v_lshlrev_b64_e32 v[2:3], v4, v[2:3]
	s_delay_alu instid0(VALU_DEP_1) | instskip(NEXT) | instid1(VALU_DEP_1)
	v_min_u32_e32 v2, 1, v2
	v_dual_sub_nc_u32 v3, 32, v4 :: v_dual_bitop2_b32 v2, v3, v2 bitop3:0x54
	s_delay_alu instid0(VALU_DEP_1) | instskip(NEXT) | instid1(VALU_DEP_1)
	v_cvt_f32_u32_e32 v2, v2
	v_ldexp_f32 v40, v2, v3
	s_branch .LBB44_27
.LBB44_25:
	s_mov_b32 s59, -1
                                        ; implicit-def: $vgpr40
.LBB44_26:
	s_mov_b32 s3, 0
.LBB44_27:
	s_delay_alu instid0(SALU_CYCLE_1)
	s_and_b32 vcc_lo, exec_lo, s3
	s_cbranch_vccz .LBB44_45
; %bb.28:
	s_cmp_lt_i32 s1, 27
	s_cbranch_scc1 .LBB44_31
; %bb.29:
	s_cmp_gt_i32 s1, 27
	s_cbranch_scc0 .LBB44_32
; %bb.30:
	global_load_b32 v2, v[0:1], off
	s_mov_b32 s2, 0
	s_wait_loadcnt 0x0
	v_cvt_f32_u32_e32 v40, v2
	s_branch .LBB44_33
.LBB44_31:
	s_mov_b32 s2, -1
                                        ; implicit-def: $vgpr40
	s_branch .LBB44_36
.LBB44_32:
	s_mov_b32 s2, -1
                                        ; implicit-def: $vgpr40
.LBB44_33:
	s_delay_alu instid0(SALU_CYCLE_1)
	s_and_not1_b32 vcc_lo, exec_lo, s2
	s_cbranch_vccnz .LBB44_35
; %bb.34:
	global_load_u16 v2, v[0:1], off
	s_wait_loadcnt 0x0
	v_cvt_f32_u32_e32 v40, v2
.LBB44_35:
	s_mov_b32 s2, 0
.LBB44_36:
	s_delay_alu instid0(SALU_CYCLE_1)
	s_and_not1_b32 vcc_lo, exec_lo, s2
	s_cbranch_vccnz .LBB44_44
; %bb.37:
	global_load_u8 v2, v[0:1], off
	s_mov_b32 s2, 0
	s_mov_b32 s3, exec_lo
	s_wait_loadcnt 0x0
	v_cmpx_lt_i16_e32 0x7f, v2
	s_xor_b32 s3, exec_lo, s3
	s_cbranch_execz .LBB44_57
; %bb.38:
	s_mov_b32 s2, -1
	s_mov_b32 s4, exec_lo
	v_cmpx_eq_u16_e32 0x80, v2
; %bb.39:
	s_xor_b32 s2, exec_lo, -1
; %bb.40:
	s_or_b32 exec_lo, exec_lo, s4
	s_delay_alu instid0(SALU_CYCLE_1)
	s_and_b32 s2, s2, exec_lo
	s_or_saveexec_b32 s3, s3
	v_mov_b32_e32 v40, 0x7f800001
	s_xor_b32 exec_lo, exec_lo, s3
	s_cbranch_execnz .LBB44_58
.LBB44_41:
	s_or_b32 exec_lo, exec_lo, s3
	s_and_saveexec_b32 s3, s2
	s_cbranch_execz .LBB44_43
.LBB44_42:
	v_and_b32_e32 v3, 0xffff, v2
	s_delay_alu instid0(VALU_DEP_1) | instskip(SKIP_1) | instid1(VALU_DEP_2)
	v_and_b32_e32 v4, 7, v3
	v_bfe_u32 v7, v3, 3, 4
	v_clz_i32_u32_e32 v5, v4
	s_delay_alu instid0(VALU_DEP_2) | instskip(NEXT) | instid1(VALU_DEP_2)
	v_cmp_eq_u32_e32 vcc_lo, 0, v7
	v_min_u32_e32 v5, 32, v5
	s_delay_alu instid0(VALU_DEP_1) | instskip(NEXT) | instid1(VALU_DEP_1)
	v_subrev_nc_u32_e32 v6, 28, v5
	v_dual_lshlrev_b32 v3, v6, v3 :: v_dual_sub_nc_u32 v5, 29, v5
	s_delay_alu instid0(VALU_DEP_1) | instskip(NEXT) | instid1(VALU_DEP_1)
	v_dual_lshlrev_b32 v2, 24, v2 :: v_dual_bitop2_b32 v3, 7, v3 bitop3:0x40
	v_dual_cndmask_b32 v5, v7, v5, vcc_lo :: v_dual_cndmask_b32 v3, v4, v3, vcc_lo
	s_delay_alu instid0(VALU_DEP_2) | instskip(NEXT) | instid1(VALU_DEP_2)
	v_and_b32_e32 v2, 0x80000000, v2
	v_lshl_add_u32 v4, v5, 23, 0x3b800000
	s_delay_alu instid0(VALU_DEP_3) | instskip(NEXT) | instid1(VALU_DEP_1)
	v_lshlrev_b32_e32 v3, 20, v3
	v_or3_b32 v40, v2, v4, v3
.LBB44_43:
	s_or_b32 exec_lo, exec_lo, s3
.LBB44_44:
	s_mov_b32 s2, -1
.LBB44_45:
	s_branch .LBB44_80
.LBB44_46:
	s_cmp_gt_i32 s1, 22
	s_cbranch_scc0 .LBB44_56
; %bb.47:
	s_cmp_lt_i32 s1, 24
	s_cbranch_scc1 .LBB44_59
; %bb.48:
	s_cmp_gt_i32 s1, 24
	s_cbranch_scc0 .LBB44_60
; %bb.49:
	global_load_u8 v2, v[0:1], off
	s_mov_b32 s2, 0
	s_mov_b32 s3, exec_lo
	s_wait_loadcnt 0x0
	v_cmpx_lt_i16_e32 0x7f, v2
	s_xor_b32 s3, exec_lo, s3
	s_cbranch_execz .LBB44_72
; %bb.50:
	s_mov_b32 s2, -1
	s_mov_b32 s4, exec_lo
	v_cmpx_eq_u16_e32 0x80, v2
; %bb.51:
	s_xor_b32 s2, exec_lo, -1
; %bb.52:
	s_or_b32 exec_lo, exec_lo, s4
	s_delay_alu instid0(SALU_CYCLE_1)
	s_and_b32 s2, s2, exec_lo
	s_or_saveexec_b32 s3, s3
	v_mov_b32_e32 v40, 0x7f800001
	s_xor_b32 exec_lo, exec_lo, s3
	s_cbranch_execnz .LBB44_73
.LBB44_53:
	s_or_b32 exec_lo, exec_lo, s3
	s_and_saveexec_b32 s3, s2
	s_cbranch_execz .LBB44_55
.LBB44_54:
	v_and_b32_e32 v3, 0xffff, v2
	s_delay_alu instid0(VALU_DEP_1) | instskip(SKIP_1) | instid1(VALU_DEP_2)
	v_and_b32_e32 v4, 3, v3
	v_bfe_u32 v7, v3, 2, 5
	v_clz_i32_u32_e32 v5, v4
	s_delay_alu instid0(VALU_DEP_2) | instskip(NEXT) | instid1(VALU_DEP_2)
	v_cmp_eq_u32_e32 vcc_lo, 0, v7
	v_min_u32_e32 v5, 32, v5
	s_delay_alu instid0(VALU_DEP_1) | instskip(NEXT) | instid1(VALU_DEP_1)
	v_subrev_nc_u32_e32 v6, 29, v5
	v_dual_lshlrev_b32 v3, v6, v3 :: v_dual_sub_nc_u32 v5, 30, v5
	s_delay_alu instid0(VALU_DEP_1) | instskip(NEXT) | instid1(VALU_DEP_1)
	v_dual_lshlrev_b32 v2, 24, v2 :: v_dual_bitop2_b32 v3, 3, v3 bitop3:0x40
	v_dual_cndmask_b32 v5, v7, v5, vcc_lo :: v_dual_cndmask_b32 v3, v4, v3, vcc_lo
	s_delay_alu instid0(VALU_DEP_2) | instskip(NEXT) | instid1(VALU_DEP_2)
	v_and_b32_e32 v2, 0x80000000, v2
	v_lshl_add_u32 v4, v5, 23, 0x37800000
	s_delay_alu instid0(VALU_DEP_3) | instskip(NEXT) | instid1(VALU_DEP_1)
	v_lshlrev_b32_e32 v3, 21, v3
	v_or3_b32 v40, v2, v4, v3
.LBB44_55:
	s_or_b32 exec_lo, exec_lo, s3
	s_mov_b32 s2, 0
	s_branch .LBB44_61
.LBB44_56:
	s_mov_b32 s3, -1
                                        ; implicit-def: $vgpr40
	s_branch .LBB44_67
.LBB44_57:
	s_or_saveexec_b32 s3, s3
	v_mov_b32_e32 v40, 0x7f800001
	s_xor_b32 exec_lo, exec_lo, s3
	s_cbranch_execz .LBB44_41
.LBB44_58:
	v_cmp_ne_u16_e32 vcc_lo, 0, v2
	v_mov_b32_e32 v40, 0
	s_and_not1_b32 s2, s2, exec_lo
	s_and_b32 s4, vcc_lo, exec_lo
	s_delay_alu instid0(SALU_CYCLE_1)
	s_or_b32 s2, s2, s4
	s_or_b32 exec_lo, exec_lo, s3
	s_and_saveexec_b32 s3, s2
	s_cbranch_execnz .LBB44_42
	s_branch .LBB44_43
.LBB44_59:
	s_mov_b32 s2, -1
                                        ; implicit-def: $vgpr40
	s_branch .LBB44_64
.LBB44_60:
	s_mov_b32 s2, -1
                                        ; implicit-def: $vgpr40
.LBB44_61:
	s_delay_alu instid0(SALU_CYCLE_1)
	s_and_b32 vcc_lo, exec_lo, s2
	s_cbranch_vccz .LBB44_63
; %bb.62:
	global_load_u8 v2, v[0:1], off
	s_wait_loadcnt 0x0
	v_lshlrev_b32_e32 v2, 24, v2
	s_delay_alu instid0(VALU_DEP_1) | instskip(NEXT) | instid1(VALU_DEP_1)
	v_and_b32_e32 v3, 0x7f000000, v2
	v_clz_i32_u32_e32 v4, v3
	v_cmp_ne_u32_e32 vcc_lo, 0, v3
	v_add_nc_u32_e32 v6, 0x1000000, v3
	s_delay_alu instid0(VALU_DEP_3) | instskip(NEXT) | instid1(VALU_DEP_1)
	v_min_u32_e32 v4, 32, v4
	v_sub_nc_u32_e64 v4, v4, 4 clamp
	s_delay_alu instid0(VALU_DEP_1) | instskip(NEXT) | instid1(VALU_DEP_1)
	v_dual_lshlrev_b32 v5, v4, v3 :: v_dual_lshlrev_b32 v4, 23, v4
	v_lshrrev_b32_e32 v5, 4, v5
	s_delay_alu instid0(VALU_DEP_1) | instskip(NEXT) | instid1(VALU_DEP_1)
	v_dual_sub_nc_u32 v4, v5, v4 :: v_dual_ashrrev_i32 v5, 8, v6
	v_add_nc_u32_e32 v4, 0x3c000000, v4
	s_delay_alu instid0(VALU_DEP_1) | instskip(NEXT) | instid1(VALU_DEP_1)
	v_and_or_b32 v4, 0x7f800000, v5, v4
	v_cndmask_b32_e32 v3, 0, v4, vcc_lo
	s_delay_alu instid0(VALU_DEP_1)
	v_and_or_b32 v40, 0x80000000, v2, v3
.LBB44_63:
	s_mov_b32 s2, 0
.LBB44_64:
	s_delay_alu instid0(SALU_CYCLE_1)
	s_and_not1_b32 vcc_lo, exec_lo, s2
	s_cbranch_vccnz .LBB44_66
; %bb.65:
	global_load_u8 v2, v[0:1], off
	s_wait_loadcnt 0x0
	v_lshlrev_b32_e32 v3, 25, v2
	v_lshlrev_b16 v2, 8, v2
	s_delay_alu instid0(VALU_DEP_1) | instskip(SKIP_1) | instid1(VALU_DEP_2)
	v_and_or_b32 v5, 0x7f00, v2, 0.5
	v_bfe_i32 v2, v2, 0, 16
	v_dual_add_f32 v5, -0.5, v5 :: v_dual_lshrrev_b32 v4, 4, v3
	v_cmp_gt_u32_e32 vcc_lo, 0x8000000, v3
	s_delay_alu instid0(VALU_DEP_2) | instskip(NEXT) | instid1(VALU_DEP_1)
	v_or_b32_e32 v4, 0x70000000, v4
	v_mul_f32_e32 v4, 0x7800000, v4
	s_delay_alu instid0(VALU_DEP_1) | instskip(NEXT) | instid1(VALU_DEP_1)
	v_cndmask_b32_e32 v3, v4, v5, vcc_lo
	v_and_or_b32 v40, 0x80000000, v2, v3
.LBB44_66:
	s_mov_b32 s3, 0
	s_mov_b32 s2, -1
.LBB44_67:
	s_and_not1_b32 vcc_lo, exec_lo, s3
	s_cbranch_vccnz .LBB44_80
; %bb.68:
	s_cmp_gt_i32 s1, 14
	s_cbranch_scc0 .LBB44_71
; %bb.69:
	s_cmp_eq_u32 s1, 15
	s_cbranch_scc0 .LBB44_74
; %bb.70:
	global_load_u16 v2, v[0:1], off
	s_mov_b32 s2, -1
	s_mov_b32 s59, 0
	s_wait_loadcnt 0x0
	v_lshlrev_b32_e32 v40, 16, v2
	s_branch .LBB44_75
.LBB44_71:
	s_mov_b32 s3, -1
                                        ; implicit-def: $vgpr40
	s_branch .LBB44_76
.LBB44_72:
	s_or_saveexec_b32 s3, s3
	v_mov_b32_e32 v40, 0x7f800001
	s_xor_b32 exec_lo, exec_lo, s3
	s_cbranch_execz .LBB44_53
.LBB44_73:
	v_cmp_ne_u16_e32 vcc_lo, 0, v2
	v_mov_b32_e32 v40, 0
	s_and_not1_b32 s2, s2, exec_lo
	s_and_b32 s4, vcc_lo, exec_lo
	s_delay_alu instid0(SALU_CYCLE_1)
	s_or_b32 s2, s2, s4
	s_or_b32 exec_lo, exec_lo, s3
	s_and_saveexec_b32 s3, s2
	s_cbranch_execnz .LBB44_54
	s_branch .LBB44_55
.LBB44_74:
	s_mov_b32 s59, -1
                                        ; implicit-def: $vgpr40
.LBB44_75:
	s_mov_b32 s3, 0
.LBB44_76:
	s_delay_alu instid0(SALU_CYCLE_1)
	s_and_b32 vcc_lo, exec_lo, s3
	s_cbranch_vccz .LBB44_80
; %bb.77:
	s_cmp_eq_u32 s1, 11
	s_cbranch_scc0 .LBB44_79
; %bb.78:
	global_load_u8 v2, v[0:1], off
	s_mov_b32 s59, 0
	s_mov_b32 s2, -1
	s_wait_loadcnt 0x0
	v_cmp_ne_u16_e32 vcc_lo, 0, v2
	v_cndmask_b32_e64 v40, 0, 1.0, vcc_lo
	s_branch .LBB44_80
.LBB44_79:
	s_mov_b32 s59, -1
                                        ; implicit-def: $vgpr40
.LBB44_80:
	s_branch .LBB44_10
.LBB44_81:
	s_and_b32 s0, 0xffff, s0
	s_delay_alu instid0(SALU_CYCLE_1)
	s_cmp_lt_i32 s0, 5
	s_cbranch_scc1 .LBB44_86
; %bb.82:
	s_cmp_lt_i32 s0, 8
	s_cbranch_scc1 .LBB44_87
; %bb.83:
	;; [unrolled: 3-line block ×3, first 2 shown]
	s_cmp_gt_i32 s0, 9
	s_cbranch_scc0 .LBB44_89
; %bb.85:
	global_load_b64 v[2:3], v[0:1], off
	s_mov_b32 s1, 0
	s_wait_loadcnt 0x0
	v_cvt_f32_f64_e32 v40, v[2:3]
	s_branch .LBB44_90
.LBB44_86:
                                        ; implicit-def: $vgpr40
	s_branch .LBB44_108
.LBB44_87:
	s_mov_b32 s1, -1
                                        ; implicit-def: $vgpr40
	s_branch .LBB44_96
.LBB44_88:
	s_mov_b32 s1, -1
                                        ; implicit-def: $vgpr40
	s_branch .LBB44_93
.LBB44_89:
	s_mov_b32 s1, -1
                                        ; implicit-def: $vgpr40
.LBB44_90:
	s_delay_alu instid0(SALU_CYCLE_1)
	s_and_not1_b32 vcc_lo, exec_lo, s1
	s_cbranch_vccnz .LBB44_92
; %bb.91:
	global_load_b32 v40, v[0:1], off
.LBB44_92:
	s_mov_b32 s1, 0
.LBB44_93:
	s_delay_alu instid0(SALU_CYCLE_1)
	s_and_not1_b32 vcc_lo, exec_lo, s1
	s_cbranch_vccnz .LBB44_95
; %bb.94:
	global_load_b32 v2, v[0:1], off
	s_wait_loadcnt 0x0
	v_cvt_f32_f16_e32 v40, v2
.LBB44_95:
	s_mov_b32 s1, 0
.LBB44_96:
	s_delay_alu instid0(SALU_CYCLE_1)
	s_and_not1_b32 vcc_lo, exec_lo, s1
	s_cbranch_vccnz .LBB44_107
; %bb.97:
	s_cmp_lt_i32 s0, 6
	s_cbranch_scc1 .LBB44_100
; %bb.98:
	s_cmp_gt_i32 s0, 6
	s_cbranch_scc0 .LBB44_101
; %bb.99:
	global_load_b64 v[2:3], v[0:1], off
	s_mov_b32 s1, 0
	s_wait_loadcnt 0x0
	v_cvt_f32_f64_e32 v40, v[2:3]
	s_branch .LBB44_102
.LBB44_100:
	s_mov_b32 s1, -1
                                        ; implicit-def: $vgpr40
	s_branch .LBB44_105
.LBB44_101:
	s_mov_b32 s1, -1
                                        ; implicit-def: $vgpr40
.LBB44_102:
	s_delay_alu instid0(SALU_CYCLE_1)
	s_and_not1_b32 vcc_lo, exec_lo, s1
	s_cbranch_vccnz .LBB44_104
; %bb.103:
	s_wait_loadcnt 0x0
	global_load_b32 v40, v[0:1], off
.LBB44_104:
	s_mov_b32 s1, 0
.LBB44_105:
	s_delay_alu instid0(SALU_CYCLE_1)
	s_and_not1_b32 vcc_lo, exec_lo, s1
	s_cbranch_vccnz .LBB44_107
; %bb.106:
	global_load_u16 v2, v[0:1], off
	s_wait_loadcnt 0x0
	v_cvt_f32_f16_e32 v40, v2
.LBB44_107:
	s_cbranch_execnz .LBB44_127
.LBB44_108:
	s_cmp_lt_i32 s0, 2
	s_cbranch_scc1 .LBB44_112
; %bb.109:
	s_cmp_lt_i32 s0, 3
	s_cbranch_scc1 .LBB44_113
; %bb.110:
	s_cmp_gt_i32 s0, 3
	s_cbranch_scc0 .LBB44_114
; %bb.111:
	global_load_b64 v[2:3], v[0:1], off
	s_mov_b32 s1, 0
	s_wait_loadcnt 0x0
	v_xor_b32_e32 v4, v2, v3
	v_cls_i32_e32 v5, v3
	s_delay_alu instid0(VALU_DEP_2) | instskip(NEXT) | instid1(VALU_DEP_1)
	v_ashrrev_i32_e32 v4, 31, v4
	v_add_nc_u32_e32 v4, 32, v4
	s_delay_alu instid0(VALU_DEP_1) | instskip(NEXT) | instid1(VALU_DEP_1)
	v_add_min_u32_e64 v4, v5, -1, v4
	v_lshlrev_b64_e32 v[2:3], v4, v[2:3]
	s_delay_alu instid0(VALU_DEP_1) | instskip(NEXT) | instid1(VALU_DEP_1)
	v_min_u32_e32 v2, 1, v2
	v_dual_sub_nc_u32 v3, 32, v4 :: v_dual_bitop2_b32 v2, v3, v2 bitop3:0x54
	s_delay_alu instid0(VALU_DEP_1) | instskip(NEXT) | instid1(VALU_DEP_1)
	v_cvt_f32_i32_e32 v2, v2
	v_ldexp_f32 v40, v2, v3
	s_branch .LBB44_115
.LBB44_112:
	s_mov_b32 s1, -1
                                        ; implicit-def: $vgpr40
	s_branch .LBB44_121
.LBB44_113:
	s_mov_b32 s1, -1
                                        ; implicit-def: $vgpr40
	s_branch .LBB44_118
.LBB44_114:
	s_mov_b32 s1, -1
                                        ; implicit-def: $vgpr40
.LBB44_115:
	s_delay_alu instid0(SALU_CYCLE_1)
	s_and_not1_b32 vcc_lo, exec_lo, s1
	s_cbranch_vccnz .LBB44_117
; %bb.116:
	global_load_b32 v2, v[0:1], off
	s_wait_loadcnt 0x0
	v_cvt_f32_i32_e32 v40, v2
.LBB44_117:
	s_mov_b32 s1, 0
.LBB44_118:
	s_delay_alu instid0(SALU_CYCLE_1)
	s_and_not1_b32 vcc_lo, exec_lo, s1
	s_cbranch_vccnz .LBB44_120
; %bb.119:
	global_load_i16 v2, v[0:1], off
	s_wait_loadcnt 0x0
	v_cvt_f32_i32_e32 v40, v2
.LBB44_120:
	s_mov_b32 s1, 0
.LBB44_121:
	s_delay_alu instid0(SALU_CYCLE_1)
	s_and_not1_b32 vcc_lo, exec_lo, s1
	s_cbranch_vccnz .LBB44_127
; %bb.122:
	s_cmp_gt_i32 s0, 0
	s_mov_b32 s0, 0
	s_cbranch_scc0 .LBB44_124
; %bb.123:
	global_load_i8 v2, v[0:1], off
	s_wait_loadcnt 0x0
	v_cvt_f32_i32_e32 v40, v2
	s_branch .LBB44_125
.LBB44_124:
	s_mov_b32 s0, -1
                                        ; implicit-def: $vgpr40
.LBB44_125:
	s_delay_alu instid0(SALU_CYCLE_1)
	s_and_not1_b32 vcc_lo, exec_lo, s0
	s_cbranch_vccnz .LBB44_127
; %bb.126:
	global_load_u8 v0, v[0:1], off
	s_wait_loadcnt 0x0
	v_cvt_f32_ubyte0_e32 v40, v0
.LBB44_127:
.LBB44_128:
	s_wait_xcnt 0x0
	v_mul_lo_u32 v0, v60, s50
	s_and_b32 s0, 0xffff, s47
	s_delay_alu instid0(SALU_CYCLE_1) | instskip(NEXT) | instid1(VALU_DEP_1)
	s_cmp_lt_i32 s0, 11
	v_ashrrev_i32_e32 v1, 31, v0
	s_delay_alu instid0(VALU_DEP_1)
	v_add_nc_u64_e32 v[0:1], s[34:35], v[0:1]
	s_cbranch_scc1 .LBB44_135
; %bb.129:
	s_cmp_gt_i32 s0, 25
	s_cbranch_scc0 .LBB44_139
; %bb.130:
	s_cmp_gt_i32 s0, 28
	s_cbranch_scc0 .LBB44_151
	;; [unrolled: 3-line block ×4, first 2 shown]
; %bb.133:
	s_cmp_eq_u32 s0, 46
	s_mov_b32 s2, 0
	s_cbranch_scc0 .LBB44_157
; %bb.134:
	global_load_b32 v2, v[0:1], off
	s_mov_b32 s1, -1
	s_wait_loadcnt 0x0
	v_lshlrev_b32_e32 v42, 16, v2
	s_branch .LBB44_159
.LBB44_135:
	s_mov_b32 s1, 0
                                        ; implicit-def: $vgpr42
	s_cbranch_execnz .LBB44_335
.LBB44_136:
	s_and_not1_b32 vcc_lo, exec_lo, s1
	s_cbranch_vccnz .LBB44_383
.LBB44_137:
	s_and_b32 vcc_lo, exec_lo, s55
	s_cbranch_vccz .LBB44_140
; %bb.138:
	s_wait_loadcnt 0x0
	s_delay_alu instid0(VALU_DEP_1) | instskip(SKIP_2) | instid1(SALU_CYCLE_1)
	v_dual_mov_b32 v0, v40 :: v_dual_mov_b32 v1, v42
	s_get_pc_i64 s[0:1]
	s_add_nc_u64 s[0:1], s[0:1], _ZN12_GLOBAL__N_111calc_igammaIfEET_S1_S1_@rel64+4
	s_swap_pc_i64 s[30:31], s[0:1]
	s_mov_b32 s0, 0
	s_branch .LBB44_141
.LBB44_139:
	s_mov_b32 s2, -1
	s_mov_b32 s1, 0
                                        ; implicit-def: $vgpr42
	s_branch .LBB44_299
.LBB44_140:
	s_mov_b32 s0, -1
                                        ; implicit-def: $vgpr0
.LBB44_141:
	s_delay_alu instid0(SALU_CYCLE_1)
	s_and_not1_b32 vcc_lo, exec_lo, s0
	s_cbranch_vccnz .LBB44_143
; %bb.142:
	s_wait_loadcnt 0x0
	s_delay_alu instid0(VALU_DEP_1) | instskip(SKIP_2) | instid1(SALU_CYCLE_1)
	v_dual_mov_b32 v0, v40 :: v_dual_mov_b32 v1, v42
	s_get_pc_i64 s[0:1]
	s_add_nc_u64 s[0:1], s[0:1], _ZN12_GLOBAL__N_112calc_igammacIfEET_S1_S1_@rel64+4
	s_swap_pc_i64 s[30:31], s[0:1]
.LBB44_143:
	v_mul_lo_u32 v2, v60, s48
	s_and_b32 s1, s46, 0xff
	s_delay_alu instid0(SALU_CYCLE_1) | instskip(NEXT) | instid1(VALU_DEP_1)
	s_cmp_lt_i32 s1, 11
	v_ashrrev_i32_e32 v3, 31, v2
	s_delay_alu instid0(VALU_DEP_1)
	v_add_nc_u64_e32 v[2:3], s[36:37], v[2:3]
	s_cbranch_scc1 .LBB44_150
; %bb.144:
	s_and_b32 s2, 0xffff, s1
	s_delay_alu instid0(SALU_CYCLE_1)
	s_cmp_gt_i32 s2, 25
	s_cbranch_scc0 .LBB44_152
; %bb.145:
	s_cmp_gt_i32 s2, 28
	s_cbranch_scc0 .LBB44_154
; %bb.146:
	;; [unrolled: 3-line block ×4, first 2 shown]
	s_mov_b32 s4, 0
	s_mov_b32 s0, -1
	s_cmp_eq_u32 s2, 46
	s_mov_b32 s3, 0
	s_cbranch_scc0 .LBB44_163
; %bb.149:
	s_wait_xcnt 0x0
	v_bfe_u32 v1, v0, 16, 1
	v_cmp_o_f32_e32 vcc_lo, v0, v0
	s_mov_b32 s3, -1
	s_mov_b32 s0, 0
	s_delay_alu instid0(VALU_DEP_2) | instskip(NEXT) | instid1(VALU_DEP_1)
	v_add3_u32 v1, v0, v1, 0x7fff
	v_lshrrev_b32_e32 v1, 16, v1
	s_delay_alu instid0(VALU_DEP_1)
	v_cndmask_b32_e32 v1, 0x7fc0, v1, vcc_lo
	global_store_b32 v[2:3], v1, off
	s_branch .LBB44_163
.LBB44_150:
	s_mov_b32 s2, -1
	s_mov_b32 s0, 0
	s_mov_b32 s3, 0
	s_branch .LBB44_232
.LBB44_151:
	s_mov_b32 s2, -1
	s_mov_b32 s1, 0
                                        ; implicit-def: $vgpr42
	s_branch .LBB44_280
.LBB44_152:
	s_mov_b32 s4, -1
	s_mov_b32 s0, 0
	s_mov_b32 s3, 0
	s_branch .LBB44_190
.LBB44_153:
	s_mov_b32 s2, -1
	s_mov_b32 s1, 0
                                        ; implicit-def: $vgpr42
	s_branch .LBB44_275
.LBB44_154:
	s_mov_b32 s4, -1
	s_mov_b32 s0, 0
	s_mov_b32 s3, 0
	s_branch .LBB44_173
.LBB44_155:
	s_mov_b32 s2, -1
	s_branch .LBB44_158
.LBB44_156:
	s_mov_b32 s4, -1
	s_mov_b32 s0, 0
	s_mov_b32 s3, 0
	s_branch .LBB44_169
.LBB44_157:
	s_mov_b32 s58, -1
.LBB44_158:
	s_mov_b32 s1, 0
                                        ; implicit-def: $vgpr42
.LBB44_159:
	s_and_b32 vcc_lo, exec_lo, s2
	s_cbranch_vccz .LBB44_274
; %bb.160:
	s_cmp_eq_u32 s0, 44
	s_cbranch_scc0 .LBB44_273
; %bb.161:
	global_load_u8 v2, v[0:1], off
	s_mov_b32 s58, 0
	s_mov_b32 s1, -1
	s_wait_loadcnt 0x0
	v_lshlrev_b32_e32 v3, 23, v2
	v_cmp_ne_u32_e32 vcc_lo, 0xff, v2
	s_delay_alu instid0(VALU_DEP_2) | instskip(SKIP_1) | instid1(VALU_DEP_2)
	v_cndmask_b32_e32 v3, 0x7f800001, v3, vcc_lo
	v_cmp_ne_u32_e32 vcc_lo, 0, v2
	v_cndmask_b32_e32 v42, 0x400000, v3, vcc_lo
	s_branch .LBB44_274
.LBB44_162:
	s_mov_b32 s4, -1
	s_mov_b32 s0, 0
	s_mov_b32 s3, 0
.LBB44_163:
	s_and_b32 vcc_lo, exec_lo, s4
	s_cbranch_vccz .LBB44_168
; %bb.164:
	s_cmp_eq_u32 s2, 44
	s_mov_b32 s0, -1
	s_cbranch_scc0 .LBB44_168
; %bb.165:
	v_bfe_u32 v4, v0, 23, 8
	s_wait_xcnt 0x0
	v_mov_b32_e32 v1, 0xff
	s_mov_b32 s3, exec_lo
	s_delay_alu instid0(VALU_DEP_2)
	v_cmpx_ne_u32_e32 0xff, v4
	s_cbranch_execz .LBB44_167
; %bb.166:
	v_and_b32_e32 v1, 0x400000, v0
	v_and_or_b32 v4, 0x3fffff, v0, v4
	s_delay_alu instid0(VALU_DEP_2) | instskip(NEXT) | instid1(VALU_DEP_2)
	v_cmp_ne_u32_e32 vcc_lo, 0, v1
	v_cmp_ne_u32_e64 s0, 0, v4
	v_lshrrev_b32_e32 v1, 23, v0
	s_and_b32 s0, vcc_lo, s0
	s_delay_alu instid0(SALU_CYCLE_1) | instskip(NEXT) | instid1(VALU_DEP_1)
	v_cndmask_b32_e64 v4, 0, 1, s0
	v_add_nc_u32_e32 v1, v1, v4
.LBB44_167:
	s_or_b32 exec_lo, exec_lo, s3
	s_mov_b32 s3, -1
	s_mov_b32 s0, 0
	global_store_b8 v[2:3], v1, off
.LBB44_168:
	s_mov_b32 s4, 0
.LBB44_169:
	s_delay_alu instid0(SALU_CYCLE_1)
	s_and_b32 vcc_lo, exec_lo, s4
	s_cbranch_vccz .LBB44_172
; %bb.170:
	s_cmp_eq_u32 s2, 29
	s_mov_b32 s0, -1
	s_cbranch_scc0 .LBB44_172
; %bb.171:
	s_wait_xcnt 0x0
	v_trunc_f32_e32 v1, v0
	s_mov_b32 s3, -1
	s_mov_b32 s0, 0
	s_mov_b32 s4, 0
	s_delay_alu instid0(VALU_DEP_1) | instskip(NEXT) | instid1(VALU_DEP_1)
	v_mul_f32_e32 v4, 0x2f800000, v1
	v_floor_f32_e32 v4, v4
	s_delay_alu instid0(VALU_DEP_1) | instskip(SKIP_1) | instid1(VALU_DEP_2)
	v_fmamk_f32 v1, v4, 0xcf800000, v1
	v_cvt_u32_f32_e32 v5, v4
	v_cvt_u32_f32_e32 v4, v1
	global_store_b64 v[2:3], v[4:5], off
	s_branch .LBB44_173
.LBB44_172:
	s_mov_b32 s4, 0
.LBB44_173:
	s_delay_alu instid0(SALU_CYCLE_1)
	s_and_b32 vcc_lo, exec_lo, s4
	s_cbranch_vccz .LBB44_189
; %bb.174:
	s_cmp_lt_i32 s2, 27
	s_mov_b32 s3, -1
	s_cbranch_scc1 .LBB44_180
; %bb.175:
	s_wait_xcnt 0x0
	v_cvt_u32_f32_e32 v1, v0
	s_cmp_gt_i32 s2, 27
	s_cbranch_scc0 .LBB44_177
; %bb.176:
	s_mov_b32 s3, 0
	global_store_b32 v[2:3], v1, off
.LBB44_177:
	s_and_not1_b32 vcc_lo, exec_lo, s3
	s_cbranch_vccnz .LBB44_179
; %bb.178:
	global_store_b16 v[2:3], v1, off
.LBB44_179:
	s_mov_b32 s3, 0
.LBB44_180:
	s_delay_alu instid0(SALU_CYCLE_1)
	s_and_not1_b32 vcc_lo, exec_lo, s3
	s_cbranch_vccnz .LBB44_188
; %bb.181:
	s_wait_xcnt 0x0
	v_and_b32_e32 v1, 0x7fffffff, v0
	v_mov_b32_e32 v4, 0x80
	s_mov_b32 s3, exec_lo
	s_delay_alu instid0(VALU_DEP_2)
	v_cmpx_gt_u32_e32 0x43800000, v1
	s_cbranch_execz .LBB44_187
; %bb.182:
	v_cmp_lt_u32_e32 vcc_lo, 0x3bffffff, v1
	s_mov_b32 s4, 0
                                        ; implicit-def: $vgpr1
	s_and_saveexec_b32 s5, vcc_lo
	s_delay_alu instid0(SALU_CYCLE_1)
	s_xor_b32 s5, exec_lo, s5
	s_cbranch_execz .LBB44_415
; %bb.183:
	v_bfe_u32 v1, v0, 20, 1
	s_mov_b32 s4, exec_lo
	s_delay_alu instid0(VALU_DEP_1) | instskip(NEXT) | instid1(VALU_DEP_1)
	v_add3_u32 v1, v0, v1, 0x487ffff
	v_lshrrev_b32_e32 v1, 20, v1
	s_and_not1_saveexec_b32 s5, s5
	s_cbranch_execnz .LBB44_416
.LBB44_184:
	s_or_b32 exec_lo, exec_lo, s5
	v_mov_b32_e32 v4, 0
	s_and_saveexec_b32 s5, s4
.LBB44_185:
	v_lshrrev_b32_e32 v4, 24, v0
	s_delay_alu instid0(VALU_DEP_1)
	v_and_or_b32 v4, 0x80, v4, v1
.LBB44_186:
	s_or_b32 exec_lo, exec_lo, s5
.LBB44_187:
	s_delay_alu instid0(SALU_CYCLE_1)
	s_or_b32 exec_lo, exec_lo, s3
	global_store_b8 v[2:3], v4, off
.LBB44_188:
	s_mov_b32 s3, -1
.LBB44_189:
	s_mov_b32 s4, 0
.LBB44_190:
	s_delay_alu instid0(SALU_CYCLE_1)
	s_and_b32 vcc_lo, exec_lo, s4
	s_cbranch_vccz .LBB44_231
; %bb.191:
	s_cmp_gt_i32 s2, 22
	s_mov_b32 s4, -1
	s_cbranch_scc0 .LBB44_223
; %bb.192:
	s_cmp_lt_i32 s2, 24
	s_mov_b32 s3, -1
	s_cbranch_scc1 .LBB44_212
; %bb.193:
	s_cmp_gt_i32 s2, 24
	s_cbranch_scc0 .LBB44_201
; %bb.194:
	s_wait_xcnt 0x0
	v_and_b32_e32 v1, 0x7fffffff, v0
	v_mov_b32_e32 v4, 0x80
	s_mov_b32 s3, exec_lo
	s_delay_alu instid0(VALU_DEP_2)
	v_cmpx_gt_u32_e32 0x47800000, v1
	s_cbranch_execz .LBB44_200
; %bb.195:
	v_cmp_lt_u32_e32 vcc_lo, 0x37ffffff, v1
	s_mov_b32 s4, 0
                                        ; implicit-def: $vgpr1
	s_and_saveexec_b32 s5, vcc_lo
	s_delay_alu instid0(SALU_CYCLE_1)
	s_xor_b32 s5, exec_lo, s5
	s_cbranch_execz .LBB44_534
; %bb.196:
	v_bfe_u32 v1, v0, 21, 1
	s_mov_b32 s4, exec_lo
	s_delay_alu instid0(VALU_DEP_1) | instskip(NEXT) | instid1(VALU_DEP_1)
	v_add3_u32 v1, v0, v1, 0x88fffff
	v_lshrrev_b32_e32 v1, 21, v1
	s_and_not1_saveexec_b32 s5, s5
	s_cbranch_execnz .LBB44_535
.LBB44_197:
	s_or_b32 exec_lo, exec_lo, s5
	v_mov_b32_e32 v4, 0
	s_and_saveexec_b32 s5, s4
.LBB44_198:
	v_lshrrev_b32_e32 v4, 24, v0
	s_delay_alu instid0(VALU_DEP_1)
	v_and_or_b32 v4, 0x80, v4, v1
.LBB44_199:
	s_or_b32 exec_lo, exec_lo, s5
.LBB44_200:
	s_delay_alu instid0(SALU_CYCLE_1)
	s_or_b32 exec_lo, exec_lo, s3
	s_mov_b32 s3, 0
	global_store_b8 v[2:3], v4, off
.LBB44_201:
	s_and_b32 vcc_lo, exec_lo, s3
	s_cbranch_vccz .LBB44_211
; %bb.202:
	s_wait_xcnt 0x0
	v_and_b32_e32 v4, 0x7fffffff, v0
	s_mov_b32 s3, exec_lo
                                        ; implicit-def: $vgpr1
	s_delay_alu instid0(VALU_DEP_1)
	v_cmpx_gt_u32_e32 0x43f00000, v4
	s_xor_b32 s3, exec_lo, s3
	s_cbranch_execz .LBB44_208
; %bb.203:
	s_mov_b32 s4, exec_lo
                                        ; implicit-def: $vgpr1
	v_cmpx_lt_u32_e32 0x3c7fffff, v4
	s_xor_b32 s4, exec_lo, s4
; %bb.204:
	v_bfe_u32 v1, v0, 20, 1
	s_delay_alu instid0(VALU_DEP_1) | instskip(NEXT) | instid1(VALU_DEP_1)
	v_add3_u32 v1, v0, v1, 0x407ffff
	v_and_b32_e32 v4, 0xff00000, v1
	v_lshrrev_b32_e32 v1, 20, v1
	s_delay_alu instid0(VALU_DEP_2) | instskip(NEXT) | instid1(VALU_DEP_2)
	v_cmp_ne_u32_e32 vcc_lo, 0x7f00000, v4
	v_cndmask_b32_e32 v1, 0x7e, v1, vcc_lo
; %bb.205:
	s_and_not1_saveexec_b32 s4, s4
; %bb.206:
	v_add_f32_e64 v1, 0x46800000, |v0|
; %bb.207:
	s_or_b32 exec_lo, exec_lo, s4
                                        ; implicit-def: $vgpr4
.LBB44_208:
	s_and_not1_saveexec_b32 s3, s3
; %bb.209:
	v_mov_b32_e32 v1, 0x7f
	v_cmp_lt_u32_e32 vcc_lo, 0x7f800000, v4
	s_delay_alu instid0(VALU_DEP_2)
	v_cndmask_b32_e32 v1, 0x7e, v1, vcc_lo
; %bb.210:
	s_or_b32 exec_lo, exec_lo, s3
	v_lshrrev_b32_e32 v4, 24, v0
	s_delay_alu instid0(VALU_DEP_1)
	v_and_or_b32 v1, 0x80, v4, v1
	global_store_b8 v[2:3], v1, off
.LBB44_211:
	s_mov_b32 s3, 0
.LBB44_212:
	s_delay_alu instid0(SALU_CYCLE_1)
	s_and_not1_b32 vcc_lo, exec_lo, s3
	s_cbranch_vccnz .LBB44_222
; %bb.213:
	s_wait_xcnt 0x0
	v_and_b32_e32 v4, 0x7fffffff, v0
	s_mov_b32 s3, exec_lo
                                        ; implicit-def: $vgpr1
	s_delay_alu instid0(VALU_DEP_1)
	v_cmpx_gt_u32_e32 0x47800000, v4
	s_xor_b32 s3, exec_lo, s3
	s_cbranch_execz .LBB44_219
; %bb.214:
	s_mov_b32 s4, exec_lo
                                        ; implicit-def: $vgpr1
	v_cmpx_lt_u32_e32 0x387fffff, v4
	s_xor_b32 s4, exec_lo, s4
; %bb.215:
	v_bfe_u32 v1, v0, 21, 1
	s_delay_alu instid0(VALU_DEP_1) | instskip(NEXT) | instid1(VALU_DEP_1)
	v_add3_u32 v1, v0, v1, 0x80fffff
	v_lshrrev_b32_e32 v1, 21, v1
; %bb.216:
	s_and_not1_saveexec_b32 s4, s4
; %bb.217:
	v_add_f32_e64 v1, 0x43000000, |v0|
; %bb.218:
	s_or_b32 exec_lo, exec_lo, s4
                                        ; implicit-def: $vgpr4
.LBB44_219:
	s_and_not1_saveexec_b32 s3, s3
; %bb.220:
	v_mov_b32_e32 v1, 0x7f
	v_cmp_lt_u32_e32 vcc_lo, 0x7f800000, v4
	s_delay_alu instid0(VALU_DEP_2)
	v_cndmask_b32_e32 v1, 0x7c, v1, vcc_lo
; %bb.221:
	s_or_b32 exec_lo, exec_lo, s3
	v_lshrrev_b32_e32 v4, 24, v0
	s_delay_alu instid0(VALU_DEP_1)
	v_and_or_b32 v1, 0x80, v4, v1
	global_store_b8 v[2:3], v1, off
.LBB44_222:
	s_mov_b32 s4, 0
	s_mov_b32 s3, -1
.LBB44_223:
	s_and_not1_b32 vcc_lo, exec_lo, s4
	s_cbranch_vccnz .LBB44_231
; %bb.224:
	s_cmp_gt_i32 s2, 14
	s_mov_b32 s4, -1
	s_cbranch_scc0 .LBB44_228
; %bb.225:
	s_cmp_eq_u32 s2, 15
	s_mov_b32 s0, -1
	s_cbranch_scc0 .LBB44_227
; %bb.226:
	s_wait_xcnt 0x0
	v_bfe_u32 v1, v0, 16, 1
	v_cmp_o_f32_e32 vcc_lo, v0, v0
	s_mov_b32 s3, -1
	s_mov_b32 s0, 0
	s_delay_alu instid0(VALU_DEP_2) | instskip(NEXT) | instid1(VALU_DEP_1)
	v_add3_u32 v1, v0, v1, 0x7fff
	v_lshrrev_b32_e32 v1, 16, v1
	s_delay_alu instid0(VALU_DEP_1)
	v_cndmask_b32_e32 v1, 0x7fc0, v1, vcc_lo
	global_store_b16 v[2:3], v1, off
.LBB44_227:
	s_mov_b32 s4, 0
.LBB44_228:
	s_delay_alu instid0(SALU_CYCLE_1)
	s_and_b32 vcc_lo, exec_lo, s4
	s_cbranch_vccz .LBB44_231
; %bb.229:
	s_cmp_eq_u32 s2, 11
	s_mov_b32 s0, -1
	s_cbranch_scc0 .LBB44_231
; %bb.230:
	v_cmp_neq_f32_e32 vcc_lo, 0, v0
	s_mov_b32 s0, 0
	s_mov_b32 s3, -1
	s_wait_xcnt 0x0
	v_cndmask_b32_e64 v1, 0, 1, vcc_lo
	global_store_b8 v[2:3], v1, off
.LBB44_231:
	s_mov_b32 s2, 0
.LBB44_232:
	s_delay_alu instid0(SALU_CYCLE_1)
	s_and_b32 vcc_lo, exec_lo, s2
	s_cbranch_vccz .LBB44_271
; %bb.233:
	s_and_b32 s1, 0xffff, s1
	s_mov_b32 s2, -1
	s_cmp_lt_i32 s1, 5
	s_cbranch_scc1 .LBB44_254
; %bb.234:
	s_cmp_lt_i32 s1, 8
	s_cbranch_scc1 .LBB44_244
; %bb.235:
	;; [unrolled: 3-line block ×3, first 2 shown]
	s_cmp_gt_i32 s1, 9
	s_cbranch_scc0 .LBB44_238
; %bb.237:
	s_wait_xcnt 0x0
	v_cvt_f64_f32_e32 v[4:5], v0
	v_mov_b32_e32 v6, 0
	s_mov_b32 s2, 0
	s_delay_alu instid0(VALU_DEP_1)
	v_mov_b32_e32 v7, v6
	global_store_b128 v[2:3], v[4:7], off
.LBB44_238:
	s_and_not1_b32 vcc_lo, exec_lo, s2
	s_cbranch_vccnz .LBB44_240
; %bb.239:
	s_wait_xcnt 0x0
	v_mov_b32_e32 v1, 0
	global_store_b64 v[2:3], v[0:1], off
.LBB44_240:
	s_mov_b32 s2, 0
.LBB44_241:
	s_delay_alu instid0(SALU_CYCLE_1)
	s_and_not1_b32 vcc_lo, exec_lo, s2
	s_cbranch_vccnz .LBB44_243
; %bb.242:
	s_wait_xcnt 0x0
	v_cvt_f16_f32_e32 v1, v0
	s_delay_alu instid0(VALU_DEP_1)
	v_and_b32_e32 v1, 0xffff, v1
	global_store_b32 v[2:3], v1, off
.LBB44_243:
	s_mov_b32 s2, 0
.LBB44_244:
	s_delay_alu instid0(SALU_CYCLE_1)
	s_and_not1_b32 vcc_lo, exec_lo, s2
	s_cbranch_vccnz .LBB44_253
; %bb.245:
	s_cmp_lt_i32 s1, 6
	s_mov_b32 s2, -1
	s_cbranch_scc1 .LBB44_251
; %bb.246:
	s_cmp_gt_i32 s1, 6
	s_cbranch_scc0 .LBB44_248
; %bb.247:
	s_wait_xcnt 0x0
	v_cvt_f64_f32_e32 v[4:5], v0
	s_mov_b32 s2, 0
	global_store_b64 v[2:3], v[4:5], off
.LBB44_248:
	s_and_not1_b32 vcc_lo, exec_lo, s2
	s_cbranch_vccnz .LBB44_250
; %bb.249:
	global_store_b32 v[2:3], v0, off
.LBB44_250:
	s_mov_b32 s2, 0
.LBB44_251:
	s_delay_alu instid0(SALU_CYCLE_1)
	s_and_not1_b32 vcc_lo, exec_lo, s2
	s_cbranch_vccnz .LBB44_253
; %bb.252:
	s_wait_xcnt 0x0
	v_cvt_f16_f32_e32 v1, v0
	global_store_b16 v[2:3], v1, off
.LBB44_253:
	s_mov_b32 s2, 0
.LBB44_254:
	s_delay_alu instid0(SALU_CYCLE_1)
	s_and_not1_b32 vcc_lo, exec_lo, s2
	s_cbranch_vccnz .LBB44_270
; %bb.255:
	s_cmp_lt_i32 s1, 2
	s_mov_b32 s2, -1
	s_cbranch_scc1 .LBB44_265
; %bb.256:
	s_cmp_lt_i32 s1, 3
	s_cbranch_scc1 .LBB44_262
; %bb.257:
	s_cmp_gt_i32 s1, 3
	s_cbranch_scc0 .LBB44_259
; %bb.258:
	s_wait_xcnt 0x0
	v_trunc_f32_e32 v1, v0
	s_mov_b32 s2, 0
	s_delay_alu instid0(VALU_DEP_1) | instskip(NEXT) | instid1(VALU_DEP_1)
	v_mul_f32_e64 v4, 0x2f800000, |v1|
	v_floor_f32_e32 v5, v4
	v_ashrrev_i32_e32 v4, 31, v1
	s_delay_alu instid0(VALU_DEP_2) | instskip(SKIP_1) | instid1(VALU_DEP_3)
	v_fma_f32 v6, 0xcf800000, v5, |v1|
	v_cvt_u32_f32_e32 v1, v5
	v_mov_b32_e32 v5, v4
	s_delay_alu instid0(VALU_DEP_3) | instskip(NEXT) | instid1(VALU_DEP_3)
	v_cvt_u32_f32_e32 v6, v6
	v_xor_b32_e32 v7, v1, v4
	s_delay_alu instid0(VALU_DEP_2) | instskip(NEXT) | instid1(VALU_DEP_1)
	v_xor_b32_e32 v6, v6, v4
	v_sub_nc_u64_e32 v[4:5], v[6:7], v[4:5]
	global_store_b64 v[2:3], v[4:5], off
.LBB44_259:
	s_and_not1_b32 vcc_lo, exec_lo, s2
	s_cbranch_vccnz .LBB44_261
; %bb.260:
	s_wait_xcnt 0x0
	v_cvt_i32_f32_e32 v1, v0
	global_store_b32 v[2:3], v1, off
.LBB44_261:
	s_mov_b32 s2, 0
.LBB44_262:
	s_delay_alu instid0(SALU_CYCLE_1)
	s_and_not1_b32 vcc_lo, exec_lo, s2
	s_cbranch_vccnz .LBB44_264
; %bb.263:
	s_wait_xcnt 0x0
	v_cvt_i32_f32_e32 v1, v0
	global_store_b16 v[2:3], v1, off
.LBB44_264:
	s_mov_b32 s2, 0
.LBB44_265:
	s_delay_alu instid0(SALU_CYCLE_1)
	s_and_not1_b32 vcc_lo, exec_lo, s2
	s_cbranch_vccnz .LBB44_270
; %bb.266:
	s_cmp_gt_i32 s1, 0
	s_mov_b32 s1, -1
	s_cbranch_scc0 .LBB44_268
; %bb.267:
	s_wait_xcnt 0x0
	v_cvt_i32_f32_e32 v1, v0
	s_mov_b32 s1, 0
	global_store_b8 v[2:3], v1, off
.LBB44_268:
	s_and_not1_b32 vcc_lo, exec_lo, s1
	s_cbranch_vccnz .LBB44_270
; %bb.269:
	s_wait_xcnt 0x0
	v_trunc_f32_e32 v0, v0
	s_delay_alu instid0(VALU_DEP_1) | instskip(NEXT) | instid1(VALU_DEP_1)
	v_mul_f32_e64 v1, 0x2f800000, |v0|
	v_floor_f32_e32 v1, v1
	s_delay_alu instid0(VALU_DEP_1) | instskip(SKIP_1) | instid1(VALU_DEP_2)
	v_fma_f32 v1, 0xcf800000, v1, |v0|
	v_ashrrev_i32_e32 v0, 31, v0
	v_cvt_u32_f32_e32 v1, v1
	s_delay_alu instid0(VALU_DEP_1) | instskip(NEXT) | instid1(VALU_DEP_1)
	v_xor_b32_e32 v1, v1, v0
	v_sub_nc_u32_e32 v0, v1, v0
	global_store_b8 v[2:3], v0, off
.LBB44_270:
	s_mov_b32 s3, -1
.LBB44_271:
	s_delay_alu instid0(SALU_CYCLE_1)
	s_and_not1_b32 vcc_lo, exec_lo, s3
	s_cbranch_vccnz .LBB44_384
; %bb.272:
	v_add_nc_u32_e32 v60, 0x80, v60
	s_mov_b32 s1, -1
	s_branch .LBB44_385
.LBB44_273:
	s_mov_b32 s58, -1
                                        ; implicit-def: $vgpr42
.LBB44_274:
	s_mov_b32 s2, 0
.LBB44_275:
	s_delay_alu instid0(SALU_CYCLE_1)
	s_and_b32 vcc_lo, exec_lo, s2
	s_cbranch_vccz .LBB44_279
; %bb.276:
	s_cmp_eq_u32 s0, 29
	s_cbranch_scc0 .LBB44_278
; %bb.277:
	global_load_b64 v[2:3], v[0:1], off
	s_mov_b32 s1, -1
	s_mov_b32 s58, 0
	s_mov_b32 s2, 0
	s_wait_loadcnt 0x0
	v_clz_i32_u32_e32 v4, v3
	s_delay_alu instid0(VALU_DEP_1) | instskip(NEXT) | instid1(VALU_DEP_1)
	v_min_u32_e32 v4, 32, v4
	v_lshlrev_b64_e32 v[2:3], v4, v[2:3]
	s_delay_alu instid0(VALU_DEP_1) | instskip(NEXT) | instid1(VALU_DEP_1)
	v_min_u32_e32 v2, 1, v2
	v_dual_sub_nc_u32 v3, 32, v4 :: v_dual_bitop2_b32 v2, v3, v2 bitop3:0x54
	s_delay_alu instid0(VALU_DEP_1) | instskip(NEXT) | instid1(VALU_DEP_1)
	v_cvt_f32_u32_e32 v2, v2
	v_ldexp_f32 v42, v2, v3
	s_branch .LBB44_280
.LBB44_278:
	s_mov_b32 s58, -1
                                        ; implicit-def: $vgpr42
.LBB44_279:
	s_mov_b32 s2, 0
.LBB44_280:
	s_delay_alu instid0(SALU_CYCLE_1)
	s_and_b32 vcc_lo, exec_lo, s2
	s_cbranch_vccz .LBB44_298
; %bb.281:
	s_cmp_lt_i32 s0, 27
	s_cbranch_scc1 .LBB44_284
; %bb.282:
	s_cmp_gt_i32 s0, 27
	s_cbranch_scc0 .LBB44_285
; %bb.283:
	global_load_b32 v2, v[0:1], off
	s_mov_b32 s1, 0
	s_wait_loadcnt 0x0
	v_cvt_f32_u32_e32 v42, v2
	s_branch .LBB44_286
.LBB44_284:
	s_mov_b32 s1, -1
                                        ; implicit-def: $vgpr42
	s_branch .LBB44_289
.LBB44_285:
	s_mov_b32 s1, -1
                                        ; implicit-def: $vgpr42
.LBB44_286:
	s_delay_alu instid0(SALU_CYCLE_1)
	s_and_not1_b32 vcc_lo, exec_lo, s1
	s_cbranch_vccnz .LBB44_288
; %bb.287:
	global_load_u16 v2, v[0:1], off
	s_wait_loadcnt 0x0
	v_cvt_f32_u32_e32 v42, v2
.LBB44_288:
	s_mov_b32 s1, 0
.LBB44_289:
	s_delay_alu instid0(SALU_CYCLE_1)
	s_and_not1_b32 vcc_lo, exec_lo, s1
	s_cbranch_vccnz .LBB44_297
; %bb.290:
	global_load_u8 v2, v[0:1], off
	s_mov_b32 s1, 0
	s_mov_b32 s2, exec_lo
	s_wait_loadcnt 0x0
	v_cmpx_lt_i16_e32 0x7f, v2
	s_xor_b32 s2, exec_lo, s2
	s_cbranch_execz .LBB44_311
; %bb.291:
	s_mov_b32 s1, -1
	s_mov_b32 s3, exec_lo
	v_cmpx_eq_u16_e32 0x80, v2
; %bb.292:
	s_xor_b32 s1, exec_lo, -1
; %bb.293:
	s_or_b32 exec_lo, exec_lo, s3
	s_delay_alu instid0(SALU_CYCLE_1)
	s_and_b32 s1, s1, exec_lo
	s_or_saveexec_b32 s2, s2
	v_mov_b32_e32 v42, 0x7f800001
	s_xor_b32 exec_lo, exec_lo, s2
	s_cbranch_execnz .LBB44_312
.LBB44_294:
	s_or_b32 exec_lo, exec_lo, s2
	s_and_saveexec_b32 s2, s1
	s_cbranch_execz .LBB44_296
.LBB44_295:
	v_and_b32_e32 v3, 0xffff, v2
	s_delay_alu instid0(VALU_DEP_1) | instskip(SKIP_1) | instid1(VALU_DEP_2)
	v_and_b32_e32 v4, 7, v3
	v_bfe_u32 v7, v3, 3, 4
	v_clz_i32_u32_e32 v5, v4
	s_delay_alu instid0(VALU_DEP_2) | instskip(NEXT) | instid1(VALU_DEP_2)
	v_cmp_eq_u32_e32 vcc_lo, 0, v7
	v_min_u32_e32 v5, 32, v5
	s_delay_alu instid0(VALU_DEP_1) | instskip(NEXT) | instid1(VALU_DEP_1)
	v_subrev_nc_u32_e32 v6, 28, v5
	v_dual_lshlrev_b32 v3, v6, v3 :: v_dual_sub_nc_u32 v5, 29, v5
	s_delay_alu instid0(VALU_DEP_1) | instskip(NEXT) | instid1(VALU_DEP_1)
	v_dual_lshlrev_b32 v2, 24, v2 :: v_dual_bitop2_b32 v3, 7, v3 bitop3:0x40
	v_dual_cndmask_b32 v5, v7, v5, vcc_lo :: v_dual_cndmask_b32 v3, v4, v3, vcc_lo
	s_delay_alu instid0(VALU_DEP_2) | instskip(NEXT) | instid1(VALU_DEP_2)
	v_and_b32_e32 v2, 0x80000000, v2
	v_lshl_add_u32 v4, v5, 23, 0x3b800000
	s_delay_alu instid0(VALU_DEP_3) | instskip(NEXT) | instid1(VALU_DEP_1)
	v_lshlrev_b32_e32 v3, 20, v3
	v_or3_b32 v42, v2, v4, v3
.LBB44_296:
	s_or_b32 exec_lo, exec_lo, s2
.LBB44_297:
	s_mov_b32 s1, -1
.LBB44_298:
	s_mov_b32 s2, 0
.LBB44_299:
	s_delay_alu instid0(SALU_CYCLE_1)
	s_and_b32 vcc_lo, exec_lo, s2
	s_cbranch_vccz .LBB44_334
; %bb.300:
	s_cmp_gt_i32 s0, 22
	s_cbranch_scc0 .LBB44_310
; %bb.301:
	s_cmp_lt_i32 s0, 24
	s_cbranch_scc1 .LBB44_313
; %bb.302:
	s_cmp_gt_i32 s0, 24
	s_cbranch_scc0 .LBB44_314
; %bb.303:
	global_load_u8 v2, v[0:1], off
	s_mov_b32 s1, 0
	s_mov_b32 s2, exec_lo
	s_wait_loadcnt 0x0
	v_cmpx_lt_i16_e32 0x7f, v2
	s_xor_b32 s2, exec_lo, s2
	s_cbranch_execz .LBB44_326
; %bb.304:
	s_mov_b32 s1, -1
	s_mov_b32 s3, exec_lo
	v_cmpx_eq_u16_e32 0x80, v2
; %bb.305:
	s_xor_b32 s1, exec_lo, -1
; %bb.306:
	s_or_b32 exec_lo, exec_lo, s3
	s_delay_alu instid0(SALU_CYCLE_1)
	s_and_b32 s1, s1, exec_lo
	s_or_saveexec_b32 s2, s2
	v_mov_b32_e32 v42, 0x7f800001
	s_xor_b32 exec_lo, exec_lo, s2
	s_cbranch_execnz .LBB44_327
.LBB44_307:
	s_or_b32 exec_lo, exec_lo, s2
	s_and_saveexec_b32 s2, s1
	s_cbranch_execz .LBB44_309
.LBB44_308:
	v_and_b32_e32 v3, 0xffff, v2
	s_delay_alu instid0(VALU_DEP_1) | instskip(SKIP_1) | instid1(VALU_DEP_2)
	v_and_b32_e32 v4, 3, v3
	v_bfe_u32 v7, v3, 2, 5
	v_clz_i32_u32_e32 v5, v4
	s_delay_alu instid0(VALU_DEP_2) | instskip(NEXT) | instid1(VALU_DEP_2)
	v_cmp_eq_u32_e32 vcc_lo, 0, v7
	v_min_u32_e32 v5, 32, v5
	s_delay_alu instid0(VALU_DEP_1) | instskip(NEXT) | instid1(VALU_DEP_1)
	v_subrev_nc_u32_e32 v6, 29, v5
	v_dual_lshlrev_b32 v3, v6, v3 :: v_dual_sub_nc_u32 v5, 30, v5
	s_delay_alu instid0(VALU_DEP_1) | instskip(NEXT) | instid1(VALU_DEP_1)
	v_dual_lshlrev_b32 v2, 24, v2 :: v_dual_bitop2_b32 v3, 3, v3 bitop3:0x40
	v_dual_cndmask_b32 v5, v7, v5, vcc_lo :: v_dual_cndmask_b32 v3, v4, v3, vcc_lo
	s_delay_alu instid0(VALU_DEP_2) | instskip(NEXT) | instid1(VALU_DEP_2)
	v_and_b32_e32 v2, 0x80000000, v2
	v_lshl_add_u32 v4, v5, 23, 0x37800000
	s_delay_alu instid0(VALU_DEP_3) | instskip(NEXT) | instid1(VALU_DEP_1)
	v_lshlrev_b32_e32 v3, 21, v3
	v_or3_b32 v42, v2, v4, v3
.LBB44_309:
	s_or_b32 exec_lo, exec_lo, s2
	s_mov_b32 s1, 0
	s_branch .LBB44_315
.LBB44_310:
	s_mov_b32 s2, -1
                                        ; implicit-def: $vgpr42
	s_branch .LBB44_321
.LBB44_311:
	s_or_saveexec_b32 s2, s2
	v_mov_b32_e32 v42, 0x7f800001
	s_xor_b32 exec_lo, exec_lo, s2
	s_cbranch_execz .LBB44_294
.LBB44_312:
	v_cmp_ne_u16_e32 vcc_lo, 0, v2
	v_mov_b32_e32 v42, 0
	s_and_not1_b32 s1, s1, exec_lo
	s_and_b32 s3, vcc_lo, exec_lo
	s_delay_alu instid0(SALU_CYCLE_1)
	s_or_b32 s1, s1, s3
	s_or_b32 exec_lo, exec_lo, s2
	s_and_saveexec_b32 s2, s1
	s_cbranch_execnz .LBB44_295
	s_branch .LBB44_296
.LBB44_313:
	s_mov_b32 s1, -1
                                        ; implicit-def: $vgpr42
	s_branch .LBB44_318
.LBB44_314:
	s_mov_b32 s1, -1
                                        ; implicit-def: $vgpr42
.LBB44_315:
	s_delay_alu instid0(SALU_CYCLE_1)
	s_and_b32 vcc_lo, exec_lo, s1
	s_cbranch_vccz .LBB44_317
; %bb.316:
	global_load_u8 v2, v[0:1], off
	s_wait_loadcnt 0x0
	v_lshlrev_b32_e32 v2, 24, v2
	s_delay_alu instid0(VALU_DEP_1) | instskip(NEXT) | instid1(VALU_DEP_1)
	v_and_b32_e32 v3, 0x7f000000, v2
	v_clz_i32_u32_e32 v4, v3
	v_cmp_ne_u32_e32 vcc_lo, 0, v3
	v_add_nc_u32_e32 v6, 0x1000000, v3
	s_delay_alu instid0(VALU_DEP_3) | instskip(NEXT) | instid1(VALU_DEP_1)
	v_min_u32_e32 v4, 32, v4
	v_sub_nc_u32_e64 v4, v4, 4 clamp
	s_delay_alu instid0(VALU_DEP_1) | instskip(NEXT) | instid1(VALU_DEP_1)
	v_dual_lshlrev_b32 v5, v4, v3 :: v_dual_lshlrev_b32 v4, 23, v4
	v_lshrrev_b32_e32 v5, 4, v5
	s_delay_alu instid0(VALU_DEP_1) | instskip(NEXT) | instid1(VALU_DEP_1)
	v_dual_sub_nc_u32 v4, v5, v4 :: v_dual_ashrrev_i32 v5, 8, v6
	v_add_nc_u32_e32 v4, 0x3c000000, v4
	s_delay_alu instid0(VALU_DEP_1) | instskip(NEXT) | instid1(VALU_DEP_1)
	v_and_or_b32 v4, 0x7f800000, v5, v4
	v_cndmask_b32_e32 v3, 0, v4, vcc_lo
	s_delay_alu instid0(VALU_DEP_1)
	v_and_or_b32 v42, 0x80000000, v2, v3
.LBB44_317:
	s_mov_b32 s1, 0
.LBB44_318:
	s_delay_alu instid0(SALU_CYCLE_1)
	s_and_not1_b32 vcc_lo, exec_lo, s1
	s_cbranch_vccnz .LBB44_320
; %bb.319:
	global_load_u8 v2, v[0:1], off
	s_wait_loadcnt 0x0
	v_lshlrev_b32_e32 v3, 25, v2
	v_lshlrev_b16 v2, 8, v2
	s_delay_alu instid0(VALU_DEP_1) | instskip(SKIP_1) | instid1(VALU_DEP_2)
	v_and_or_b32 v5, 0x7f00, v2, 0.5
	v_bfe_i32 v2, v2, 0, 16
	v_dual_add_f32 v5, -0.5, v5 :: v_dual_lshrrev_b32 v4, 4, v3
	v_cmp_gt_u32_e32 vcc_lo, 0x8000000, v3
	s_delay_alu instid0(VALU_DEP_2) | instskip(NEXT) | instid1(VALU_DEP_1)
	v_or_b32_e32 v4, 0x70000000, v4
	v_mul_f32_e32 v4, 0x7800000, v4
	s_delay_alu instid0(VALU_DEP_1) | instskip(NEXT) | instid1(VALU_DEP_1)
	v_cndmask_b32_e32 v3, v4, v5, vcc_lo
	v_and_or_b32 v42, 0x80000000, v2, v3
.LBB44_320:
	s_mov_b32 s2, 0
	s_mov_b32 s1, -1
.LBB44_321:
	s_and_not1_b32 vcc_lo, exec_lo, s2
	s_cbranch_vccnz .LBB44_334
; %bb.322:
	s_cmp_gt_i32 s0, 14
	s_cbranch_scc0 .LBB44_325
; %bb.323:
	s_cmp_eq_u32 s0, 15
	s_cbranch_scc0 .LBB44_328
; %bb.324:
	global_load_u16 v2, v[0:1], off
	s_mov_b32 s1, -1
	s_mov_b32 s58, 0
	s_wait_loadcnt 0x0
	v_lshlrev_b32_e32 v42, 16, v2
	s_branch .LBB44_329
.LBB44_325:
	s_mov_b32 s2, -1
                                        ; implicit-def: $vgpr42
	s_branch .LBB44_330
.LBB44_326:
	s_or_saveexec_b32 s2, s2
	v_mov_b32_e32 v42, 0x7f800001
	s_xor_b32 exec_lo, exec_lo, s2
	s_cbranch_execz .LBB44_307
.LBB44_327:
	v_cmp_ne_u16_e32 vcc_lo, 0, v2
	v_mov_b32_e32 v42, 0
	s_and_not1_b32 s1, s1, exec_lo
	s_and_b32 s3, vcc_lo, exec_lo
	s_delay_alu instid0(SALU_CYCLE_1)
	s_or_b32 s1, s1, s3
	s_or_b32 exec_lo, exec_lo, s2
	s_and_saveexec_b32 s2, s1
	s_cbranch_execnz .LBB44_308
	s_branch .LBB44_309
.LBB44_328:
	s_mov_b32 s58, -1
                                        ; implicit-def: $vgpr42
.LBB44_329:
	s_mov_b32 s2, 0
.LBB44_330:
	s_delay_alu instid0(SALU_CYCLE_1)
	s_and_b32 vcc_lo, exec_lo, s2
	s_cbranch_vccz .LBB44_334
; %bb.331:
	s_cmp_eq_u32 s0, 11
	s_cbranch_scc0 .LBB44_333
; %bb.332:
	global_load_u8 v2, v[0:1], off
	s_mov_b32 s58, 0
	s_mov_b32 s1, -1
	s_wait_loadcnt 0x0
	v_cmp_ne_u16_e32 vcc_lo, 0, v2
	v_cndmask_b32_e64 v42, 0, 1.0, vcc_lo
	s_branch .LBB44_334
.LBB44_333:
	s_mov_b32 s58, -1
                                        ; implicit-def: $vgpr42
.LBB44_334:
	s_branch .LBB44_136
.LBB44_335:
	s_cmp_lt_i32 s0, 5
	s_cbranch_scc1 .LBB44_340
; %bb.336:
	s_cmp_lt_i32 s0, 8
	s_cbranch_scc1 .LBB44_341
; %bb.337:
	;; [unrolled: 3-line block ×3, first 2 shown]
	s_cmp_gt_i32 s0, 9
	s_cbranch_scc0 .LBB44_343
; %bb.339:
	global_load_b64 v[2:3], v[0:1], off
	s_mov_b32 s1, 0
	s_wait_loadcnt 0x0
	v_cvt_f32_f64_e32 v42, v[2:3]
	s_branch .LBB44_344
.LBB44_340:
	s_mov_b32 s1, -1
                                        ; implicit-def: $vgpr42
	s_branch .LBB44_362
.LBB44_341:
	s_mov_b32 s1, -1
                                        ; implicit-def: $vgpr42
	s_branch .LBB44_350
.LBB44_342:
	s_mov_b32 s1, -1
                                        ; implicit-def: $vgpr42
	s_branch .LBB44_347
.LBB44_343:
	s_mov_b32 s1, -1
                                        ; implicit-def: $vgpr42
.LBB44_344:
	s_delay_alu instid0(SALU_CYCLE_1)
	s_and_not1_b32 vcc_lo, exec_lo, s1
	s_cbranch_vccnz .LBB44_346
; %bb.345:
	global_load_b32 v42, v[0:1], off
.LBB44_346:
	s_mov_b32 s1, 0
.LBB44_347:
	s_delay_alu instid0(SALU_CYCLE_1)
	s_and_not1_b32 vcc_lo, exec_lo, s1
	s_cbranch_vccnz .LBB44_349
; %bb.348:
	global_load_b32 v2, v[0:1], off
	s_wait_loadcnt 0x0
	v_cvt_f32_f16_e32 v42, v2
.LBB44_349:
	s_mov_b32 s1, 0
.LBB44_350:
	s_delay_alu instid0(SALU_CYCLE_1)
	s_and_not1_b32 vcc_lo, exec_lo, s1
	s_cbranch_vccnz .LBB44_361
; %bb.351:
	s_cmp_lt_i32 s0, 6
	s_cbranch_scc1 .LBB44_354
; %bb.352:
	s_cmp_gt_i32 s0, 6
	s_cbranch_scc0 .LBB44_355
; %bb.353:
	global_load_b64 v[2:3], v[0:1], off
	s_mov_b32 s1, 0
	s_wait_loadcnt 0x0
	v_cvt_f32_f64_e32 v42, v[2:3]
	s_branch .LBB44_356
.LBB44_354:
	s_mov_b32 s1, -1
                                        ; implicit-def: $vgpr42
	s_branch .LBB44_359
.LBB44_355:
	s_mov_b32 s1, -1
                                        ; implicit-def: $vgpr42
.LBB44_356:
	s_delay_alu instid0(SALU_CYCLE_1)
	s_and_not1_b32 vcc_lo, exec_lo, s1
	s_cbranch_vccnz .LBB44_358
; %bb.357:
	s_wait_loadcnt 0x0
	global_load_b32 v42, v[0:1], off
.LBB44_358:
	s_mov_b32 s1, 0
.LBB44_359:
	s_delay_alu instid0(SALU_CYCLE_1)
	s_and_not1_b32 vcc_lo, exec_lo, s1
	s_cbranch_vccnz .LBB44_361
; %bb.360:
	global_load_u16 v2, v[0:1], off
	s_wait_loadcnt 0x0
	v_cvt_f32_f16_e32 v42, v2
.LBB44_361:
	s_mov_b32 s1, 0
.LBB44_362:
	s_delay_alu instid0(SALU_CYCLE_1)
	s_and_not1_b32 vcc_lo, exec_lo, s1
	s_cbranch_vccnz .LBB44_382
; %bb.363:
	s_cmp_lt_i32 s0, 2
	s_cbranch_scc1 .LBB44_367
; %bb.364:
	s_cmp_lt_i32 s0, 3
	s_cbranch_scc1 .LBB44_368
; %bb.365:
	s_cmp_gt_i32 s0, 3
	s_cbranch_scc0 .LBB44_369
; %bb.366:
	global_load_b64 v[2:3], v[0:1], off
	s_mov_b32 s1, 0
	s_wait_loadcnt 0x0
	v_xor_b32_e32 v4, v2, v3
	v_cls_i32_e32 v5, v3
	s_delay_alu instid0(VALU_DEP_2) | instskip(NEXT) | instid1(VALU_DEP_1)
	v_ashrrev_i32_e32 v4, 31, v4
	v_add_nc_u32_e32 v4, 32, v4
	s_delay_alu instid0(VALU_DEP_1) | instskip(NEXT) | instid1(VALU_DEP_1)
	v_add_min_u32_e64 v4, v5, -1, v4
	v_lshlrev_b64_e32 v[2:3], v4, v[2:3]
	s_delay_alu instid0(VALU_DEP_1) | instskip(NEXT) | instid1(VALU_DEP_1)
	v_min_u32_e32 v2, 1, v2
	v_dual_sub_nc_u32 v3, 32, v4 :: v_dual_bitop2_b32 v2, v3, v2 bitop3:0x54
	s_delay_alu instid0(VALU_DEP_1) | instskip(NEXT) | instid1(VALU_DEP_1)
	v_cvt_f32_i32_e32 v2, v2
	v_ldexp_f32 v42, v2, v3
	s_branch .LBB44_370
.LBB44_367:
	s_mov_b32 s1, -1
                                        ; implicit-def: $vgpr42
	s_branch .LBB44_376
.LBB44_368:
	s_mov_b32 s1, -1
                                        ; implicit-def: $vgpr42
	s_branch .LBB44_373
.LBB44_369:
	s_mov_b32 s1, -1
                                        ; implicit-def: $vgpr42
.LBB44_370:
	s_delay_alu instid0(SALU_CYCLE_1)
	s_and_not1_b32 vcc_lo, exec_lo, s1
	s_cbranch_vccnz .LBB44_372
; %bb.371:
	global_load_b32 v2, v[0:1], off
	s_wait_loadcnt 0x0
	v_cvt_f32_i32_e32 v42, v2
.LBB44_372:
	s_mov_b32 s1, 0
.LBB44_373:
	s_delay_alu instid0(SALU_CYCLE_1)
	s_and_not1_b32 vcc_lo, exec_lo, s1
	s_cbranch_vccnz .LBB44_375
; %bb.374:
	global_load_i16 v2, v[0:1], off
	s_wait_loadcnt 0x0
	v_cvt_f32_i32_e32 v42, v2
.LBB44_375:
	s_mov_b32 s1, 0
.LBB44_376:
	s_delay_alu instid0(SALU_CYCLE_1)
	s_and_not1_b32 vcc_lo, exec_lo, s1
	s_cbranch_vccnz .LBB44_382
; %bb.377:
	s_cmp_gt_i32 s0, 0
	s_mov_b32 s0, 0
	s_cbranch_scc0 .LBB44_379
; %bb.378:
	global_load_i8 v2, v[0:1], off
	s_wait_loadcnt 0x0
	v_cvt_f32_i32_e32 v42, v2
	s_branch .LBB44_380
.LBB44_379:
	s_mov_b32 s0, -1
                                        ; implicit-def: $vgpr42
.LBB44_380:
	s_delay_alu instid0(SALU_CYCLE_1)
	s_and_not1_b32 vcc_lo, exec_lo, s0
	s_cbranch_vccnz .LBB44_382
; %bb.381:
	global_load_u8 v0, v[0:1], off
	s_wait_loadcnt 0x0
	v_cvt_f32_ubyte0_e32 v42, v0
.LBB44_382:
	s_branch .LBB44_137
.LBB44_383:
	s_mov_b32 s0, 0
.LBB44_384:
	s_mov_b32 s1, 0
                                        ; implicit-def: $vgpr60
.LBB44_385:
	s_and_b32 s57, s0, exec_lo
	s_and_b32 s58, s58, exec_lo
	;; [unrolled: 1-line block ×3, first 2 shown]
	s_or_not1_b32 s2, s1, exec_lo
.LBB44_386:
	s_wait_xcnt 0x0
	s_or_b32 exec_lo, exec_lo, s60
	s_mov_b32 s3, 0
	s_mov_b32 s1, 0
                                        ; implicit-def: $sgpr0
                                        ; implicit-def: $vgpr0_vgpr1
                                        ; implicit-def: $vgpr40
	s_and_saveexec_b32 s60, s2
	s_cbranch_execz .LBB44_395
; %bb.387:
	s_mov_b32 s1, -1
	s_mov_b32 s61, s59
	s_mov_b32 s63, s58
	;; [unrolled: 1-line block ×3, first 2 shown]
	s_mov_b32 s64, exec_lo
	v_cmpx_gt_i32_e64 s56, v60
	s_cbranch_execz .LBB44_784
; %bb.388:
	v_mul_lo_u32 v0, v60, s49
	s_and_b32 s0, s53, 0xff
	s_delay_alu instid0(SALU_CYCLE_1) | instskip(NEXT) | instid1(VALU_DEP_1)
	s_cmp_lt_i32 s0, 11
	v_ashrrev_i32_e32 v1, 31, v0
	s_delay_alu instid0(VALU_DEP_1)
	v_add_nc_u64_e32 v[0:1], s[38:39], v[0:1]
	s_cbranch_scc1 .LBB44_398
; %bb.389:
	s_and_b32 s1, 0xffff, s0
	s_delay_alu instid0(SALU_CYCLE_1)
	s_cmp_gt_i32 s1, 25
	s_cbranch_scc0 .LBB44_407
; %bb.390:
	s_cmp_gt_i32 s1, 28
	s_cbranch_scc0 .LBB44_409
; %bb.391:
	;; [unrolled: 3-line block ×4, first 2 shown]
	s_cmp_eq_u32 s1, 46
	s_cbranch_scc0 .LBB44_417
; %bb.394:
	global_load_b32 v2, v[0:1], off
	s_mov_b32 s2, -1
	s_mov_b32 s61, 0
	s_wait_loadcnt 0x0
	v_lshlrev_b32_e32 v40, 16, v2
	s_branch .LBB44_419
.LBB44_395:
	s_or_b32 exec_lo, exec_lo, s60
	s_mov_b32 s56, 0
	s_and_saveexec_b32 s2, s59
	s_cbranch_execnz .LBB44_1265
.LBB44_396:
	s_or_b32 exec_lo, exec_lo, s2
	s_and_saveexec_b32 s2, s61
	s_delay_alu instid0(SALU_CYCLE_1)
	s_xor_b32 s2, exec_lo, s2
	s_cbranch_execz .LBB44_1266
.LBB44_397:
	global_load_u8 v2, v[0:1], off
	s_or_b32 s1, s1, exec_lo
	s_wait_loadcnt 0x0
	v_cmp_ne_u16_e32 vcc_lo, 0, v2
	v_cndmask_b32_e64 v40, 0, 1.0, vcc_lo
	s_wait_xcnt 0x0
	s_or_b32 exec_lo, exec_lo, s2
	s_and_saveexec_b32 s2, s3
	s_cbranch_execz .LBB44_1312
	s_branch .LBB44_1267
.LBB44_398:
	s_mov_b32 s2, 0
	s_mov_b32 s61, s59
                                        ; implicit-def: $vgpr40
	s_and_b32 vcc_lo, exec_lo, s1
	s_cbranch_vccnz .LBB44_485
.LBB44_399:
	s_and_not1_b32 vcc_lo, exec_lo, s2
	s_cbranch_vccnz .LBB44_533
.LBB44_400:
	s_wait_xcnt 0x0
	v_mul_lo_u32 v0, v60, s50
	s_and_b32 s0, 0xffff, s47
	s_delay_alu instid0(SALU_CYCLE_1) | instskip(NEXT) | instid1(VALU_DEP_1)
	s_cmp_lt_i32 s0, 11
	v_ashrrev_i32_e32 v1, 31, v0
	s_delay_alu instid0(VALU_DEP_1)
	v_add_nc_u64_e32 v[0:1], s[34:35], v[0:1]
	s_cbranch_scc1 .LBB44_408
; %bb.401:
	s_cmp_gt_i32 s0, 25
	s_cbranch_scc0 .LBB44_410
; %bb.402:
	s_cmp_gt_i32 s0, 28
	s_cbranch_scc0 .LBB44_412
	;; [unrolled: 3-line block ×4, first 2 shown]
; %bb.405:
	s_cmp_eq_u32 s0, 46
	s_mov_b32 s2, 0
	s_cbranch_scc0 .LBB44_536
; %bb.406:
	global_load_b32 v2, v[0:1], off
	s_mov_b32 s1, -1
	s_mov_b32 s63, 0
	s_wait_loadcnt 0x0
	v_lshlrev_b32_e32 v42, 16, v2
	s_branch .LBB44_538
.LBB44_407:
	s_mov_b32 s3, -1
	s_mov_b32 s2, 0
	s_mov_b32 s61, s59
                                        ; implicit-def: $vgpr40
	s_branch .LBB44_449
.LBB44_408:
	s_mov_b32 s2, -1
	s_mov_b32 s1, 0
	s_mov_b32 s63, s58
                                        ; implicit-def: $vgpr42
	s_branch .LBB44_603
.LBB44_409:
	s_mov_b32 s3, -1
	s_mov_b32 s2, 0
	s_mov_b32 s61, s59
                                        ; implicit-def: $vgpr40
	s_branch .LBB44_430
.LBB44_410:
	s_mov_b32 s2, -1
	s_mov_b32 s1, 0
	s_mov_b32 s63, s58
                                        ; implicit-def: $vgpr42
	s_branch .LBB44_567
.LBB44_411:
	s_mov_b32 s3, -1
	s_mov_b32 s2, 0
	s_mov_b32 s61, s59
                                        ; implicit-def: $vgpr40
	s_branch .LBB44_425
.LBB44_412:
	s_mov_b32 s2, -1
	s_mov_b32 s1, 0
	s_mov_b32 s63, s58
                                        ; implicit-def: $vgpr42
	s_branch .LBB44_548
.LBB44_413:
	s_mov_b32 s3, -1
	s_mov_b32 s2, 0
	s_mov_b32 s61, s59
	s_branch .LBB44_418
.LBB44_414:
	s_mov_b32 s2, -1
	s_mov_b32 s1, 0
	s_mov_b32 s63, s58
                                        ; implicit-def: $vgpr42
	s_branch .LBB44_543
.LBB44_415:
	s_and_not1_saveexec_b32 s5, s5
	s_cbranch_execz .LBB44_184
.LBB44_416:
	v_add_f32_e64 v1, 0x46000000, |v0|
	s_and_not1_b32 s4, s4, exec_lo
	s_delay_alu instid0(VALU_DEP_1) | instskip(NEXT) | instid1(VALU_DEP_1)
	v_and_b32_e32 v1, 0xff, v1
	v_cmp_ne_u32_e32 vcc_lo, 0, v1
	s_and_b32 s6, vcc_lo, exec_lo
	s_delay_alu instid0(SALU_CYCLE_1)
	s_or_b32 s4, s4, s6
	s_or_b32 exec_lo, exec_lo, s5
	v_mov_b32_e32 v4, 0
	s_and_saveexec_b32 s5, s4
	s_cbranch_execnz .LBB44_185
	s_branch .LBB44_186
.LBB44_417:
	s_mov_b32 s61, -1
	s_mov_b32 s2, 0
.LBB44_418:
                                        ; implicit-def: $vgpr40
.LBB44_419:
	s_and_b32 vcc_lo, exec_lo, s3
	s_cbranch_vccz .LBB44_424
; %bb.420:
	s_cmp_eq_u32 s1, 44
	s_cbranch_scc0 .LBB44_423
; %bb.421:
	global_load_u8 v2, v[0:1], off
	s_mov_b32 s61, 0
	s_mov_b32 s2, -1
	s_wait_loadcnt 0x0
	v_lshlrev_b32_e32 v3, 23, v2
	v_cmp_ne_u32_e32 vcc_lo, 0xff, v2
	s_delay_alu instid0(VALU_DEP_2) | instskip(SKIP_1) | instid1(VALU_DEP_2)
	v_cndmask_b32_e32 v3, 0x7f800001, v3, vcc_lo
	v_cmp_ne_u32_e32 vcc_lo, 0, v2
	v_cndmask_b32_e32 v40, 0x400000, v3, vcc_lo
	s_branch .LBB44_424
.LBB44_422:
	s_mov_b32 s2, -1
	s_mov_b32 s1, 0
	s_mov_b32 s63, s58
	s_branch .LBB44_537
.LBB44_423:
	s_mov_b32 s61, -1
                                        ; implicit-def: $vgpr40
.LBB44_424:
	s_mov_b32 s3, 0
.LBB44_425:
	s_delay_alu instid0(SALU_CYCLE_1)
	s_and_b32 vcc_lo, exec_lo, s3
	s_cbranch_vccz .LBB44_429
; %bb.426:
	s_cmp_eq_u32 s1, 29
	s_cbranch_scc0 .LBB44_428
; %bb.427:
	global_load_b64 v[2:3], v[0:1], off
	s_mov_b32 s2, -1
	s_mov_b32 s61, 0
	s_mov_b32 s3, 0
	s_wait_loadcnt 0x0
	v_clz_i32_u32_e32 v4, v3
	s_delay_alu instid0(VALU_DEP_1) | instskip(NEXT) | instid1(VALU_DEP_1)
	v_min_u32_e32 v4, 32, v4
	v_lshlrev_b64_e32 v[2:3], v4, v[2:3]
	s_delay_alu instid0(VALU_DEP_1) | instskip(NEXT) | instid1(VALU_DEP_1)
	v_min_u32_e32 v2, 1, v2
	v_dual_sub_nc_u32 v3, 32, v4 :: v_dual_bitop2_b32 v2, v3, v2 bitop3:0x54
	s_delay_alu instid0(VALU_DEP_1) | instskip(NEXT) | instid1(VALU_DEP_1)
	v_cvt_f32_u32_e32 v2, v2
	v_ldexp_f32 v40, v2, v3
	s_branch .LBB44_430
.LBB44_428:
	s_mov_b32 s61, -1
                                        ; implicit-def: $vgpr40
.LBB44_429:
	s_mov_b32 s3, 0
.LBB44_430:
	s_delay_alu instid0(SALU_CYCLE_1)
	s_and_b32 vcc_lo, exec_lo, s3
	s_cbranch_vccz .LBB44_448
; %bb.431:
	s_cmp_lt_i32 s1, 27
	s_cbranch_scc1 .LBB44_434
; %bb.432:
	s_cmp_gt_i32 s1, 27
	s_cbranch_scc0 .LBB44_435
; %bb.433:
	global_load_b32 v2, v[0:1], off
	s_mov_b32 s2, 0
	s_wait_loadcnt 0x0
	v_cvt_f32_u32_e32 v40, v2
	s_branch .LBB44_436
.LBB44_434:
	s_mov_b32 s2, -1
                                        ; implicit-def: $vgpr40
	s_branch .LBB44_439
.LBB44_435:
	s_mov_b32 s2, -1
                                        ; implicit-def: $vgpr40
.LBB44_436:
	s_delay_alu instid0(SALU_CYCLE_1)
	s_and_not1_b32 vcc_lo, exec_lo, s2
	s_cbranch_vccnz .LBB44_438
; %bb.437:
	global_load_u16 v2, v[0:1], off
	s_wait_loadcnt 0x0
	v_cvt_f32_u32_e32 v40, v2
.LBB44_438:
	s_mov_b32 s2, 0
.LBB44_439:
	s_delay_alu instid0(SALU_CYCLE_1)
	s_and_not1_b32 vcc_lo, exec_lo, s2
	s_cbranch_vccnz .LBB44_447
; %bb.440:
	global_load_u8 v2, v[0:1], off
	s_mov_b32 s2, 0
	s_mov_b32 s3, exec_lo
	s_wait_loadcnt 0x0
	v_cmpx_lt_i16_e32 0x7f, v2
	s_xor_b32 s3, exec_lo, s3
	s_cbranch_execz .LBB44_461
; %bb.441:
	s_mov_b32 s2, -1
	s_mov_b32 s4, exec_lo
	v_cmpx_eq_u16_e32 0x80, v2
; %bb.442:
	s_xor_b32 s2, exec_lo, -1
; %bb.443:
	s_or_b32 exec_lo, exec_lo, s4
	s_delay_alu instid0(SALU_CYCLE_1)
	s_and_b32 s2, s2, exec_lo
	s_or_saveexec_b32 s3, s3
	v_mov_b32_e32 v40, 0x7f800001
	s_xor_b32 exec_lo, exec_lo, s3
	s_cbranch_execnz .LBB44_462
.LBB44_444:
	s_or_b32 exec_lo, exec_lo, s3
	s_and_saveexec_b32 s3, s2
	s_cbranch_execz .LBB44_446
.LBB44_445:
	v_and_b32_e32 v3, 0xffff, v2
	s_delay_alu instid0(VALU_DEP_1) | instskip(SKIP_1) | instid1(VALU_DEP_2)
	v_and_b32_e32 v4, 7, v3
	v_bfe_u32 v7, v3, 3, 4
	v_clz_i32_u32_e32 v5, v4
	s_delay_alu instid0(VALU_DEP_2) | instskip(NEXT) | instid1(VALU_DEP_2)
	v_cmp_eq_u32_e32 vcc_lo, 0, v7
	v_min_u32_e32 v5, 32, v5
	s_delay_alu instid0(VALU_DEP_1) | instskip(NEXT) | instid1(VALU_DEP_1)
	v_subrev_nc_u32_e32 v6, 28, v5
	v_dual_lshlrev_b32 v3, v6, v3 :: v_dual_sub_nc_u32 v5, 29, v5
	s_delay_alu instid0(VALU_DEP_1) | instskip(NEXT) | instid1(VALU_DEP_1)
	v_dual_lshlrev_b32 v2, 24, v2 :: v_dual_bitop2_b32 v3, 7, v3 bitop3:0x40
	v_dual_cndmask_b32 v5, v7, v5, vcc_lo :: v_dual_cndmask_b32 v3, v4, v3, vcc_lo
	s_delay_alu instid0(VALU_DEP_2) | instskip(NEXT) | instid1(VALU_DEP_2)
	v_and_b32_e32 v2, 0x80000000, v2
	v_lshl_add_u32 v4, v5, 23, 0x3b800000
	s_delay_alu instid0(VALU_DEP_3) | instskip(NEXT) | instid1(VALU_DEP_1)
	v_lshlrev_b32_e32 v3, 20, v3
	v_or3_b32 v40, v2, v4, v3
.LBB44_446:
	s_or_b32 exec_lo, exec_lo, s3
.LBB44_447:
	s_mov_b32 s2, -1
.LBB44_448:
	s_mov_b32 s3, 0
.LBB44_449:
	s_delay_alu instid0(SALU_CYCLE_1)
	s_and_b32 vcc_lo, exec_lo, s3
	s_cbranch_vccz .LBB44_484
; %bb.450:
	s_cmp_gt_i32 s1, 22
	s_cbranch_scc0 .LBB44_460
; %bb.451:
	s_cmp_lt_i32 s1, 24
	s_cbranch_scc1 .LBB44_463
; %bb.452:
	s_cmp_gt_i32 s1, 24
	s_cbranch_scc0 .LBB44_464
; %bb.453:
	global_load_u8 v2, v[0:1], off
	s_mov_b32 s2, 0
	s_mov_b32 s3, exec_lo
	s_wait_loadcnt 0x0
	v_cmpx_lt_i16_e32 0x7f, v2
	s_xor_b32 s3, exec_lo, s3
	s_cbranch_execz .LBB44_476
; %bb.454:
	s_mov_b32 s2, -1
	s_mov_b32 s4, exec_lo
	v_cmpx_eq_u16_e32 0x80, v2
; %bb.455:
	s_xor_b32 s2, exec_lo, -1
; %bb.456:
	s_or_b32 exec_lo, exec_lo, s4
	s_delay_alu instid0(SALU_CYCLE_1)
	s_and_b32 s2, s2, exec_lo
	s_or_saveexec_b32 s3, s3
	v_mov_b32_e32 v40, 0x7f800001
	s_xor_b32 exec_lo, exec_lo, s3
	s_cbranch_execnz .LBB44_477
.LBB44_457:
	s_or_b32 exec_lo, exec_lo, s3
	s_and_saveexec_b32 s3, s2
	s_cbranch_execz .LBB44_459
.LBB44_458:
	v_and_b32_e32 v3, 0xffff, v2
	s_delay_alu instid0(VALU_DEP_1) | instskip(SKIP_1) | instid1(VALU_DEP_2)
	v_and_b32_e32 v4, 3, v3
	v_bfe_u32 v7, v3, 2, 5
	v_clz_i32_u32_e32 v5, v4
	s_delay_alu instid0(VALU_DEP_2) | instskip(NEXT) | instid1(VALU_DEP_2)
	v_cmp_eq_u32_e32 vcc_lo, 0, v7
	v_min_u32_e32 v5, 32, v5
	s_delay_alu instid0(VALU_DEP_1) | instskip(NEXT) | instid1(VALU_DEP_1)
	v_subrev_nc_u32_e32 v6, 29, v5
	v_dual_lshlrev_b32 v3, v6, v3 :: v_dual_sub_nc_u32 v5, 30, v5
	s_delay_alu instid0(VALU_DEP_1) | instskip(NEXT) | instid1(VALU_DEP_1)
	v_dual_lshlrev_b32 v2, 24, v2 :: v_dual_bitop2_b32 v3, 3, v3 bitop3:0x40
	v_dual_cndmask_b32 v5, v7, v5, vcc_lo :: v_dual_cndmask_b32 v3, v4, v3, vcc_lo
	s_delay_alu instid0(VALU_DEP_2) | instskip(NEXT) | instid1(VALU_DEP_2)
	v_and_b32_e32 v2, 0x80000000, v2
	v_lshl_add_u32 v4, v5, 23, 0x37800000
	s_delay_alu instid0(VALU_DEP_3) | instskip(NEXT) | instid1(VALU_DEP_1)
	v_lshlrev_b32_e32 v3, 21, v3
	v_or3_b32 v40, v2, v4, v3
.LBB44_459:
	s_or_b32 exec_lo, exec_lo, s3
	s_mov_b32 s2, 0
	s_branch .LBB44_465
.LBB44_460:
	s_mov_b32 s3, -1
                                        ; implicit-def: $vgpr40
	s_branch .LBB44_471
.LBB44_461:
	s_or_saveexec_b32 s3, s3
	v_mov_b32_e32 v40, 0x7f800001
	s_xor_b32 exec_lo, exec_lo, s3
	s_cbranch_execz .LBB44_444
.LBB44_462:
	v_cmp_ne_u16_e32 vcc_lo, 0, v2
	v_mov_b32_e32 v40, 0
	s_and_not1_b32 s2, s2, exec_lo
	s_and_b32 s4, vcc_lo, exec_lo
	s_delay_alu instid0(SALU_CYCLE_1)
	s_or_b32 s2, s2, s4
	s_or_b32 exec_lo, exec_lo, s3
	s_and_saveexec_b32 s3, s2
	s_cbranch_execnz .LBB44_445
	s_branch .LBB44_446
.LBB44_463:
	s_mov_b32 s2, -1
                                        ; implicit-def: $vgpr40
	s_branch .LBB44_468
.LBB44_464:
	s_mov_b32 s2, -1
                                        ; implicit-def: $vgpr40
.LBB44_465:
	s_delay_alu instid0(SALU_CYCLE_1)
	s_and_b32 vcc_lo, exec_lo, s2
	s_cbranch_vccz .LBB44_467
; %bb.466:
	global_load_u8 v2, v[0:1], off
	s_wait_loadcnt 0x0
	v_lshlrev_b32_e32 v2, 24, v2
	s_delay_alu instid0(VALU_DEP_1) | instskip(NEXT) | instid1(VALU_DEP_1)
	v_and_b32_e32 v3, 0x7f000000, v2
	v_clz_i32_u32_e32 v4, v3
	v_cmp_ne_u32_e32 vcc_lo, 0, v3
	v_add_nc_u32_e32 v6, 0x1000000, v3
	s_delay_alu instid0(VALU_DEP_3) | instskip(NEXT) | instid1(VALU_DEP_1)
	v_min_u32_e32 v4, 32, v4
	v_sub_nc_u32_e64 v4, v4, 4 clamp
	s_delay_alu instid0(VALU_DEP_1) | instskip(NEXT) | instid1(VALU_DEP_1)
	v_dual_lshlrev_b32 v5, v4, v3 :: v_dual_lshlrev_b32 v4, 23, v4
	v_lshrrev_b32_e32 v5, 4, v5
	s_delay_alu instid0(VALU_DEP_1) | instskip(NEXT) | instid1(VALU_DEP_1)
	v_dual_sub_nc_u32 v4, v5, v4 :: v_dual_ashrrev_i32 v5, 8, v6
	v_add_nc_u32_e32 v4, 0x3c000000, v4
	s_delay_alu instid0(VALU_DEP_1) | instskip(NEXT) | instid1(VALU_DEP_1)
	v_and_or_b32 v4, 0x7f800000, v5, v4
	v_cndmask_b32_e32 v3, 0, v4, vcc_lo
	s_delay_alu instid0(VALU_DEP_1)
	v_and_or_b32 v40, 0x80000000, v2, v3
.LBB44_467:
	s_mov_b32 s2, 0
.LBB44_468:
	s_delay_alu instid0(SALU_CYCLE_1)
	s_and_not1_b32 vcc_lo, exec_lo, s2
	s_cbranch_vccnz .LBB44_470
; %bb.469:
	global_load_u8 v2, v[0:1], off
	s_wait_loadcnt 0x0
	v_lshlrev_b32_e32 v3, 25, v2
	v_lshlrev_b16 v2, 8, v2
	s_delay_alu instid0(VALU_DEP_1) | instskip(SKIP_1) | instid1(VALU_DEP_2)
	v_and_or_b32 v5, 0x7f00, v2, 0.5
	v_bfe_i32 v2, v2, 0, 16
	v_dual_add_f32 v5, -0.5, v5 :: v_dual_lshrrev_b32 v4, 4, v3
	v_cmp_gt_u32_e32 vcc_lo, 0x8000000, v3
	s_delay_alu instid0(VALU_DEP_2) | instskip(NEXT) | instid1(VALU_DEP_1)
	v_or_b32_e32 v4, 0x70000000, v4
	v_mul_f32_e32 v4, 0x7800000, v4
	s_delay_alu instid0(VALU_DEP_1) | instskip(NEXT) | instid1(VALU_DEP_1)
	v_cndmask_b32_e32 v3, v4, v5, vcc_lo
	v_and_or_b32 v40, 0x80000000, v2, v3
.LBB44_470:
	s_mov_b32 s3, 0
	s_mov_b32 s2, -1
.LBB44_471:
	s_and_not1_b32 vcc_lo, exec_lo, s3
	s_cbranch_vccnz .LBB44_484
; %bb.472:
	s_cmp_gt_i32 s1, 14
	s_cbranch_scc0 .LBB44_475
; %bb.473:
	s_cmp_eq_u32 s1, 15
	s_cbranch_scc0 .LBB44_478
; %bb.474:
	global_load_u16 v2, v[0:1], off
	s_mov_b32 s2, -1
	s_mov_b32 s61, 0
	s_wait_loadcnt 0x0
	v_lshlrev_b32_e32 v40, 16, v2
	s_branch .LBB44_479
.LBB44_475:
	s_mov_b32 s3, -1
                                        ; implicit-def: $vgpr40
	s_branch .LBB44_480
.LBB44_476:
	s_or_saveexec_b32 s3, s3
	v_mov_b32_e32 v40, 0x7f800001
	s_xor_b32 exec_lo, exec_lo, s3
	s_cbranch_execz .LBB44_457
.LBB44_477:
	v_cmp_ne_u16_e32 vcc_lo, 0, v2
	v_mov_b32_e32 v40, 0
	s_and_not1_b32 s2, s2, exec_lo
	s_and_b32 s4, vcc_lo, exec_lo
	s_delay_alu instid0(SALU_CYCLE_1)
	s_or_b32 s2, s2, s4
	s_or_b32 exec_lo, exec_lo, s3
	s_and_saveexec_b32 s3, s2
	s_cbranch_execnz .LBB44_458
	s_branch .LBB44_459
.LBB44_478:
	s_mov_b32 s61, -1
                                        ; implicit-def: $vgpr40
.LBB44_479:
	s_mov_b32 s3, 0
.LBB44_480:
	s_delay_alu instid0(SALU_CYCLE_1)
	s_and_b32 vcc_lo, exec_lo, s3
	s_cbranch_vccz .LBB44_484
; %bb.481:
	s_cmp_eq_u32 s1, 11
	s_cbranch_scc0 .LBB44_483
; %bb.482:
	global_load_u8 v2, v[0:1], off
	s_mov_b32 s61, 0
	s_mov_b32 s2, -1
	s_wait_loadcnt 0x0
	v_cmp_ne_u16_e32 vcc_lo, 0, v2
	v_cndmask_b32_e64 v40, 0, 1.0, vcc_lo
	s_branch .LBB44_484
.LBB44_483:
	s_mov_b32 s61, -1
                                        ; implicit-def: $vgpr40
.LBB44_484:
	s_branch .LBB44_399
.LBB44_485:
	s_and_b32 s0, 0xffff, s0
	s_delay_alu instid0(SALU_CYCLE_1)
	s_cmp_lt_i32 s0, 5
	s_cbranch_scc1 .LBB44_490
; %bb.486:
	s_cmp_lt_i32 s0, 8
	s_cbranch_scc1 .LBB44_491
; %bb.487:
	;; [unrolled: 3-line block ×3, first 2 shown]
	s_cmp_gt_i32 s0, 9
	s_cbranch_scc0 .LBB44_493
; %bb.489:
	global_load_b64 v[2:3], v[0:1], off
	s_mov_b32 s1, 0
	s_wait_loadcnt 0x0
	v_cvt_f32_f64_e32 v40, v[2:3]
	s_branch .LBB44_494
.LBB44_490:
	s_mov_b32 s1, -1
                                        ; implicit-def: $vgpr40
	s_branch .LBB44_512
.LBB44_491:
	s_mov_b32 s1, -1
                                        ; implicit-def: $vgpr40
	s_branch .LBB44_500
.LBB44_492:
	s_mov_b32 s1, -1
                                        ; implicit-def: $vgpr40
	s_branch .LBB44_497
.LBB44_493:
	s_mov_b32 s1, -1
                                        ; implicit-def: $vgpr40
.LBB44_494:
	s_delay_alu instid0(SALU_CYCLE_1)
	s_and_not1_b32 vcc_lo, exec_lo, s1
	s_cbranch_vccnz .LBB44_496
; %bb.495:
	s_wait_loadcnt 0x0
	global_load_b32 v40, v[0:1], off
.LBB44_496:
	s_mov_b32 s1, 0
.LBB44_497:
	s_delay_alu instid0(SALU_CYCLE_1)
	s_and_not1_b32 vcc_lo, exec_lo, s1
	s_cbranch_vccnz .LBB44_499
; %bb.498:
	global_load_b32 v2, v[0:1], off
	s_wait_loadcnt 0x0
	v_cvt_f32_f16_e32 v40, v2
.LBB44_499:
	s_mov_b32 s1, 0
.LBB44_500:
	s_delay_alu instid0(SALU_CYCLE_1)
	s_and_not1_b32 vcc_lo, exec_lo, s1
	s_cbranch_vccnz .LBB44_511
; %bb.501:
	s_cmp_lt_i32 s0, 6
	s_cbranch_scc1 .LBB44_504
; %bb.502:
	s_cmp_gt_i32 s0, 6
	s_cbranch_scc0 .LBB44_505
; %bb.503:
	global_load_b64 v[2:3], v[0:1], off
	s_mov_b32 s1, 0
	s_wait_loadcnt 0x0
	v_cvt_f32_f64_e32 v40, v[2:3]
	s_branch .LBB44_506
.LBB44_504:
	s_mov_b32 s1, -1
                                        ; implicit-def: $vgpr40
	s_branch .LBB44_509
.LBB44_505:
	s_mov_b32 s1, -1
                                        ; implicit-def: $vgpr40
.LBB44_506:
	s_delay_alu instid0(SALU_CYCLE_1)
	s_and_not1_b32 vcc_lo, exec_lo, s1
	s_cbranch_vccnz .LBB44_508
; %bb.507:
	s_wait_loadcnt 0x0
	global_load_b32 v40, v[0:1], off
.LBB44_508:
	s_mov_b32 s1, 0
.LBB44_509:
	s_delay_alu instid0(SALU_CYCLE_1)
	s_and_not1_b32 vcc_lo, exec_lo, s1
	s_cbranch_vccnz .LBB44_511
; %bb.510:
	global_load_u16 v2, v[0:1], off
	s_wait_loadcnt 0x0
	v_cvt_f32_f16_e32 v40, v2
.LBB44_511:
	s_mov_b32 s1, 0
.LBB44_512:
	s_delay_alu instid0(SALU_CYCLE_1)
	s_and_not1_b32 vcc_lo, exec_lo, s1
	s_cbranch_vccnz .LBB44_532
; %bb.513:
	s_cmp_lt_i32 s0, 2
	s_cbranch_scc1 .LBB44_517
; %bb.514:
	s_cmp_lt_i32 s0, 3
	s_cbranch_scc1 .LBB44_518
; %bb.515:
	s_cmp_gt_i32 s0, 3
	s_cbranch_scc0 .LBB44_519
; %bb.516:
	global_load_b64 v[2:3], v[0:1], off
	s_mov_b32 s1, 0
	s_wait_loadcnt 0x0
	v_xor_b32_e32 v4, v2, v3
	v_cls_i32_e32 v5, v3
	s_delay_alu instid0(VALU_DEP_2) | instskip(NEXT) | instid1(VALU_DEP_1)
	v_ashrrev_i32_e32 v4, 31, v4
	v_add_nc_u32_e32 v4, 32, v4
	s_delay_alu instid0(VALU_DEP_1) | instskip(NEXT) | instid1(VALU_DEP_1)
	v_add_min_u32_e64 v4, v5, -1, v4
	v_lshlrev_b64_e32 v[2:3], v4, v[2:3]
	s_delay_alu instid0(VALU_DEP_1) | instskip(NEXT) | instid1(VALU_DEP_1)
	v_min_u32_e32 v2, 1, v2
	v_dual_sub_nc_u32 v3, 32, v4 :: v_dual_bitop2_b32 v2, v3, v2 bitop3:0x54
	s_delay_alu instid0(VALU_DEP_1) | instskip(NEXT) | instid1(VALU_DEP_1)
	v_cvt_f32_i32_e32 v2, v2
	v_ldexp_f32 v40, v2, v3
	s_branch .LBB44_520
.LBB44_517:
	s_mov_b32 s1, -1
                                        ; implicit-def: $vgpr40
	s_branch .LBB44_526
.LBB44_518:
	s_mov_b32 s1, -1
                                        ; implicit-def: $vgpr40
	s_branch .LBB44_523
.LBB44_519:
	s_mov_b32 s1, -1
                                        ; implicit-def: $vgpr40
.LBB44_520:
	s_delay_alu instid0(SALU_CYCLE_1)
	s_and_not1_b32 vcc_lo, exec_lo, s1
	s_cbranch_vccnz .LBB44_522
; %bb.521:
	global_load_b32 v2, v[0:1], off
	s_wait_loadcnt 0x0
	v_cvt_f32_i32_e32 v40, v2
.LBB44_522:
	s_mov_b32 s1, 0
.LBB44_523:
	s_delay_alu instid0(SALU_CYCLE_1)
	s_and_not1_b32 vcc_lo, exec_lo, s1
	s_cbranch_vccnz .LBB44_525
; %bb.524:
	global_load_i16 v2, v[0:1], off
	s_wait_loadcnt 0x0
	v_cvt_f32_i32_e32 v40, v2
.LBB44_525:
	s_mov_b32 s1, 0
.LBB44_526:
	s_delay_alu instid0(SALU_CYCLE_1)
	s_and_not1_b32 vcc_lo, exec_lo, s1
	s_cbranch_vccnz .LBB44_532
; %bb.527:
	s_cmp_gt_i32 s0, 0
	s_mov_b32 s0, 0
	s_cbranch_scc0 .LBB44_529
; %bb.528:
	global_load_i8 v2, v[0:1], off
	s_wait_loadcnt 0x0
	v_cvt_f32_i32_e32 v40, v2
	s_branch .LBB44_530
.LBB44_529:
	s_mov_b32 s0, -1
                                        ; implicit-def: $vgpr40
.LBB44_530:
	s_delay_alu instid0(SALU_CYCLE_1)
	s_and_not1_b32 vcc_lo, exec_lo, s0
	s_cbranch_vccnz .LBB44_532
; %bb.531:
	global_load_u8 v0, v[0:1], off
	s_wait_loadcnt 0x0
	v_cvt_f32_ubyte0_e32 v40, v0
.LBB44_532:
	s_branch .LBB44_400
.LBB44_533:
	s_mov_b32 s1, 0
	s_mov_b32 s0, s57
	;; [unrolled: 1-line block ×3, first 2 shown]
	s_branch .LBB44_782
.LBB44_534:
	s_and_not1_saveexec_b32 s5, s5
	s_cbranch_execz .LBB44_197
.LBB44_535:
	v_add_f32_e64 v1, 0x42800000, |v0|
	s_and_not1_b32 s4, s4, exec_lo
	s_delay_alu instid0(VALU_DEP_1) | instskip(NEXT) | instid1(VALU_DEP_1)
	v_and_b32_e32 v1, 0xff, v1
	v_cmp_ne_u32_e32 vcc_lo, 0, v1
	s_and_b32 s6, vcc_lo, exec_lo
	s_delay_alu instid0(SALU_CYCLE_1)
	s_or_b32 s4, s4, s6
	s_or_b32 exec_lo, exec_lo, s5
	v_mov_b32_e32 v4, 0
	s_and_saveexec_b32 s5, s4
	s_cbranch_execnz .LBB44_198
	s_branch .LBB44_199
.LBB44_536:
	s_mov_b32 s63, -1
	s_mov_b32 s1, 0
.LBB44_537:
                                        ; implicit-def: $vgpr42
.LBB44_538:
	s_and_b32 vcc_lo, exec_lo, s2
	s_cbranch_vccz .LBB44_542
; %bb.539:
	s_cmp_eq_u32 s0, 44
	s_cbranch_scc0 .LBB44_541
; %bb.540:
	global_load_u8 v2, v[0:1], off
	s_mov_b32 s63, 0
	s_mov_b32 s1, -1
	s_wait_loadcnt 0x0
	v_lshlrev_b32_e32 v3, 23, v2
	v_cmp_ne_u32_e32 vcc_lo, 0xff, v2
	s_delay_alu instid0(VALU_DEP_2) | instskip(SKIP_1) | instid1(VALU_DEP_2)
	v_cndmask_b32_e32 v3, 0x7f800001, v3, vcc_lo
	v_cmp_ne_u32_e32 vcc_lo, 0, v2
	v_cndmask_b32_e32 v42, 0x400000, v3, vcc_lo
	s_branch .LBB44_542
.LBB44_541:
	s_mov_b32 s63, -1
                                        ; implicit-def: $vgpr42
.LBB44_542:
	s_mov_b32 s2, 0
.LBB44_543:
	s_delay_alu instid0(SALU_CYCLE_1)
	s_and_b32 vcc_lo, exec_lo, s2
	s_cbranch_vccz .LBB44_547
; %bb.544:
	s_cmp_eq_u32 s0, 29
	s_cbranch_scc0 .LBB44_546
; %bb.545:
	global_load_b64 v[2:3], v[0:1], off
	s_mov_b32 s1, -1
	s_mov_b32 s63, 0
	s_mov_b32 s2, 0
	s_wait_loadcnt 0x0
	v_clz_i32_u32_e32 v4, v3
	s_delay_alu instid0(VALU_DEP_1) | instskip(NEXT) | instid1(VALU_DEP_1)
	v_min_u32_e32 v4, 32, v4
	v_lshlrev_b64_e32 v[2:3], v4, v[2:3]
	s_delay_alu instid0(VALU_DEP_1) | instskip(NEXT) | instid1(VALU_DEP_1)
	v_min_u32_e32 v2, 1, v2
	v_dual_sub_nc_u32 v3, 32, v4 :: v_dual_bitop2_b32 v2, v3, v2 bitop3:0x54
	s_delay_alu instid0(VALU_DEP_1) | instskip(NEXT) | instid1(VALU_DEP_1)
	v_cvt_f32_u32_e32 v2, v2
	v_ldexp_f32 v42, v2, v3
	s_branch .LBB44_548
.LBB44_546:
	s_mov_b32 s63, -1
                                        ; implicit-def: $vgpr42
.LBB44_547:
	s_mov_b32 s2, 0
.LBB44_548:
	s_delay_alu instid0(SALU_CYCLE_1)
	s_and_b32 vcc_lo, exec_lo, s2
	s_cbranch_vccz .LBB44_566
; %bb.549:
	s_cmp_lt_i32 s0, 27
	s_cbranch_scc1 .LBB44_552
; %bb.550:
	s_cmp_gt_i32 s0, 27
	s_cbranch_scc0 .LBB44_553
; %bb.551:
	global_load_b32 v2, v[0:1], off
	s_mov_b32 s1, 0
	s_wait_loadcnt 0x0
	v_cvt_f32_u32_e32 v42, v2
	s_branch .LBB44_554
.LBB44_552:
	s_mov_b32 s1, -1
                                        ; implicit-def: $vgpr42
	s_branch .LBB44_557
.LBB44_553:
	s_mov_b32 s1, -1
                                        ; implicit-def: $vgpr42
.LBB44_554:
	s_delay_alu instid0(SALU_CYCLE_1)
	s_and_not1_b32 vcc_lo, exec_lo, s1
	s_cbranch_vccnz .LBB44_556
; %bb.555:
	global_load_u16 v2, v[0:1], off
	s_wait_loadcnt 0x0
	v_cvt_f32_u32_e32 v42, v2
.LBB44_556:
	s_mov_b32 s1, 0
.LBB44_557:
	s_delay_alu instid0(SALU_CYCLE_1)
	s_and_not1_b32 vcc_lo, exec_lo, s1
	s_cbranch_vccnz .LBB44_565
; %bb.558:
	global_load_u8 v2, v[0:1], off
	s_mov_b32 s1, 0
	s_mov_b32 s2, exec_lo
	s_wait_loadcnt 0x0
	v_cmpx_lt_i16_e32 0x7f, v2
	s_xor_b32 s2, exec_lo, s2
	s_cbranch_execz .LBB44_579
; %bb.559:
	s_mov_b32 s1, -1
	s_mov_b32 s3, exec_lo
	v_cmpx_eq_u16_e32 0x80, v2
; %bb.560:
	s_xor_b32 s1, exec_lo, -1
; %bb.561:
	s_or_b32 exec_lo, exec_lo, s3
	s_delay_alu instid0(SALU_CYCLE_1)
	s_and_b32 s1, s1, exec_lo
	s_or_saveexec_b32 s2, s2
	v_mov_b32_e32 v42, 0x7f800001
	s_xor_b32 exec_lo, exec_lo, s2
	s_cbranch_execnz .LBB44_580
.LBB44_562:
	s_or_b32 exec_lo, exec_lo, s2
	s_and_saveexec_b32 s2, s1
	s_cbranch_execz .LBB44_564
.LBB44_563:
	v_and_b32_e32 v3, 0xffff, v2
	s_delay_alu instid0(VALU_DEP_1) | instskip(SKIP_1) | instid1(VALU_DEP_2)
	v_and_b32_e32 v4, 7, v3
	v_bfe_u32 v7, v3, 3, 4
	v_clz_i32_u32_e32 v5, v4
	s_delay_alu instid0(VALU_DEP_2) | instskip(NEXT) | instid1(VALU_DEP_2)
	v_cmp_eq_u32_e32 vcc_lo, 0, v7
	v_min_u32_e32 v5, 32, v5
	s_delay_alu instid0(VALU_DEP_1) | instskip(NEXT) | instid1(VALU_DEP_1)
	v_subrev_nc_u32_e32 v6, 28, v5
	v_dual_lshlrev_b32 v3, v6, v3 :: v_dual_sub_nc_u32 v5, 29, v5
	s_delay_alu instid0(VALU_DEP_1) | instskip(NEXT) | instid1(VALU_DEP_1)
	v_dual_lshlrev_b32 v2, 24, v2 :: v_dual_bitop2_b32 v3, 7, v3 bitop3:0x40
	v_dual_cndmask_b32 v5, v7, v5, vcc_lo :: v_dual_cndmask_b32 v3, v4, v3, vcc_lo
	s_delay_alu instid0(VALU_DEP_2) | instskip(NEXT) | instid1(VALU_DEP_2)
	v_and_b32_e32 v2, 0x80000000, v2
	v_lshl_add_u32 v4, v5, 23, 0x3b800000
	s_delay_alu instid0(VALU_DEP_3) | instskip(NEXT) | instid1(VALU_DEP_1)
	v_lshlrev_b32_e32 v3, 20, v3
	v_or3_b32 v42, v2, v4, v3
.LBB44_564:
	s_or_b32 exec_lo, exec_lo, s2
.LBB44_565:
	s_mov_b32 s1, -1
.LBB44_566:
	s_mov_b32 s2, 0
.LBB44_567:
	s_delay_alu instid0(SALU_CYCLE_1)
	s_and_b32 vcc_lo, exec_lo, s2
	s_cbranch_vccz .LBB44_602
; %bb.568:
	s_cmp_gt_i32 s0, 22
	s_cbranch_scc0 .LBB44_578
; %bb.569:
	s_cmp_lt_i32 s0, 24
	s_cbranch_scc1 .LBB44_581
; %bb.570:
	s_cmp_gt_i32 s0, 24
	s_cbranch_scc0 .LBB44_582
; %bb.571:
	global_load_u8 v2, v[0:1], off
	s_mov_b32 s1, 0
	s_mov_b32 s2, exec_lo
	s_wait_loadcnt 0x0
	v_cmpx_lt_i16_e32 0x7f, v2
	s_xor_b32 s2, exec_lo, s2
	s_cbranch_execz .LBB44_594
; %bb.572:
	s_mov_b32 s1, -1
	s_mov_b32 s3, exec_lo
	v_cmpx_eq_u16_e32 0x80, v2
; %bb.573:
	s_xor_b32 s1, exec_lo, -1
; %bb.574:
	s_or_b32 exec_lo, exec_lo, s3
	s_delay_alu instid0(SALU_CYCLE_1)
	s_and_b32 s1, s1, exec_lo
	s_or_saveexec_b32 s2, s2
	v_mov_b32_e32 v42, 0x7f800001
	s_xor_b32 exec_lo, exec_lo, s2
	s_cbranch_execnz .LBB44_595
.LBB44_575:
	s_or_b32 exec_lo, exec_lo, s2
	s_and_saveexec_b32 s2, s1
	s_cbranch_execz .LBB44_577
.LBB44_576:
	v_and_b32_e32 v3, 0xffff, v2
	s_delay_alu instid0(VALU_DEP_1) | instskip(SKIP_1) | instid1(VALU_DEP_2)
	v_and_b32_e32 v4, 3, v3
	v_bfe_u32 v7, v3, 2, 5
	v_clz_i32_u32_e32 v5, v4
	s_delay_alu instid0(VALU_DEP_2) | instskip(NEXT) | instid1(VALU_DEP_2)
	v_cmp_eq_u32_e32 vcc_lo, 0, v7
	v_min_u32_e32 v5, 32, v5
	s_delay_alu instid0(VALU_DEP_1) | instskip(NEXT) | instid1(VALU_DEP_1)
	v_subrev_nc_u32_e32 v6, 29, v5
	v_dual_lshlrev_b32 v3, v6, v3 :: v_dual_sub_nc_u32 v5, 30, v5
	s_delay_alu instid0(VALU_DEP_1) | instskip(NEXT) | instid1(VALU_DEP_1)
	v_dual_lshlrev_b32 v2, 24, v2 :: v_dual_bitop2_b32 v3, 3, v3 bitop3:0x40
	v_dual_cndmask_b32 v5, v7, v5, vcc_lo :: v_dual_cndmask_b32 v3, v4, v3, vcc_lo
	s_delay_alu instid0(VALU_DEP_2) | instskip(NEXT) | instid1(VALU_DEP_2)
	v_and_b32_e32 v2, 0x80000000, v2
	v_lshl_add_u32 v4, v5, 23, 0x37800000
	s_delay_alu instid0(VALU_DEP_3) | instskip(NEXT) | instid1(VALU_DEP_1)
	v_lshlrev_b32_e32 v3, 21, v3
	v_or3_b32 v42, v2, v4, v3
.LBB44_577:
	s_or_b32 exec_lo, exec_lo, s2
	s_mov_b32 s1, 0
	s_branch .LBB44_583
.LBB44_578:
	s_mov_b32 s2, -1
                                        ; implicit-def: $vgpr42
	s_branch .LBB44_589
.LBB44_579:
	s_or_saveexec_b32 s2, s2
	v_mov_b32_e32 v42, 0x7f800001
	s_xor_b32 exec_lo, exec_lo, s2
	s_cbranch_execz .LBB44_562
.LBB44_580:
	v_cmp_ne_u16_e32 vcc_lo, 0, v2
	v_mov_b32_e32 v42, 0
	s_and_not1_b32 s1, s1, exec_lo
	s_and_b32 s3, vcc_lo, exec_lo
	s_delay_alu instid0(SALU_CYCLE_1)
	s_or_b32 s1, s1, s3
	s_or_b32 exec_lo, exec_lo, s2
	s_and_saveexec_b32 s2, s1
	s_cbranch_execnz .LBB44_563
	s_branch .LBB44_564
.LBB44_581:
	s_mov_b32 s1, -1
                                        ; implicit-def: $vgpr42
	s_branch .LBB44_586
.LBB44_582:
	s_mov_b32 s1, -1
                                        ; implicit-def: $vgpr42
.LBB44_583:
	s_delay_alu instid0(SALU_CYCLE_1)
	s_and_b32 vcc_lo, exec_lo, s1
	s_cbranch_vccz .LBB44_585
; %bb.584:
	global_load_u8 v2, v[0:1], off
	s_wait_loadcnt 0x0
	v_lshlrev_b32_e32 v2, 24, v2
	s_delay_alu instid0(VALU_DEP_1) | instskip(NEXT) | instid1(VALU_DEP_1)
	v_and_b32_e32 v3, 0x7f000000, v2
	v_clz_i32_u32_e32 v4, v3
	v_cmp_ne_u32_e32 vcc_lo, 0, v3
	v_add_nc_u32_e32 v6, 0x1000000, v3
	s_delay_alu instid0(VALU_DEP_3) | instskip(NEXT) | instid1(VALU_DEP_1)
	v_min_u32_e32 v4, 32, v4
	v_sub_nc_u32_e64 v4, v4, 4 clamp
	s_delay_alu instid0(VALU_DEP_1) | instskip(NEXT) | instid1(VALU_DEP_1)
	v_dual_lshlrev_b32 v5, v4, v3 :: v_dual_lshlrev_b32 v4, 23, v4
	v_lshrrev_b32_e32 v5, 4, v5
	s_delay_alu instid0(VALU_DEP_1) | instskip(NEXT) | instid1(VALU_DEP_1)
	v_dual_sub_nc_u32 v4, v5, v4 :: v_dual_ashrrev_i32 v5, 8, v6
	v_add_nc_u32_e32 v4, 0x3c000000, v4
	s_delay_alu instid0(VALU_DEP_1) | instskip(NEXT) | instid1(VALU_DEP_1)
	v_and_or_b32 v4, 0x7f800000, v5, v4
	v_cndmask_b32_e32 v3, 0, v4, vcc_lo
	s_delay_alu instid0(VALU_DEP_1)
	v_and_or_b32 v42, 0x80000000, v2, v3
.LBB44_585:
	s_mov_b32 s1, 0
.LBB44_586:
	s_delay_alu instid0(SALU_CYCLE_1)
	s_and_not1_b32 vcc_lo, exec_lo, s1
	s_cbranch_vccnz .LBB44_588
; %bb.587:
	global_load_u8 v2, v[0:1], off
	s_wait_loadcnt 0x0
	v_lshlrev_b32_e32 v3, 25, v2
	v_lshlrev_b16 v2, 8, v2
	s_delay_alu instid0(VALU_DEP_1) | instskip(SKIP_1) | instid1(VALU_DEP_2)
	v_and_or_b32 v5, 0x7f00, v2, 0.5
	v_bfe_i32 v2, v2, 0, 16
	v_dual_add_f32 v5, -0.5, v5 :: v_dual_lshrrev_b32 v4, 4, v3
	v_cmp_gt_u32_e32 vcc_lo, 0x8000000, v3
	s_delay_alu instid0(VALU_DEP_2) | instskip(NEXT) | instid1(VALU_DEP_1)
	v_or_b32_e32 v4, 0x70000000, v4
	v_mul_f32_e32 v4, 0x7800000, v4
	s_delay_alu instid0(VALU_DEP_1) | instskip(NEXT) | instid1(VALU_DEP_1)
	v_cndmask_b32_e32 v3, v4, v5, vcc_lo
	v_and_or_b32 v42, 0x80000000, v2, v3
.LBB44_588:
	s_mov_b32 s2, 0
	s_mov_b32 s1, -1
.LBB44_589:
	s_and_not1_b32 vcc_lo, exec_lo, s2
	s_cbranch_vccnz .LBB44_602
; %bb.590:
	s_cmp_gt_i32 s0, 14
	s_cbranch_scc0 .LBB44_593
; %bb.591:
	s_cmp_eq_u32 s0, 15
	s_cbranch_scc0 .LBB44_596
; %bb.592:
	global_load_u16 v2, v[0:1], off
	s_mov_b32 s1, -1
	s_mov_b32 s63, 0
	s_wait_loadcnt 0x0
	v_lshlrev_b32_e32 v42, 16, v2
	s_branch .LBB44_597
.LBB44_593:
	s_mov_b32 s2, -1
                                        ; implicit-def: $vgpr42
	s_branch .LBB44_598
.LBB44_594:
	s_or_saveexec_b32 s2, s2
	v_mov_b32_e32 v42, 0x7f800001
	s_xor_b32 exec_lo, exec_lo, s2
	s_cbranch_execz .LBB44_575
.LBB44_595:
	v_cmp_ne_u16_e32 vcc_lo, 0, v2
	v_mov_b32_e32 v42, 0
	s_and_not1_b32 s1, s1, exec_lo
	s_and_b32 s3, vcc_lo, exec_lo
	s_delay_alu instid0(SALU_CYCLE_1)
	s_or_b32 s1, s1, s3
	s_or_b32 exec_lo, exec_lo, s2
	s_and_saveexec_b32 s2, s1
	s_cbranch_execnz .LBB44_576
	s_branch .LBB44_577
.LBB44_596:
	s_mov_b32 s63, -1
                                        ; implicit-def: $vgpr42
.LBB44_597:
	s_mov_b32 s2, 0
.LBB44_598:
	s_delay_alu instid0(SALU_CYCLE_1)
	s_and_b32 vcc_lo, exec_lo, s2
	s_cbranch_vccz .LBB44_602
; %bb.599:
	s_cmp_eq_u32 s0, 11
	s_cbranch_scc0 .LBB44_601
; %bb.600:
	global_load_u8 v2, v[0:1], off
	s_mov_b32 s63, 0
	s_mov_b32 s1, -1
	s_wait_loadcnt 0x0
	v_cmp_ne_u16_e32 vcc_lo, 0, v2
	v_cndmask_b32_e64 v42, 0, 1.0, vcc_lo
	s_branch .LBB44_602
.LBB44_601:
	s_mov_b32 s63, -1
                                        ; implicit-def: $vgpr42
.LBB44_602:
	s_mov_b32 s2, 0
.LBB44_603:
	s_delay_alu instid0(SALU_CYCLE_1)
	s_and_b32 vcc_lo, exec_lo, s2
	s_cbranch_vccz .LBB44_652
; %bb.604:
	s_cmp_lt_i32 s0, 5
	s_cbranch_scc1 .LBB44_609
; %bb.605:
	s_cmp_lt_i32 s0, 8
	s_cbranch_scc1 .LBB44_610
	;; [unrolled: 3-line block ×3, first 2 shown]
; %bb.607:
	s_cmp_gt_i32 s0, 9
	s_cbranch_scc0 .LBB44_612
; %bb.608:
	global_load_b64 v[2:3], v[0:1], off
	s_mov_b32 s1, 0
	s_wait_loadcnt 0x0
	v_cvt_f32_f64_e32 v42, v[2:3]
	s_branch .LBB44_613
.LBB44_609:
	s_mov_b32 s1, -1
                                        ; implicit-def: $vgpr42
	s_branch .LBB44_631
.LBB44_610:
	s_mov_b32 s1, -1
                                        ; implicit-def: $vgpr42
	s_branch .LBB44_619
.LBB44_611:
	s_mov_b32 s1, -1
                                        ; implicit-def: $vgpr42
	s_branch .LBB44_616
.LBB44_612:
	s_mov_b32 s1, -1
                                        ; implicit-def: $vgpr42
.LBB44_613:
	s_delay_alu instid0(SALU_CYCLE_1)
	s_and_not1_b32 vcc_lo, exec_lo, s1
	s_cbranch_vccnz .LBB44_615
; %bb.614:
	s_wait_loadcnt 0x0
	global_load_b32 v42, v[0:1], off
.LBB44_615:
	s_mov_b32 s1, 0
.LBB44_616:
	s_delay_alu instid0(SALU_CYCLE_1)
	s_and_not1_b32 vcc_lo, exec_lo, s1
	s_cbranch_vccnz .LBB44_618
; %bb.617:
	global_load_b32 v2, v[0:1], off
	s_wait_loadcnt 0x0
	v_cvt_f32_f16_e32 v42, v2
.LBB44_618:
	s_mov_b32 s1, 0
.LBB44_619:
	s_delay_alu instid0(SALU_CYCLE_1)
	s_and_not1_b32 vcc_lo, exec_lo, s1
	s_cbranch_vccnz .LBB44_630
; %bb.620:
	s_cmp_lt_i32 s0, 6
	s_cbranch_scc1 .LBB44_623
; %bb.621:
	s_cmp_gt_i32 s0, 6
	s_cbranch_scc0 .LBB44_624
; %bb.622:
	global_load_b64 v[2:3], v[0:1], off
	s_mov_b32 s1, 0
	s_wait_loadcnt 0x0
	v_cvt_f32_f64_e32 v42, v[2:3]
	s_branch .LBB44_625
.LBB44_623:
	s_mov_b32 s1, -1
                                        ; implicit-def: $vgpr42
	s_branch .LBB44_628
.LBB44_624:
	s_mov_b32 s1, -1
                                        ; implicit-def: $vgpr42
.LBB44_625:
	s_delay_alu instid0(SALU_CYCLE_1)
	s_and_not1_b32 vcc_lo, exec_lo, s1
	s_cbranch_vccnz .LBB44_627
; %bb.626:
	s_wait_loadcnt 0x0
	global_load_b32 v42, v[0:1], off
.LBB44_627:
	s_mov_b32 s1, 0
.LBB44_628:
	s_delay_alu instid0(SALU_CYCLE_1)
	s_and_not1_b32 vcc_lo, exec_lo, s1
	s_cbranch_vccnz .LBB44_630
; %bb.629:
	global_load_u16 v2, v[0:1], off
	s_wait_loadcnt 0x0
	v_cvt_f32_f16_e32 v42, v2
.LBB44_630:
	s_mov_b32 s1, 0
.LBB44_631:
	s_delay_alu instid0(SALU_CYCLE_1)
	s_and_not1_b32 vcc_lo, exec_lo, s1
	s_cbranch_vccnz .LBB44_651
; %bb.632:
	s_cmp_lt_i32 s0, 2
	s_cbranch_scc1 .LBB44_636
; %bb.633:
	s_cmp_lt_i32 s0, 3
	s_cbranch_scc1 .LBB44_637
; %bb.634:
	s_cmp_gt_i32 s0, 3
	s_cbranch_scc0 .LBB44_638
; %bb.635:
	global_load_b64 v[2:3], v[0:1], off
	s_mov_b32 s1, 0
	s_wait_loadcnt 0x0
	v_xor_b32_e32 v4, v2, v3
	v_cls_i32_e32 v5, v3
	s_delay_alu instid0(VALU_DEP_2) | instskip(NEXT) | instid1(VALU_DEP_1)
	v_ashrrev_i32_e32 v4, 31, v4
	v_add_nc_u32_e32 v4, 32, v4
	s_delay_alu instid0(VALU_DEP_1) | instskip(NEXT) | instid1(VALU_DEP_1)
	v_add_min_u32_e64 v4, v5, -1, v4
	v_lshlrev_b64_e32 v[2:3], v4, v[2:3]
	s_delay_alu instid0(VALU_DEP_1) | instskip(NEXT) | instid1(VALU_DEP_1)
	v_min_u32_e32 v2, 1, v2
	v_dual_sub_nc_u32 v3, 32, v4 :: v_dual_bitop2_b32 v2, v3, v2 bitop3:0x54
	s_delay_alu instid0(VALU_DEP_1) | instskip(NEXT) | instid1(VALU_DEP_1)
	v_cvt_f32_i32_e32 v2, v2
	v_ldexp_f32 v42, v2, v3
	s_branch .LBB44_639
.LBB44_636:
	s_mov_b32 s1, -1
                                        ; implicit-def: $vgpr42
	s_branch .LBB44_645
.LBB44_637:
	s_mov_b32 s1, -1
                                        ; implicit-def: $vgpr42
	s_branch .LBB44_642
.LBB44_638:
	s_mov_b32 s1, -1
                                        ; implicit-def: $vgpr42
.LBB44_639:
	s_delay_alu instid0(SALU_CYCLE_1)
	s_and_not1_b32 vcc_lo, exec_lo, s1
	s_cbranch_vccnz .LBB44_641
; %bb.640:
	global_load_b32 v2, v[0:1], off
	s_wait_loadcnt 0x0
	v_cvt_f32_i32_e32 v42, v2
.LBB44_641:
	s_mov_b32 s1, 0
.LBB44_642:
	s_delay_alu instid0(SALU_CYCLE_1)
	s_and_not1_b32 vcc_lo, exec_lo, s1
	s_cbranch_vccnz .LBB44_644
; %bb.643:
	global_load_i16 v2, v[0:1], off
	s_wait_loadcnt 0x0
	v_cvt_f32_i32_e32 v42, v2
.LBB44_644:
	s_mov_b32 s1, 0
.LBB44_645:
	s_delay_alu instid0(SALU_CYCLE_1)
	s_and_not1_b32 vcc_lo, exec_lo, s1
	s_cbranch_vccnz .LBB44_651
; %bb.646:
	s_cmp_gt_i32 s0, 0
	s_mov_b32 s0, 0
	s_cbranch_scc0 .LBB44_648
; %bb.647:
	global_load_i8 v2, v[0:1], off
	s_wait_loadcnt 0x0
	v_cvt_f32_i32_e32 v42, v2
	s_branch .LBB44_649
.LBB44_648:
	s_mov_b32 s0, -1
                                        ; implicit-def: $vgpr42
.LBB44_649:
	s_delay_alu instid0(SALU_CYCLE_1)
	s_and_not1_b32 vcc_lo, exec_lo, s0
	s_cbranch_vccnz .LBB44_651
; %bb.650:
	global_load_u8 v0, v[0:1], off
	s_wait_loadcnt 0x0
	v_cvt_f32_ubyte0_e32 v42, v0
.LBB44_651:
	s_mov_b32 s1, -1
.LBB44_652:
	s_delay_alu instid0(SALU_CYCLE_1)
	s_and_not1_b32 vcc_lo, exec_lo, s1
	s_cbranch_vccnz .LBB44_655
; %bb.653:
	s_and_not1_b32 vcc_lo, exec_lo, s55
	s_cbranch_vccnz .LBB44_656
; %bb.654:
	s_wait_loadcnt 0x0
	s_delay_alu instid0(VALU_DEP_1) | instskip(SKIP_2) | instid1(SALU_CYCLE_1)
	v_dual_mov_b32 v0, v40 :: v_dual_mov_b32 v1, v42
	s_get_pc_i64 s[0:1]
	s_add_nc_u64 s[0:1], s[0:1], _ZN12_GLOBAL__N_111calc_igammaIfEET_S1_S1_@rel64+4
	s_swap_pc_i64 s[30:31], s[0:1]
	s_mov_b32 s0, 0
	s_branch .LBB44_657
.LBB44_655:
	s_mov_b32 s1, 0
	s_mov_b32 s0, s57
	s_branch .LBB44_782
.LBB44_656:
	s_mov_b32 s0, -1
                                        ; implicit-def: $vgpr0
.LBB44_657:
	s_delay_alu instid0(SALU_CYCLE_1)
	s_and_not1_b32 vcc_lo, exec_lo, s0
	s_cbranch_vccnz .LBB44_659
; %bb.658:
	s_wait_loadcnt 0x0
	s_delay_alu instid0(VALU_DEP_1) | instskip(SKIP_2) | instid1(SALU_CYCLE_1)
	v_dual_mov_b32 v0, v40 :: v_dual_mov_b32 v1, v42
	s_get_pc_i64 s[0:1]
	s_add_nc_u64 s[0:1], s[0:1], _ZN12_GLOBAL__N_112calc_igammacIfEET_S1_S1_@rel64+4
	s_swap_pc_i64 s[30:31], s[0:1]
.LBB44_659:
	v_mul_lo_u32 v2, v60, s48
	s_and_b32 s1, s46, 0xff
	s_delay_alu instid0(SALU_CYCLE_1) | instskip(NEXT) | instid1(VALU_DEP_1)
	s_cmp_lt_i32 s1, 11
	v_ashrrev_i32_e32 v3, 31, v2
	s_delay_alu instid0(VALU_DEP_1)
	v_add_nc_u64_e32 v[2:3], s[36:37], v[2:3]
	s_cbranch_scc1 .LBB44_666
; %bb.660:
	s_and_b32 s2, 0xffff, s1
	s_delay_alu instid0(SALU_CYCLE_1)
	s_cmp_gt_i32 s2, 25
	s_cbranch_scc0 .LBB44_667
; %bb.661:
	s_cmp_gt_i32 s2, 28
	s_cbranch_scc0 .LBB44_668
; %bb.662:
	;; [unrolled: 3-line block ×4, first 2 shown]
	s_mov_b32 s4, 0
	s_mov_b32 s0, -1
	s_cmp_eq_u32 s2, 46
	s_mov_b32 s3, 0
	s_cbranch_scc0 .LBB44_671
; %bb.665:
	s_wait_xcnt 0x0
	v_bfe_u32 v1, v0, 16, 1
	v_cmp_o_f32_e32 vcc_lo, v0, v0
	s_mov_b32 s3, -1
	s_mov_b32 s0, 0
	s_delay_alu instid0(VALU_DEP_2) | instskip(NEXT) | instid1(VALU_DEP_1)
	v_add3_u32 v1, v0, v1, 0x7fff
	v_lshrrev_b32_e32 v1, 16, v1
	s_delay_alu instid0(VALU_DEP_1)
	v_cndmask_b32_e32 v1, 0x7fc0, v1, vcc_lo
	global_store_b32 v[2:3], v1, off
	s_branch .LBB44_671
.LBB44_666:
	s_mov_b32 s2, -1
	s_mov_b32 s3, 0
	s_mov_b32 s0, s57
	s_branch .LBB44_740
.LBB44_667:
	s_mov_b32 s4, -1
	s_mov_b32 s3, 0
	s_mov_b32 s0, s57
	s_branch .LBB44_698
.LBB44_668:
	s_mov_b32 s4, -1
	s_mov_b32 s3, 0
	s_mov_b32 s0, s57
	s_branch .LBB44_681
.LBB44_669:
	s_mov_b32 s4, -1
	s_mov_b32 s3, 0
	s_mov_b32 s0, s57
	s_branch .LBB44_677
.LBB44_670:
	s_mov_b32 s4, -1
	s_mov_b32 s3, 0
	s_mov_b32 s0, s57
.LBB44_671:
	s_and_b32 vcc_lo, exec_lo, s4
	s_cbranch_vccz .LBB44_676
; %bb.672:
	s_cmp_eq_u32 s2, 44
	s_mov_b32 s0, -1
	s_cbranch_scc0 .LBB44_676
; %bb.673:
	v_bfe_u32 v4, v0, 23, 8
	s_wait_xcnt 0x0
	v_mov_b32_e32 v1, 0xff
	s_mov_b32 s3, exec_lo
	s_delay_alu instid0(VALU_DEP_2)
	v_cmpx_ne_u32_e32 0xff, v4
	s_cbranch_execz .LBB44_675
; %bb.674:
	v_and_b32_e32 v1, 0x400000, v0
	v_and_or_b32 v4, 0x3fffff, v0, v4
	s_delay_alu instid0(VALU_DEP_2) | instskip(NEXT) | instid1(VALU_DEP_2)
	v_cmp_ne_u32_e32 vcc_lo, 0, v1
	v_cmp_ne_u32_e64 s0, 0, v4
	v_lshrrev_b32_e32 v1, 23, v0
	s_and_b32 s0, vcc_lo, s0
	s_delay_alu instid0(SALU_CYCLE_1) | instskip(NEXT) | instid1(VALU_DEP_1)
	v_cndmask_b32_e64 v4, 0, 1, s0
	v_add_nc_u32_e32 v1, v1, v4
.LBB44_675:
	s_or_b32 exec_lo, exec_lo, s3
	s_mov_b32 s3, -1
	s_mov_b32 s0, 0
	global_store_b8 v[2:3], v1, off
.LBB44_676:
	s_mov_b32 s4, 0
.LBB44_677:
	s_delay_alu instid0(SALU_CYCLE_1)
	s_and_b32 vcc_lo, exec_lo, s4
	s_cbranch_vccz .LBB44_680
; %bb.678:
	s_cmp_eq_u32 s2, 29
	s_mov_b32 s0, -1
	s_cbranch_scc0 .LBB44_680
; %bb.679:
	s_wait_xcnt 0x0
	v_trunc_f32_e32 v1, v0
	s_mov_b32 s3, -1
	s_mov_b32 s0, 0
	s_mov_b32 s4, 0
	s_delay_alu instid0(VALU_DEP_1) | instskip(NEXT) | instid1(VALU_DEP_1)
	v_mul_f32_e32 v4, 0x2f800000, v1
	v_floor_f32_e32 v4, v4
	s_delay_alu instid0(VALU_DEP_1) | instskip(SKIP_1) | instid1(VALU_DEP_2)
	v_fmamk_f32 v1, v4, 0xcf800000, v1
	v_cvt_u32_f32_e32 v5, v4
	v_cvt_u32_f32_e32 v4, v1
	global_store_b64 v[2:3], v[4:5], off
	s_branch .LBB44_681
.LBB44_680:
	s_mov_b32 s4, 0
.LBB44_681:
	s_delay_alu instid0(SALU_CYCLE_1)
	s_and_b32 vcc_lo, exec_lo, s4
	s_cbranch_vccz .LBB44_697
; %bb.682:
	s_cmp_lt_i32 s2, 27
	s_mov_b32 s3, -1
	s_cbranch_scc1 .LBB44_688
; %bb.683:
	s_wait_xcnt 0x0
	v_cvt_u32_f32_e32 v1, v0
	s_cmp_gt_i32 s2, 27
	s_cbranch_scc0 .LBB44_685
; %bb.684:
	s_mov_b32 s3, 0
	global_store_b32 v[2:3], v1, off
.LBB44_685:
	s_and_not1_b32 vcc_lo, exec_lo, s3
	s_cbranch_vccnz .LBB44_687
; %bb.686:
	global_store_b16 v[2:3], v1, off
.LBB44_687:
	s_mov_b32 s3, 0
.LBB44_688:
	s_delay_alu instid0(SALU_CYCLE_1)
	s_and_not1_b32 vcc_lo, exec_lo, s3
	s_cbranch_vccnz .LBB44_696
; %bb.689:
	s_wait_xcnt 0x0
	v_and_b32_e32 v1, 0x7fffffff, v0
	v_mov_b32_e32 v4, 0x80
	s_mov_b32 s3, exec_lo
	s_delay_alu instid0(VALU_DEP_2)
	v_cmpx_gt_u32_e32 0x43800000, v1
	s_cbranch_execz .LBB44_695
; %bb.690:
	v_cmp_lt_u32_e32 vcc_lo, 0x3bffffff, v1
	s_mov_b32 s4, 0
                                        ; implicit-def: $vgpr1
	s_and_saveexec_b32 s5, vcc_lo
	s_delay_alu instid0(SALU_CYCLE_1)
	s_xor_b32 s5, exec_lo, s5
	s_cbranch_execz .LBB44_798
; %bb.691:
	v_bfe_u32 v1, v0, 20, 1
	s_mov_b32 s4, exec_lo
	s_delay_alu instid0(VALU_DEP_1) | instskip(NEXT) | instid1(VALU_DEP_1)
	v_add3_u32 v1, v0, v1, 0x487ffff
	v_lshrrev_b32_e32 v1, 20, v1
	s_and_not1_saveexec_b32 s5, s5
	s_cbranch_execnz .LBB44_799
.LBB44_692:
	s_or_b32 exec_lo, exec_lo, s5
	v_mov_b32_e32 v4, 0
	s_and_saveexec_b32 s5, s4
.LBB44_693:
	v_lshrrev_b32_e32 v4, 24, v0
	s_delay_alu instid0(VALU_DEP_1)
	v_and_or_b32 v4, 0x80, v4, v1
.LBB44_694:
	s_or_b32 exec_lo, exec_lo, s5
.LBB44_695:
	s_delay_alu instid0(SALU_CYCLE_1)
	s_or_b32 exec_lo, exec_lo, s3
	global_store_b8 v[2:3], v4, off
.LBB44_696:
	s_mov_b32 s3, -1
.LBB44_697:
	s_mov_b32 s4, 0
.LBB44_698:
	s_delay_alu instid0(SALU_CYCLE_1)
	s_and_b32 vcc_lo, exec_lo, s4
	s_cbranch_vccz .LBB44_739
; %bb.699:
	s_cmp_gt_i32 s2, 22
	s_mov_b32 s4, -1
	s_cbranch_scc0 .LBB44_731
; %bb.700:
	s_cmp_lt_i32 s2, 24
	s_mov_b32 s3, -1
	s_cbranch_scc1 .LBB44_720
; %bb.701:
	s_cmp_gt_i32 s2, 24
	s_cbranch_scc0 .LBB44_709
; %bb.702:
	s_wait_xcnt 0x0
	v_and_b32_e32 v1, 0x7fffffff, v0
	v_mov_b32_e32 v4, 0x80
	s_mov_b32 s3, exec_lo
	s_delay_alu instid0(VALU_DEP_2)
	v_cmpx_gt_u32_e32 0x47800000, v1
	s_cbranch_execz .LBB44_708
; %bb.703:
	v_cmp_lt_u32_e32 vcc_lo, 0x37ffffff, v1
	s_mov_b32 s4, 0
                                        ; implicit-def: $vgpr1
	s_and_saveexec_b32 s5, vcc_lo
	s_delay_alu instid0(SALU_CYCLE_1)
	s_xor_b32 s5, exec_lo, s5
	s_cbranch_execz .LBB44_930
; %bb.704:
	v_bfe_u32 v1, v0, 21, 1
	s_mov_b32 s4, exec_lo
	s_delay_alu instid0(VALU_DEP_1) | instskip(NEXT) | instid1(VALU_DEP_1)
	v_add3_u32 v1, v0, v1, 0x88fffff
	v_lshrrev_b32_e32 v1, 21, v1
	s_and_not1_saveexec_b32 s5, s5
	s_cbranch_execnz .LBB44_931
.LBB44_705:
	s_or_b32 exec_lo, exec_lo, s5
	v_mov_b32_e32 v4, 0
	s_and_saveexec_b32 s5, s4
.LBB44_706:
	v_lshrrev_b32_e32 v4, 24, v0
	s_delay_alu instid0(VALU_DEP_1)
	v_and_or_b32 v4, 0x80, v4, v1
.LBB44_707:
	s_or_b32 exec_lo, exec_lo, s5
.LBB44_708:
	s_delay_alu instid0(SALU_CYCLE_1)
	s_or_b32 exec_lo, exec_lo, s3
	s_mov_b32 s3, 0
	global_store_b8 v[2:3], v4, off
.LBB44_709:
	s_and_b32 vcc_lo, exec_lo, s3
	s_cbranch_vccz .LBB44_719
; %bb.710:
	s_wait_xcnt 0x0
	v_and_b32_e32 v4, 0x7fffffff, v0
	s_mov_b32 s3, exec_lo
                                        ; implicit-def: $vgpr1
	s_delay_alu instid0(VALU_DEP_1)
	v_cmpx_gt_u32_e32 0x43f00000, v4
	s_xor_b32 s3, exec_lo, s3
	s_cbranch_execz .LBB44_716
; %bb.711:
	s_mov_b32 s4, exec_lo
                                        ; implicit-def: $vgpr1
	v_cmpx_lt_u32_e32 0x3c7fffff, v4
	s_xor_b32 s4, exec_lo, s4
; %bb.712:
	v_bfe_u32 v1, v0, 20, 1
	s_delay_alu instid0(VALU_DEP_1) | instskip(NEXT) | instid1(VALU_DEP_1)
	v_add3_u32 v1, v0, v1, 0x407ffff
	v_and_b32_e32 v4, 0xff00000, v1
	v_lshrrev_b32_e32 v1, 20, v1
	s_delay_alu instid0(VALU_DEP_2) | instskip(NEXT) | instid1(VALU_DEP_2)
	v_cmp_ne_u32_e32 vcc_lo, 0x7f00000, v4
	v_cndmask_b32_e32 v1, 0x7e, v1, vcc_lo
; %bb.713:
	s_and_not1_saveexec_b32 s4, s4
; %bb.714:
	v_add_f32_e64 v1, 0x46800000, |v0|
; %bb.715:
	s_or_b32 exec_lo, exec_lo, s4
                                        ; implicit-def: $vgpr4
.LBB44_716:
	s_and_not1_saveexec_b32 s3, s3
; %bb.717:
	v_mov_b32_e32 v1, 0x7f
	v_cmp_lt_u32_e32 vcc_lo, 0x7f800000, v4
	s_delay_alu instid0(VALU_DEP_2)
	v_cndmask_b32_e32 v1, 0x7e, v1, vcc_lo
; %bb.718:
	s_or_b32 exec_lo, exec_lo, s3
	v_lshrrev_b32_e32 v4, 24, v0
	s_delay_alu instid0(VALU_DEP_1)
	v_and_or_b32 v1, 0x80, v4, v1
	global_store_b8 v[2:3], v1, off
.LBB44_719:
	s_mov_b32 s3, 0
.LBB44_720:
	s_delay_alu instid0(SALU_CYCLE_1)
	s_and_not1_b32 vcc_lo, exec_lo, s3
	s_cbranch_vccnz .LBB44_730
; %bb.721:
	s_wait_xcnt 0x0
	v_and_b32_e32 v4, 0x7fffffff, v0
	s_mov_b32 s3, exec_lo
                                        ; implicit-def: $vgpr1
	s_delay_alu instid0(VALU_DEP_1)
	v_cmpx_gt_u32_e32 0x47800000, v4
	s_xor_b32 s3, exec_lo, s3
	s_cbranch_execz .LBB44_727
; %bb.722:
	s_mov_b32 s4, exec_lo
                                        ; implicit-def: $vgpr1
	v_cmpx_lt_u32_e32 0x387fffff, v4
	s_xor_b32 s4, exec_lo, s4
; %bb.723:
	v_bfe_u32 v1, v0, 21, 1
	s_delay_alu instid0(VALU_DEP_1) | instskip(NEXT) | instid1(VALU_DEP_1)
	v_add3_u32 v1, v0, v1, 0x80fffff
	v_lshrrev_b32_e32 v1, 21, v1
; %bb.724:
	s_and_not1_saveexec_b32 s4, s4
; %bb.725:
	v_add_f32_e64 v1, 0x43000000, |v0|
; %bb.726:
	s_or_b32 exec_lo, exec_lo, s4
                                        ; implicit-def: $vgpr4
.LBB44_727:
	s_and_not1_saveexec_b32 s3, s3
; %bb.728:
	v_mov_b32_e32 v1, 0x7f
	v_cmp_lt_u32_e32 vcc_lo, 0x7f800000, v4
	s_delay_alu instid0(VALU_DEP_2)
	v_cndmask_b32_e32 v1, 0x7c, v1, vcc_lo
; %bb.729:
	s_or_b32 exec_lo, exec_lo, s3
	v_lshrrev_b32_e32 v4, 24, v0
	s_delay_alu instid0(VALU_DEP_1)
	v_and_or_b32 v1, 0x80, v4, v1
	global_store_b8 v[2:3], v1, off
.LBB44_730:
	s_mov_b32 s4, 0
	s_mov_b32 s3, -1
.LBB44_731:
	s_and_not1_b32 vcc_lo, exec_lo, s4
	s_cbranch_vccnz .LBB44_739
; %bb.732:
	s_cmp_gt_i32 s2, 14
	s_mov_b32 s4, -1
	s_cbranch_scc0 .LBB44_736
; %bb.733:
	s_cmp_eq_u32 s2, 15
	s_mov_b32 s0, -1
	s_cbranch_scc0 .LBB44_735
; %bb.734:
	s_wait_xcnt 0x0
	v_bfe_u32 v1, v0, 16, 1
	v_cmp_o_f32_e32 vcc_lo, v0, v0
	s_mov_b32 s3, -1
	s_mov_b32 s0, 0
	s_delay_alu instid0(VALU_DEP_2) | instskip(NEXT) | instid1(VALU_DEP_1)
	v_add3_u32 v1, v0, v1, 0x7fff
	v_lshrrev_b32_e32 v1, 16, v1
	s_delay_alu instid0(VALU_DEP_1)
	v_cndmask_b32_e32 v1, 0x7fc0, v1, vcc_lo
	global_store_b16 v[2:3], v1, off
.LBB44_735:
	s_mov_b32 s4, 0
.LBB44_736:
	s_delay_alu instid0(SALU_CYCLE_1)
	s_and_b32 vcc_lo, exec_lo, s4
	s_cbranch_vccz .LBB44_739
; %bb.737:
	s_cmp_eq_u32 s2, 11
	s_mov_b32 s0, -1
	s_cbranch_scc0 .LBB44_739
; %bb.738:
	v_cmp_neq_f32_e32 vcc_lo, 0, v0
	s_mov_b32 s0, 0
	s_mov_b32 s3, -1
	s_wait_xcnt 0x0
	v_cndmask_b32_e64 v1, 0, 1, vcc_lo
	global_store_b8 v[2:3], v1, off
.LBB44_739:
	s_mov_b32 s2, 0
.LBB44_740:
	s_delay_alu instid0(SALU_CYCLE_1)
	s_and_b32 vcc_lo, exec_lo, s2
	s_cbranch_vccz .LBB44_779
; %bb.741:
	s_and_b32 s1, 0xffff, s1
	s_mov_b32 s2, -1
	s_cmp_lt_i32 s1, 5
	s_cbranch_scc1 .LBB44_762
; %bb.742:
	s_cmp_lt_i32 s1, 8
	s_cbranch_scc1 .LBB44_752
; %bb.743:
	;; [unrolled: 3-line block ×3, first 2 shown]
	s_cmp_gt_i32 s1, 9
	s_cbranch_scc0 .LBB44_746
; %bb.745:
	s_wait_xcnt 0x0
	v_cvt_f64_f32_e32 v[4:5], v0
	v_mov_b32_e32 v6, 0
	s_mov_b32 s2, 0
	s_delay_alu instid0(VALU_DEP_1)
	v_mov_b32_e32 v7, v6
	global_store_b128 v[2:3], v[4:7], off
.LBB44_746:
	s_and_not1_b32 vcc_lo, exec_lo, s2
	s_cbranch_vccnz .LBB44_748
; %bb.747:
	s_wait_xcnt 0x0
	v_mov_b32_e32 v1, 0
	global_store_b64 v[2:3], v[0:1], off
.LBB44_748:
	s_mov_b32 s2, 0
.LBB44_749:
	s_delay_alu instid0(SALU_CYCLE_1)
	s_and_not1_b32 vcc_lo, exec_lo, s2
	s_cbranch_vccnz .LBB44_751
; %bb.750:
	s_wait_xcnt 0x0
	v_cvt_f16_f32_e32 v1, v0
	s_delay_alu instid0(VALU_DEP_1)
	v_and_b32_e32 v1, 0xffff, v1
	global_store_b32 v[2:3], v1, off
.LBB44_751:
	s_mov_b32 s2, 0
.LBB44_752:
	s_delay_alu instid0(SALU_CYCLE_1)
	s_and_not1_b32 vcc_lo, exec_lo, s2
	s_cbranch_vccnz .LBB44_761
; %bb.753:
	s_cmp_lt_i32 s1, 6
	s_mov_b32 s2, -1
	s_cbranch_scc1 .LBB44_759
; %bb.754:
	s_cmp_gt_i32 s1, 6
	s_cbranch_scc0 .LBB44_756
; %bb.755:
	s_wait_xcnt 0x0
	v_cvt_f64_f32_e32 v[4:5], v0
	s_mov_b32 s2, 0
	global_store_b64 v[2:3], v[4:5], off
.LBB44_756:
	s_and_not1_b32 vcc_lo, exec_lo, s2
	s_cbranch_vccnz .LBB44_758
; %bb.757:
	global_store_b32 v[2:3], v0, off
.LBB44_758:
	s_mov_b32 s2, 0
.LBB44_759:
	s_delay_alu instid0(SALU_CYCLE_1)
	s_and_not1_b32 vcc_lo, exec_lo, s2
	s_cbranch_vccnz .LBB44_761
; %bb.760:
	s_wait_xcnt 0x0
	v_cvt_f16_f32_e32 v1, v0
	global_store_b16 v[2:3], v1, off
.LBB44_761:
	s_mov_b32 s2, 0
.LBB44_762:
	s_delay_alu instid0(SALU_CYCLE_1)
	s_and_not1_b32 vcc_lo, exec_lo, s2
	s_cbranch_vccnz .LBB44_778
; %bb.763:
	s_cmp_lt_i32 s1, 2
	s_mov_b32 s2, -1
	s_cbranch_scc1 .LBB44_773
; %bb.764:
	s_cmp_lt_i32 s1, 3
	s_cbranch_scc1 .LBB44_770
; %bb.765:
	s_cmp_gt_i32 s1, 3
	s_cbranch_scc0 .LBB44_767
; %bb.766:
	s_wait_xcnt 0x0
	v_trunc_f32_e32 v1, v0
	s_mov_b32 s2, 0
	s_delay_alu instid0(VALU_DEP_1) | instskip(NEXT) | instid1(VALU_DEP_1)
	v_mul_f32_e64 v4, 0x2f800000, |v1|
	v_floor_f32_e32 v5, v4
	v_ashrrev_i32_e32 v4, 31, v1
	s_delay_alu instid0(VALU_DEP_2) | instskip(SKIP_1) | instid1(VALU_DEP_3)
	v_fma_f32 v6, 0xcf800000, v5, |v1|
	v_cvt_u32_f32_e32 v1, v5
	v_mov_b32_e32 v5, v4
	s_delay_alu instid0(VALU_DEP_3) | instskip(NEXT) | instid1(VALU_DEP_3)
	v_cvt_u32_f32_e32 v6, v6
	v_xor_b32_e32 v7, v1, v4
	s_delay_alu instid0(VALU_DEP_2) | instskip(NEXT) | instid1(VALU_DEP_1)
	v_xor_b32_e32 v6, v6, v4
	v_sub_nc_u64_e32 v[4:5], v[6:7], v[4:5]
	global_store_b64 v[2:3], v[4:5], off
.LBB44_767:
	s_and_not1_b32 vcc_lo, exec_lo, s2
	s_cbranch_vccnz .LBB44_769
; %bb.768:
	s_wait_xcnt 0x0
	v_cvt_i32_f32_e32 v1, v0
	global_store_b32 v[2:3], v1, off
.LBB44_769:
	s_mov_b32 s2, 0
.LBB44_770:
	s_delay_alu instid0(SALU_CYCLE_1)
	s_and_not1_b32 vcc_lo, exec_lo, s2
	s_cbranch_vccnz .LBB44_772
; %bb.771:
	s_wait_xcnt 0x0
	v_cvt_i32_f32_e32 v1, v0
	global_store_b16 v[2:3], v1, off
.LBB44_772:
	s_mov_b32 s2, 0
.LBB44_773:
	s_delay_alu instid0(SALU_CYCLE_1)
	s_and_not1_b32 vcc_lo, exec_lo, s2
	s_cbranch_vccnz .LBB44_778
; %bb.774:
	s_cmp_gt_i32 s1, 0
	s_mov_b32 s1, -1
	s_cbranch_scc0 .LBB44_776
; %bb.775:
	s_wait_xcnt 0x0
	v_cvt_i32_f32_e32 v1, v0
	s_mov_b32 s1, 0
	global_store_b8 v[2:3], v1, off
.LBB44_776:
	s_and_not1_b32 vcc_lo, exec_lo, s1
	s_cbranch_vccnz .LBB44_778
; %bb.777:
	s_wait_xcnt 0x0
	v_trunc_f32_e32 v0, v0
	s_delay_alu instid0(VALU_DEP_1) | instskip(NEXT) | instid1(VALU_DEP_1)
	v_mul_f32_e64 v1, 0x2f800000, |v0|
	v_floor_f32_e32 v1, v1
	s_delay_alu instid0(VALU_DEP_1) | instskip(SKIP_1) | instid1(VALU_DEP_2)
	v_fma_f32 v1, 0xcf800000, v1, |v0|
	v_ashrrev_i32_e32 v0, 31, v0
	v_cvt_u32_f32_e32 v1, v1
	s_delay_alu instid0(VALU_DEP_1) | instskip(NEXT) | instid1(VALU_DEP_1)
	v_xor_b32_e32 v1, v1, v0
	v_sub_nc_u32_e32 v0, v1, v0
	global_store_b8 v[2:3], v0, off
.LBB44_778:
	s_mov_b32 s3, -1
.LBB44_779:
	s_delay_alu instid0(SALU_CYCLE_1)
	s_and_not1_b32 vcc_lo, exec_lo, s3
	s_cbranch_vccnz .LBB44_781
; %bb.780:
	v_add_nc_u32_e32 v60, 0x80, v60
	s_mov_b32 s1, -1
	s_branch .LBB44_783
.LBB44_781:
	s_mov_b32 s1, 0
.LBB44_782:
                                        ; implicit-def: $vgpr60
.LBB44_783:
	s_and_not1_b32 s2, s57, exec_lo
	s_and_b32 s0, s0, exec_lo
	s_and_not1_b32 s3, s59, exec_lo
	s_or_b32 s62, s2, s0
	s_and_not1_b32 s0, s58, exec_lo
	s_and_b32 s2, s63, exec_lo
	s_and_b32 s4, s61, exec_lo
	s_or_b32 s63, s0, s2
	s_or_b32 s61, s3, s4
	s_or_not1_b32 s1, s1, exec_lo
.LBB44_784:
	s_wait_xcnt 0x0
	s_or_b32 exec_lo, exec_lo, s64
	s_mov_b32 s2, 0
	s_mov_b32 s3, 0
	s_mov_b32 s4, 0
                                        ; implicit-def: $sgpr0
                                        ; implicit-def: $vgpr0_vgpr1
                                        ; implicit-def: $vgpr40
	s_and_saveexec_b32 s64, s1
	s_cbranch_execz .LBB44_1264
; %bb.785:
	s_mov_b32 s8, -1
	s_mov_b32 s1, s61
	s_mov_b32 s3, s63
	;; [unrolled: 1-line block ×3, first 2 shown]
	s_mov_b32 s65, exec_lo
	v_cmpx_gt_i32_e64 s56, v60
	s_cbranch_execz .LBB44_1180
; %bb.786:
	v_mul_lo_u32 v0, v60, s49
	s_and_b32 s0, s53, 0xff
	s_delay_alu instid0(SALU_CYCLE_1) | instskip(NEXT) | instid1(VALU_DEP_1)
	s_cmp_lt_i32 s0, 11
	v_ashrrev_i32_e32 v1, 31, v0
	s_delay_alu instid0(VALU_DEP_1)
	v_add_nc_u64_e32 v[0:1], s[38:39], v[0:1]
	s_cbranch_scc1 .LBB44_793
; %bb.787:
	s_and_b32 s1, 0xffff, s0
	s_delay_alu instid0(SALU_CYCLE_1)
	s_cmp_gt_i32 s1, 25
	s_cbranch_scc0 .LBB44_794
; %bb.788:
	s_cmp_gt_i32 s1, 28
	s_cbranch_scc0 .LBB44_795
; %bb.789:
	s_cmp_gt_i32 s1, 43
	s_cbranch_scc0 .LBB44_796
; %bb.790:
	s_cmp_gt_i32 s1, 45
	s_cbranch_scc0 .LBB44_797
; %bb.791:
	s_cmp_eq_u32 s1, 46
	s_mov_b32 s3, 0
	s_cbranch_scc0 .LBB44_800
; %bb.792:
	global_load_b32 v2, v[0:1], off
	s_mov_b32 s2, -1
	s_mov_b32 s66, 0
	s_wait_loadcnt 0x0
	v_lshlrev_b32_e32 v40, 16, v2
	s_branch .LBB44_802
.LBB44_793:
	s_mov_b32 s1, -1
	s_mov_b32 s2, 0
	s_mov_b32 s66, s61
                                        ; implicit-def: $vgpr40
	s_branch .LBB44_867
.LBB44_794:
	s_mov_b32 s3, -1
	s_mov_b32 s2, 0
	s_mov_b32 s66, s61
                                        ; implicit-def: $vgpr40
	s_branch .LBB44_831
.LBB44_795:
	s_mov_b32 s3, -1
	s_mov_b32 s2, 0
	s_mov_b32 s66, s61
                                        ; implicit-def: $vgpr40
	s_branch .LBB44_812
.LBB44_796:
	s_mov_b32 s3, -1
	s_mov_b32 s2, 0
	s_mov_b32 s66, s61
                                        ; implicit-def: $vgpr40
	s_branch .LBB44_807
.LBB44_797:
	s_mov_b32 s3, -1
	s_mov_b32 s2, 0
	s_mov_b32 s66, s61
	s_branch .LBB44_801
.LBB44_798:
	s_and_not1_saveexec_b32 s5, s5
	s_cbranch_execz .LBB44_692
.LBB44_799:
	v_add_f32_e64 v1, 0x46000000, |v0|
	s_and_not1_b32 s4, s4, exec_lo
	s_delay_alu instid0(VALU_DEP_1) | instskip(NEXT) | instid1(VALU_DEP_1)
	v_and_b32_e32 v1, 0xff, v1
	v_cmp_ne_u32_e32 vcc_lo, 0, v1
	s_and_b32 s6, vcc_lo, exec_lo
	s_delay_alu instid0(SALU_CYCLE_1)
	s_or_b32 s4, s4, s6
	s_or_b32 exec_lo, exec_lo, s5
	v_mov_b32_e32 v4, 0
	s_and_saveexec_b32 s5, s4
	s_cbranch_execnz .LBB44_693
	s_branch .LBB44_694
.LBB44_800:
	s_mov_b32 s66, -1
	s_mov_b32 s2, 0
.LBB44_801:
                                        ; implicit-def: $vgpr40
.LBB44_802:
	s_and_b32 vcc_lo, exec_lo, s3
	s_cbranch_vccz .LBB44_806
; %bb.803:
	s_cmp_eq_u32 s1, 44
	s_cbranch_scc0 .LBB44_805
; %bb.804:
	global_load_u8 v2, v[0:1], off
	s_mov_b32 s66, 0
	s_mov_b32 s2, -1
	s_wait_loadcnt 0x0
	v_lshlrev_b32_e32 v3, 23, v2
	v_cmp_ne_u32_e32 vcc_lo, 0xff, v2
	s_delay_alu instid0(VALU_DEP_2) | instskip(SKIP_1) | instid1(VALU_DEP_2)
	v_cndmask_b32_e32 v3, 0x7f800001, v3, vcc_lo
	v_cmp_ne_u32_e32 vcc_lo, 0, v2
	v_cndmask_b32_e32 v40, 0x400000, v3, vcc_lo
	s_branch .LBB44_806
.LBB44_805:
	s_mov_b32 s66, -1
                                        ; implicit-def: $vgpr40
.LBB44_806:
	s_mov_b32 s3, 0
.LBB44_807:
	s_delay_alu instid0(SALU_CYCLE_1)
	s_and_b32 vcc_lo, exec_lo, s3
	s_cbranch_vccz .LBB44_811
; %bb.808:
	s_cmp_eq_u32 s1, 29
	s_cbranch_scc0 .LBB44_810
; %bb.809:
	global_load_b64 v[2:3], v[0:1], off
	s_mov_b32 s2, -1
	s_mov_b32 s66, 0
	s_mov_b32 s3, 0
	s_wait_loadcnt 0x0
	v_clz_i32_u32_e32 v4, v3
	s_delay_alu instid0(VALU_DEP_1) | instskip(NEXT) | instid1(VALU_DEP_1)
	v_min_u32_e32 v4, 32, v4
	v_lshlrev_b64_e32 v[2:3], v4, v[2:3]
	s_delay_alu instid0(VALU_DEP_1) | instskip(NEXT) | instid1(VALU_DEP_1)
	v_min_u32_e32 v2, 1, v2
	v_dual_sub_nc_u32 v3, 32, v4 :: v_dual_bitop2_b32 v2, v3, v2 bitop3:0x54
	s_delay_alu instid0(VALU_DEP_1) | instskip(NEXT) | instid1(VALU_DEP_1)
	v_cvt_f32_u32_e32 v2, v2
	v_ldexp_f32 v40, v2, v3
	s_branch .LBB44_812
.LBB44_810:
	s_mov_b32 s66, -1
                                        ; implicit-def: $vgpr40
.LBB44_811:
	s_mov_b32 s3, 0
.LBB44_812:
	s_delay_alu instid0(SALU_CYCLE_1)
	s_and_b32 vcc_lo, exec_lo, s3
	s_cbranch_vccz .LBB44_830
; %bb.813:
	s_cmp_lt_i32 s1, 27
	s_cbranch_scc1 .LBB44_816
; %bb.814:
	s_cmp_gt_i32 s1, 27
	s_cbranch_scc0 .LBB44_817
; %bb.815:
	global_load_b32 v2, v[0:1], off
	s_mov_b32 s2, 0
	s_wait_loadcnt 0x0
	v_cvt_f32_u32_e32 v40, v2
	s_branch .LBB44_818
.LBB44_816:
	s_mov_b32 s2, -1
                                        ; implicit-def: $vgpr40
	s_branch .LBB44_821
.LBB44_817:
	s_mov_b32 s2, -1
                                        ; implicit-def: $vgpr40
.LBB44_818:
	s_delay_alu instid0(SALU_CYCLE_1)
	s_and_not1_b32 vcc_lo, exec_lo, s2
	s_cbranch_vccnz .LBB44_820
; %bb.819:
	global_load_u16 v2, v[0:1], off
	s_wait_loadcnt 0x0
	v_cvt_f32_u32_e32 v40, v2
.LBB44_820:
	s_mov_b32 s2, 0
.LBB44_821:
	s_delay_alu instid0(SALU_CYCLE_1)
	s_and_not1_b32 vcc_lo, exec_lo, s2
	s_cbranch_vccnz .LBB44_829
; %bb.822:
	global_load_u8 v2, v[0:1], off
	s_mov_b32 s2, 0
	s_mov_b32 s3, exec_lo
	s_wait_loadcnt 0x0
	v_cmpx_lt_i16_e32 0x7f, v2
	s_xor_b32 s3, exec_lo, s3
	s_cbranch_execz .LBB44_843
; %bb.823:
	s_mov_b32 s2, -1
	s_mov_b32 s4, exec_lo
	v_cmpx_eq_u16_e32 0x80, v2
; %bb.824:
	s_xor_b32 s2, exec_lo, -1
; %bb.825:
	s_or_b32 exec_lo, exec_lo, s4
	s_delay_alu instid0(SALU_CYCLE_1)
	s_and_b32 s2, s2, exec_lo
	s_or_saveexec_b32 s3, s3
	v_mov_b32_e32 v40, 0x7f800001
	s_xor_b32 exec_lo, exec_lo, s3
	s_cbranch_execnz .LBB44_844
.LBB44_826:
	s_or_b32 exec_lo, exec_lo, s3
	s_and_saveexec_b32 s3, s2
	s_cbranch_execz .LBB44_828
.LBB44_827:
	v_and_b32_e32 v3, 0xffff, v2
	s_delay_alu instid0(VALU_DEP_1) | instskip(SKIP_1) | instid1(VALU_DEP_2)
	v_and_b32_e32 v4, 7, v3
	v_bfe_u32 v7, v3, 3, 4
	v_clz_i32_u32_e32 v5, v4
	s_delay_alu instid0(VALU_DEP_2) | instskip(NEXT) | instid1(VALU_DEP_2)
	v_cmp_eq_u32_e32 vcc_lo, 0, v7
	v_min_u32_e32 v5, 32, v5
	s_delay_alu instid0(VALU_DEP_1) | instskip(NEXT) | instid1(VALU_DEP_1)
	v_subrev_nc_u32_e32 v6, 28, v5
	v_dual_lshlrev_b32 v3, v6, v3 :: v_dual_sub_nc_u32 v5, 29, v5
	s_delay_alu instid0(VALU_DEP_1) | instskip(NEXT) | instid1(VALU_DEP_1)
	v_dual_lshlrev_b32 v2, 24, v2 :: v_dual_bitop2_b32 v3, 7, v3 bitop3:0x40
	v_dual_cndmask_b32 v5, v7, v5, vcc_lo :: v_dual_cndmask_b32 v3, v4, v3, vcc_lo
	s_delay_alu instid0(VALU_DEP_2) | instskip(NEXT) | instid1(VALU_DEP_2)
	v_and_b32_e32 v2, 0x80000000, v2
	v_lshl_add_u32 v4, v5, 23, 0x3b800000
	s_delay_alu instid0(VALU_DEP_3) | instskip(NEXT) | instid1(VALU_DEP_1)
	v_lshlrev_b32_e32 v3, 20, v3
	v_or3_b32 v40, v2, v4, v3
.LBB44_828:
	s_or_b32 exec_lo, exec_lo, s3
.LBB44_829:
	s_mov_b32 s2, -1
.LBB44_830:
	s_mov_b32 s3, 0
.LBB44_831:
	s_delay_alu instid0(SALU_CYCLE_1)
	s_and_b32 vcc_lo, exec_lo, s3
	s_cbranch_vccz .LBB44_866
; %bb.832:
	s_cmp_gt_i32 s1, 22
	s_cbranch_scc0 .LBB44_842
; %bb.833:
	s_cmp_lt_i32 s1, 24
	s_cbranch_scc1 .LBB44_845
; %bb.834:
	s_cmp_gt_i32 s1, 24
	s_cbranch_scc0 .LBB44_846
; %bb.835:
	global_load_u8 v2, v[0:1], off
	s_mov_b32 s2, 0
	s_mov_b32 s3, exec_lo
	s_wait_loadcnt 0x0
	v_cmpx_lt_i16_e32 0x7f, v2
	s_xor_b32 s3, exec_lo, s3
	s_cbranch_execz .LBB44_858
; %bb.836:
	s_mov_b32 s2, -1
	s_mov_b32 s4, exec_lo
	v_cmpx_eq_u16_e32 0x80, v2
; %bb.837:
	s_xor_b32 s2, exec_lo, -1
; %bb.838:
	s_or_b32 exec_lo, exec_lo, s4
	s_delay_alu instid0(SALU_CYCLE_1)
	s_and_b32 s2, s2, exec_lo
	s_or_saveexec_b32 s3, s3
	v_mov_b32_e32 v40, 0x7f800001
	s_xor_b32 exec_lo, exec_lo, s3
	s_cbranch_execnz .LBB44_859
.LBB44_839:
	s_or_b32 exec_lo, exec_lo, s3
	s_and_saveexec_b32 s3, s2
	s_cbranch_execz .LBB44_841
.LBB44_840:
	v_and_b32_e32 v3, 0xffff, v2
	s_delay_alu instid0(VALU_DEP_1) | instskip(SKIP_1) | instid1(VALU_DEP_2)
	v_and_b32_e32 v4, 3, v3
	v_bfe_u32 v7, v3, 2, 5
	v_clz_i32_u32_e32 v5, v4
	s_delay_alu instid0(VALU_DEP_2) | instskip(NEXT) | instid1(VALU_DEP_2)
	v_cmp_eq_u32_e32 vcc_lo, 0, v7
	v_min_u32_e32 v5, 32, v5
	s_delay_alu instid0(VALU_DEP_1) | instskip(NEXT) | instid1(VALU_DEP_1)
	v_subrev_nc_u32_e32 v6, 29, v5
	v_dual_lshlrev_b32 v3, v6, v3 :: v_dual_sub_nc_u32 v5, 30, v5
	s_delay_alu instid0(VALU_DEP_1) | instskip(NEXT) | instid1(VALU_DEP_1)
	v_dual_lshlrev_b32 v2, 24, v2 :: v_dual_bitop2_b32 v3, 3, v3 bitop3:0x40
	v_dual_cndmask_b32 v5, v7, v5, vcc_lo :: v_dual_cndmask_b32 v3, v4, v3, vcc_lo
	s_delay_alu instid0(VALU_DEP_2) | instskip(NEXT) | instid1(VALU_DEP_2)
	v_and_b32_e32 v2, 0x80000000, v2
	v_lshl_add_u32 v4, v5, 23, 0x37800000
	s_delay_alu instid0(VALU_DEP_3) | instskip(NEXT) | instid1(VALU_DEP_1)
	v_lshlrev_b32_e32 v3, 21, v3
	v_or3_b32 v40, v2, v4, v3
.LBB44_841:
	s_or_b32 exec_lo, exec_lo, s3
	s_mov_b32 s2, 0
	s_branch .LBB44_847
.LBB44_842:
	s_mov_b32 s3, -1
                                        ; implicit-def: $vgpr40
	s_branch .LBB44_853
.LBB44_843:
	s_or_saveexec_b32 s3, s3
	v_mov_b32_e32 v40, 0x7f800001
	s_xor_b32 exec_lo, exec_lo, s3
	s_cbranch_execz .LBB44_826
.LBB44_844:
	v_cmp_ne_u16_e32 vcc_lo, 0, v2
	v_mov_b32_e32 v40, 0
	s_and_not1_b32 s2, s2, exec_lo
	s_and_b32 s4, vcc_lo, exec_lo
	s_delay_alu instid0(SALU_CYCLE_1)
	s_or_b32 s2, s2, s4
	s_or_b32 exec_lo, exec_lo, s3
	s_and_saveexec_b32 s3, s2
	s_cbranch_execnz .LBB44_827
	s_branch .LBB44_828
.LBB44_845:
	s_mov_b32 s2, -1
                                        ; implicit-def: $vgpr40
	s_branch .LBB44_850
.LBB44_846:
	s_mov_b32 s2, -1
                                        ; implicit-def: $vgpr40
.LBB44_847:
	s_delay_alu instid0(SALU_CYCLE_1)
	s_and_b32 vcc_lo, exec_lo, s2
	s_cbranch_vccz .LBB44_849
; %bb.848:
	global_load_u8 v2, v[0:1], off
	s_wait_loadcnt 0x0
	v_lshlrev_b32_e32 v2, 24, v2
	s_delay_alu instid0(VALU_DEP_1) | instskip(NEXT) | instid1(VALU_DEP_1)
	v_and_b32_e32 v3, 0x7f000000, v2
	v_clz_i32_u32_e32 v4, v3
	v_cmp_ne_u32_e32 vcc_lo, 0, v3
	v_add_nc_u32_e32 v6, 0x1000000, v3
	s_delay_alu instid0(VALU_DEP_3) | instskip(NEXT) | instid1(VALU_DEP_1)
	v_min_u32_e32 v4, 32, v4
	v_sub_nc_u32_e64 v4, v4, 4 clamp
	s_delay_alu instid0(VALU_DEP_1) | instskip(NEXT) | instid1(VALU_DEP_1)
	v_dual_lshlrev_b32 v5, v4, v3 :: v_dual_lshlrev_b32 v4, 23, v4
	v_lshrrev_b32_e32 v5, 4, v5
	s_delay_alu instid0(VALU_DEP_1) | instskip(NEXT) | instid1(VALU_DEP_1)
	v_dual_sub_nc_u32 v4, v5, v4 :: v_dual_ashrrev_i32 v5, 8, v6
	v_add_nc_u32_e32 v4, 0x3c000000, v4
	s_delay_alu instid0(VALU_DEP_1) | instskip(NEXT) | instid1(VALU_DEP_1)
	v_and_or_b32 v4, 0x7f800000, v5, v4
	v_cndmask_b32_e32 v3, 0, v4, vcc_lo
	s_delay_alu instid0(VALU_DEP_1)
	v_and_or_b32 v40, 0x80000000, v2, v3
.LBB44_849:
	s_mov_b32 s2, 0
.LBB44_850:
	s_delay_alu instid0(SALU_CYCLE_1)
	s_and_not1_b32 vcc_lo, exec_lo, s2
	s_cbranch_vccnz .LBB44_852
; %bb.851:
	global_load_u8 v2, v[0:1], off
	s_wait_loadcnt 0x0
	v_lshlrev_b32_e32 v3, 25, v2
	v_lshlrev_b16 v2, 8, v2
	s_delay_alu instid0(VALU_DEP_1) | instskip(SKIP_1) | instid1(VALU_DEP_2)
	v_and_or_b32 v5, 0x7f00, v2, 0.5
	v_bfe_i32 v2, v2, 0, 16
	v_dual_add_f32 v5, -0.5, v5 :: v_dual_lshrrev_b32 v4, 4, v3
	v_cmp_gt_u32_e32 vcc_lo, 0x8000000, v3
	s_delay_alu instid0(VALU_DEP_2) | instskip(NEXT) | instid1(VALU_DEP_1)
	v_or_b32_e32 v4, 0x70000000, v4
	v_mul_f32_e32 v4, 0x7800000, v4
	s_delay_alu instid0(VALU_DEP_1) | instskip(NEXT) | instid1(VALU_DEP_1)
	v_cndmask_b32_e32 v3, v4, v5, vcc_lo
	v_and_or_b32 v40, 0x80000000, v2, v3
.LBB44_852:
	s_mov_b32 s3, 0
	s_mov_b32 s2, -1
.LBB44_853:
	s_and_not1_b32 vcc_lo, exec_lo, s3
	s_cbranch_vccnz .LBB44_866
; %bb.854:
	s_cmp_gt_i32 s1, 14
	s_cbranch_scc0 .LBB44_857
; %bb.855:
	s_cmp_eq_u32 s1, 15
	s_cbranch_scc0 .LBB44_860
; %bb.856:
	global_load_u16 v2, v[0:1], off
	s_mov_b32 s2, -1
	s_mov_b32 s66, 0
	s_wait_loadcnt 0x0
	v_lshlrev_b32_e32 v40, 16, v2
	s_branch .LBB44_861
.LBB44_857:
	s_mov_b32 s3, -1
                                        ; implicit-def: $vgpr40
	s_branch .LBB44_862
.LBB44_858:
	s_or_saveexec_b32 s3, s3
	v_mov_b32_e32 v40, 0x7f800001
	s_xor_b32 exec_lo, exec_lo, s3
	s_cbranch_execz .LBB44_839
.LBB44_859:
	v_cmp_ne_u16_e32 vcc_lo, 0, v2
	v_mov_b32_e32 v40, 0
	s_and_not1_b32 s2, s2, exec_lo
	s_and_b32 s4, vcc_lo, exec_lo
	s_delay_alu instid0(SALU_CYCLE_1)
	s_or_b32 s2, s2, s4
	s_or_b32 exec_lo, exec_lo, s3
	s_and_saveexec_b32 s3, s2
	s_cbranch_execnz .LBB44_840
	s_branch .LBB44_841
.LBB44_860:
	s_mov_b32 s66, -1
                                        ; implicit-def: $vgpr40
.LBB44_861:
	s_mov_b32 s3, 0
.LBB44_862:
	s_delay_alu instid0(SALU_CYCLE_1)
	s_and_b32 vcc_lo, exec_lo, s3
	s_cbranch_vccz .LBB44_866
; %bb.863:
	s_cmp_eq_u32 s1, 11
	s_cbranch_scc0 .LBB44_865
; %bb.864:
	global_load_u8 v2, v[0:1], off
	s_mov_b32 s66, 0
	s_mov_b32 s2, -1
	s_wait_loadcnt 0x0
	v_cmp_ne_u16_e32 vcc_lo, 0, v2
	v_cndmask_b32_e64 v40, 0, 1.0, vcc_lo
	s_branch .LBB44_866
.LBB44_865:
	s_mov_b32 s66, -1
                                        ; implicit-def: $vgpr40
.LBB44_866:
	s_mov_b32 s1, 0
.LBB44_867:
	s_delay_alu instid0(SALU_CYCLE_1)
	s_and_b32 vcc_lo, exec_lo, s1
	s_cbranch_vccz .LBB44_916
; %bb.868:
	s_and_b32 s0, 0xffff, s0
	s_delay_alu instid0(SALU_CYCLE_1)
	s_cmp_lt_i32 s0, 5
	s_cbranch_scc1 .LBB44_873
; %bb.869:
	s_cmp_lt_i32 s0, 8
	s_cbranch_scc1 .LBB44_874
; %bb.870:
	;; [unrolled: 3-line block ×3, first 2 shown]
	s_cmp_gt_i32 s0, 9
	s_cbranch_scc0 .LBB44_876
; %bb.872:
	global_load_b64 v[2:3], v[0:1], off
	s_mov_b32 s1, 0
	s_wait_loadcnt 0x0
	v_cvt_f32_f64_e32 v40, v[2:3]
	s_branch .LBB44_877
.LBB44_873:
	s_mov_b32 s1, -1
                                        ; implicit-def: $vgpr40
	s_branch .LBB44_895
.LBB44_874:
	s_mov_b32 s1, -1
                                        ; implicit-def: $vgpr40
	s_branch .LBB44_883
.LBB44_875:
	s_mov_b32 s1, -1
                                        ; implicit-def: $vgpr40
	s_branch .LBB44_880
.LBB44_876:
	s_mov_b32 s1, -1
                                        ; implicit-def: $vgpr40
.LBB44_877:
	s_delay_alu instid0(SALU_CYCLE_1)
	s_and_not1_b32 vcc_lo, exec_lo, s1
	s_cbranch_vccnz .LBB44_879
; %bb.878:
	s_wait_loadcnt 0x0
	global_load_b32 v40, v[0:1], off
.LBB44_879:
	s_mov_b32 s1, 0
.LBB44_880:
	s_delay_alu instid0(SALU_CYCLE_1)
	s_and_not1_b32 vcc_lo, exec_lo, s1
	s_cbranch_vccnz .LBB44_882
; %bb.881:
	global_load_b32 v2, v[0:1], off
	s_wait_loadcnt 0x0
	v_cvt_f32_f16_e32 v40, v2
.LBB44_882:
	s_mov_b32 s1, 0
.LBB44_883:
	s_delay_alu instid0(SALU_CYCLE_1)
	s_and_not1_b32 vcc_lo, exec_lo, s1
	s_cbranch_vccnz .LBB44_894
; %bb.884:
	s_cmp_lt_i32 s0, 6
	s_cbranch_scc1 .LBB44_887
; %bb.885:
	s_cmp_gt_i32 s0, 6
	s_cbranch_scc0 .LBB44_888
; %bb.886:
	global_load_b64 v[2:3], v[0:1], off
	s_mov_b32 s1, 0
	s_wait_loadcnt 0x0
	v_cvt_f32_f64_e32 v40, v[2:3]
	s_branch .LBB44_889
.LBB44_887:
	s_mov_b32 s1, -1
                                        ; implicit-def: $vgpr40
	s_branch .LBB44_892
.LBB44_888:
	s_mov_b32 s1, -1
                                        ; implicit-def: $vgpr40
.LBB44_889:
	s_delay_alu instid0(SALU_CYCLE_1)
	s_and_not1_b32 vcc_lo, exec_lo, s1
	s_cbranch_vccnz .LBB44_891
; %bb.890:
	s_wait_loadcnt 0x0
	global_load_b32 v40, v[0:1], off
.LBB44_891:
	s_mov_b32 s1, 0
.LBB44_892:
	s_delay_alu instid0(SALU_CYCLE_1)
	s_and_not1_b32 vcc_lo, exec_lo, s1
	s_cbranch_vccnz .LBB44_894
; %bb.893:
	global_load_u16 v2, v[0:1], off
	s_wait_loadcnt 0x0
	v_cvt_f32_f16_e32 v40, v2
.LBB44_894:
	s_mov_b32 s1, 0
.LBB44_895:
	s_delay_alu instid0(SALU_CYCLE_1)
	s_and_not1_b32 vcc_lo, exec_lo, s1
	s_cbranch_vccnz .LBB44_915
; %bb.896:
	s_cmp_lt_i32 s0, 2
	s_cbranch_scc1 .LBB44_900
; %bb.897:
	s_cmp_lt_i32 s0, 3
	s_cbranch_scc1 .LBB44_901
; %bb.898:
	s_cmp_gt_i32 s0, 3
	s_cbranch_scc0 .LBB44_902
; %bb.899:
	global_load_b64 v[2:3], v[0:1], off
	s_mov_b32 s1, 0
	s_wait_loadcnt 0x0
	v_xor_b32_e32 v4, v2, v3
	v_cls_i32_e32 v5, v3
	s_delay_alu instid0(VALU_DEP_2) | instskip(NEXT) | instid1(VALU_DEP_1)
	v_ashrrev_i32_e32 v4, 31, v4
	v_add_nc_u32_e32 v4, 32, v4
	s_delay_alu instid0(VALU_DEP_1) | instskip(NEXT) | instid1(VALU_DEP_1)
	v_add_min_u32_e64 v4, v5, -1, v4
	v_lshlrev_b64_e32 v[2:3], v4, v[2:3]
	s_delay_alu instid0(VALU_DEP_1) | instskip(NEXT) | instid1(VALU_DEP_1)
	v_min_u32_e32 v2, 1, v2
	v_dual_sub_nc_u32 v3, 32, v4 :: v_dual_bitop2_b32 v2, v3, v2 bitop3:0x54
	s_delay_alu instid0(VALU_DEP_1) | instskip(NEXT) | instid1(VALU_DEP_1)
	v_cvt_f32_i32_e32 v2, v2
	v_ldexp_f32 v40, v2, v3
	s_branch .LBB44_903
.LBB44_900:
	s_mov_b32 s1, -1
                                        ; implicit-def: $vgpr40
	s_branch .LBB44_909
.LBB44_901:
	s_mov_b32 s1, -1
                                        ; implicit-def: $vgpr40
	s_branch .LBB44_906
.LBB44_902:
	s_mov_b32 s1, -1
                                        ; implicit-def: $vgpr40
.LBB44_903:
	s_delay_alu instid0(SALU_CYCLE_1)
	s_and_not1_b32 vcc_lo, exec_lo, s1
	s_cbranch_vccnz .LBB44_905
; %bb.904:
	global_load_b32 v2, v[0:1], off
	s_wait_loadcnt 0x0
	v_cvt_f32_i32_e32 v40, v2
.LBB44_905:
	s_mov_b32 s1, 0
.LBB44_906:
	s_delay_alu instid0(SALU_CYCLE_1)
	s_and_not1_b32 vcc_lo, exec_lo, s1
	s_cbranch_vccnz .LBB44_908
; %bb.907:
	global_load_i16 v2, v[0:1], off
	s_wait_loadcnt 0x0
	v_cvt_f32_i32_e32 v40, v2
.LBB44_908:
	s_mov_b32 s1, 0
.LBB44_909:
	s_delay_alu instid0(SALU_CYCLE_1)
	s_and_not1_b32 vcc_lo, exec_lo, s1
	s_cbranch_vccnz .LBB44_915
; %bb.910:
	s_cmp_gt_i32 s0, 0
	s_mov_b32 s0, 0
	s_cbranch_scc0 .LBB44_912
; %bb.911:
	global_load_i8 v2, v[0:1], off
	s_wait_loadcnt 0x0
	v_cvt_f32_i32_e32 v40, v2
	s_branch .LBB44_913
.LBB44_912:
	s_mov_b32 s0, -1
                                        ; implicit-def: $vgpr40
.LBB44_913:
	s_delay_alu instid0(SALU_CYCLE_1)
	s_and_not1_b32 vcc_lo, exec_lo, s0
	s_cbranch_vccnz .LBB44_915
; %bb.914:
	global_load_u8 v0, v[0:1], off
	s_wait_loadcnt 0x0
	v_cvt_f32_ubyte0_e32 v40, v0
.LBB44_915:
	s_mov_b32 s2, -1
.LBB44_916:
	s_delay_alu instid0(SALU_CYCLE_1)
	s_and_not1_b32 vcc_lo, exec_lo, s2
	s_cbranch_vccnz .LBB44_924
; %bb.917:
	s_wait_xcnt 0x0
	v_mul_lo_u32 v0, v60, s50
	s_and_b32 s0, 0xffff, s47
	s_delay_alu instid0(SALU_CYCLE_1) | instskip(NEXT) | instid1(VALU_DEP_1)
	s_cmp_lt_i32 s0, 11
	v_ashrrev_i32_e32 v1, 31, v0
	s_delay_alu instid0(VALU_DEP_1)
	v_add_nc_u64_e32 v[0:1], s[34:35], v[0:1]
	s_cbranch_scc1 .LBB44_925
; %bb.918:
	s_cmp_gt_i32 s0, 25
	s_cbranch_scc0 .LBB44_926
; %bb.919:
	s_cmp_gt_i32 s0, 28
	s_cbranch_scc0 .LBB44_927
	;; [unrolled: 3-line block ×4, first 2 shown]
; %bb.922:
	s_cmp_eq_u32 s0, 46
	s_mov_b32 s2, 0
	s_cbranch_scc0 .LBB44_932
; %bb.923:
	global_load_b32 v2, v[0:1], off
	s_mov_b32 s1, -1
	s_mov_b32 s67, 0
	s_wait_loadcnt 0x0
	v_lshlrev_b32_e32 v42, 16, v2
	s_branch .LBB44_934
.LBB44_924:
	s_mov_b32 s4, 0
	s_mov_b32 s0, s62
	;; [unrolled: 1-line block ×3, first 2 shown]
	s_branch .LBB44_1178
.LBB44_925:
	s_mov_b32 s2, -1
	s_mov_b32 s1, 0
	s_mov_b32 s67, s63
                                        ; implicit-def: $vgpr42
	s_branch .LBB44_999
.LBB44_926:
	s_mov_b32 s2, -1
	s_mov_b32 s1, 0
	s_mov_b32 s67, s63
                                        ; implicit-def: $vgpr42
	s_branch .LBB44_963
.LBB44_927:
	s_mov_b32 s2, -1
	s_mov_b32 s1, 0
	s_mov_b32 s67, s63
                                        ; implicit-def: $vgpr42
	s_branch .LBB44_944
.LBB44_928:
	s_mov_b32 s2, -1
	s_mov_b32 s1, 0
	s_mov_b32 s67, s63
                                        ; implicit-def: $vgpr42
	s_branch .LBB44_939
.LBB44_929:
	s_mov_b32 s2, -1
	s_mov_b32 s1, 0
	s_mov_b32 s67, s63
	s_branch .LBB44_933
.LBB44_930:
	s_and_not1_saveexec_b32 s5, s5
	s_cbranch_execz .LBB44_705
.LBB44_931:
	v_add_f32_e64 v1, 0x42800000, |v0|
	s_and_not1_b32 s4, s4, exec_lo
	s_delay_alu instid0(VALU_DEP_1) | instskip(NEXT) | instid1(VALU_DEP_1)
	v_and_b32_e32 v1, 0xff, v1
	v_cmp_ne_u32_e32 vcc_lo, 0, v1
	s_and_b32 s6, vcc_lo, exec_lo
	s_delay_alu instid0(SALU_CYCLE_1)
	s_or_b32 s4, s4, s6
	s_or_b32 exec_lo, exec_lo, s5
	v_mov_b32_e32 v4, 0
	s_and_saveexec_b32 s5, s4
	s_cbranch_execnz .LBB44_706
	s_branch .LBB44_707
.LBB44_932:
	s_mov_b32 s67, -1
	s_mov_b32 s1, 0
.LBB44_933:
                                        ; implicit-def: $vgpr42
.LBB44_934:
	s_and_b32 vcc_lo, exec_lo, s2
	s_cbranch_vccz .LBB44_938
; %bb.935:
	s_cmp_eq_u32 s0, 44
	s_cbranch_scc0 .LBB44_937
; %bb.936:
	global_load_u8 v2, v[0:1], off
	s_mov_b32 s67, 0
	s_mov_b32 s1, -1
	s_wait_loadcnt 0x0
	v_lshlrev_b32_e32 v3, 23, v2
	v_cmp_ne_u32_e32 vcc_lo, 0xff, v2
	s_delay_alu instid0(VALU_DEP_2) | instskip(SKIP_1) | instid1(VALU_DEP_2)
	v_cndmask_b32_e32 v3, 0x7f800001, v3, vcc_lo
	v_cmp_ne_u32_e32 vcc_lo, 0, v2
	v_cndmask_b32_e32 v42, 0x400000, v3, vcc_lo
	s_branch .LBB44_938
.LBB44_937:
	s_mov_b32 s67, -1
                                        ; implicit-def: $vgpr42
.LBB44_938:
	s_mov_b32 s2, 0
.LBB44_939:
	s_delay_alu instid0(SALU_CYCLE_1)
	s_and_b32 vcc_lo, exec_lo, s2
	s_cbranch_vccz .LBB44_943
; %bb.940:
	s_cmp_eq_u32 s0, 29
	s_cbranch_scc0 .LBB44_942
; %bb.941:
	global_load_b64 v[2:3], v[0:1], off
	s_mov_b32 s1, -1
	s_mov_b32 s67, 0
	s_mov_b32 s2, 0
	s_wait_loadcnt 0x0
	v_clz_i32_u32_e32 v4, v3
	s_delay_alu instid0(VALU_DEP_1) | instskip(NEXT) | instid1(VALU_DEP_1)
	v_min_u32_e32 v4, 32, v4
	v_lshlrev_b64_e32 v[2:3], v4, v[2:3]
	s_delay_alu instid0(VALU_DEP_1) | instskip(NEXT) | instid1(VALU_DEP_1)
	v_min_u32_e32 v2, 1, v2
	v_dual_sub_nc_u32 v3, 32, v4 :: v_dual_bitop2_b32 v2, v3, v2 bitop3:0x54
	s_delay_alu instid0(VALU_DEP_1) | instskip(NEXT) | instid1(VALU_DEP_1)
	v_cvt_f32_u32_e32 v2, v2
	v_ldexp_f32 v42, v2, v3
	s_branch .LBB44_944
.LBB44_942:
	s_mov_b32 s67, -1
                                        ; implicit-def: $vgpr42
.LBB44_943:
	s_mov_b32 s2, 0
.LBB44_944:
	s_delay_alu instid0(SALU_CYCLE_1)
	s_and_b32 vcc_lo, exec_lo, s2
	s_cbranch_vccz .LBB44_962
; %bb.945:
	s_cmp_lt_i32 s0, 27
	s_cbranch_scc1 .LBB44_948
; %bb.946:
	s_cmp_gt_i32 s0, 27
	s_cbranch_scc0 .LBB44_949
; %bb.947:
	global_load_b32 v2, v[0:1], off
	s_mov_b32 s1, 0
	s_wait_loadcnt 0x0
	v_cvt_f32_u32_e32 v42, v2
	s_branch .LBB44_950
.LBB44_948:
	s_mov_b32 s1, -1
                                        ; implicit-def: $vgpr42
	s_branch .LBB44_953
.LBB44_949:
	s_mov_b32 s1, -1
                                        ; implicit-def: $vgpr42
.LBB44_950:
	s_delay_alu instid0(SALU_CYCLE_1)
	s_and_not1_b32 vcc_lo, exec_lo, s1
	s_cbranch_vccnz .LBB44_952
; %bb.951:
	global_load_u16 v2, v[0:1], off
	s_wait_loadcnt 0x0
	v_cvt_f32_u32_e32 v42, v2
.LBB44_952:
	s_mov_b32 s1, 0
.LBB44_953:
	s_delay_alu instid0(SALU_CYCLE_1)
	s_and_not1_b32 vcc_lo, exec_lo, s1
	s_cbranch_vccnz .LBB44_961
; %bb.954:
	global_load_u8 v2, v[0:1], off
	s_mov_b32 s1, 0
	s_mov_b32 s2, exec_lo
	s_wait_loadcnt 0x0
	v_cmpx_lt_i16_e32 0x7f, v2
	s_xor_b32 s2, exec_lo, s2
	s_cbranch_execz .LBB44_975
; %bb.955:
	s_mov_b32 s1, -1
	s_mov_b32 s3, exec_lo
	v_cmpx_eq_u16_e32 0x80, v2
; %bb.956:
	s_xor_b32 s1, exec_lo, -1
; %bb.957:
	s_or_b32 exec_lo, exec_lo, s3
	s_delay_alu instid0(SALU_CYCLE_1)
	s_and_b32 s1, s1, exec_lo
	s_or_saveexec_b32 s2, s2
	v_mov_b32_e32 v42, 0x7f800001
	s_xor_b32 exec_lo, exec_lo, s2
	s_cbranch_execnz .LBB44_976
.LBB44_958:
	s_or_b32 exec_lo, exec_lo, s2
	s_and_saveexec_b32 s2, s1
	s_cbranch_execz .LBB44_960
.LBB44_959:
	v_and_b32_e32 v3, 0xffff, v2
	s_delay_alu instid0(VALU_DEP_1) | instskip(SKIP_1) | instid1(VALU_DEP_2)
	v_and_b32_e32 v4, 7, v3
	v_bfe_u32 v7, v3, 3, 4
	v_clz_i32_u32_e32 v5, v4
	s_delay_alu instid0(VALU_DEP_2) | instskip(NEXT) | instid1(VALU_DEP_2)
	v_cmp_eq_u32_e32 vcc_lo, 0, v7
	v_min_u32_e32 v5, 32, v5
	s_delay_alu instid0(VALU_DEP_1) | instskip(NEXT) | instid1(VALU_DEP_1)
	v_subrev_nc_u32_e32 v6, 28, v5
	v_dual_lshlrev_b32 v3, v6, v3 :: v_dual_sub_nc_u32 v5, 29, v5
	s_delay_alu instid0(VALU_DEP_1) | instskip(NEXT) | instid1(VALU_DEP_1)
	v_dual_lshlrev_b32 v2, 24, v2 :: v_dual_bitop2_b32 v3, 7, v3 bitop3:0x40
	v_dual_cndmask_b32 v5, v7, v5, vcc_lo :: v_dual_cndmask_b32 v3, v4, v3, vcc_lo
	s_delay_alu instid0(VALU_DEP_2) | instskip(NEXT) | instid1(VALU_DEP_2)
	v_and_b32_e32 v2, 0x80000000, v2
	v_lshl_add_u32 v4, v5, 23, 0x3b800000
	s_delay_alu instid0(VALU_DEP_3) | instskip(NEXT) | instid1(VALU_DEP_1)
	v_lshlrev_b32_e32 v3, 20, v3
	v_or3_b32 v42, v2, v4, v3
.LBB44_960:
	s_or_b32 exec_lo, exec_lo, s2
.LBB44_961:
	s_mov_b32 s1, -1
.LBB44_962:
	s_mov_b32 s2, 0
.LBB44_963:
	s_delay_alu instid0(SALU_CYCLE_1)
	s_and_b32 vcc_lo, exec_lo, s2
	s_cbranch_vccz .LBB44_998
; %bb.964:
	s_cmp_gt_i32 s0, 22
	s_cbranch_scc0 .LBB44_974
; %bb.965:
	s_cmp_lt_i32 s0, 24
	s_cbranch_scc1 .LBB44_977
; %bb.966:
	s_cmp_gt_i32 s0, 24
	s_cbranch_scc0 .LBB44_978
; %bb.967:
	global_load_u8 v2, v[0:1], off
	s_mov_b32 s1, 0
	s_mov_b32 s2, exec_lo
	s_wait_loadcnt 0x0
	v_cmpx_lt_i16_e32 0x7f, v2
	s_xor_b32 s2, exec_lo, s2
	s_cbranch_execz .LBB44_990
; %bb.968:
	s_mov_b32 s1, -1
	s_mov_b32 s3, exec_lo
	v_cmpx_eq_u16_e32 0x80, v2
; %bb.969:
	s_xor_b32 s1, exec_lo, -1
; %bb.970:
	s_or_b32 exec_lo, exec_lo, s3
	s_delay_alu instid0(SALU_CYCLE_1)
	s_and_b32 s1, s1, exec_lo
	s_or_saveexec_b32 s2, s2
	v_mov_b32_e32 v42, 0x7f800001
	s_xor_b32 exec_lo, exec_lo, s2
	s_cbranch_execnz .LBB44_991
.LBB44_971:
	s_or_b32 exec_lo, exec_lo, s2
	s_and_saveexec_b32 s2, s1
	s_cbranch_execz .LBB44_973
.LBB44_972:
	v_and_b32_e32 v3, 0xffff, v2
	s_delay_alu instid0(VALU_DEP_1) | instskip(SKIP_1) | instid1(VALU_DEP_2)
	v_and_b32_e32 v4, 3, v3
	v_bfe_u32 v7, v3, 2, 5
	v_clz_i32_u32_e32 v5, v4
	s_delay_alu instid0(VALU_DEP_2) | instskip(NEXT) | instid1(VALU_DEP_2)
	v_cmp_eq_u32_e32 vcc_lo, 0, v7
	v_min_u32_e32 v5, 32, v5
	s_delay_alu instid0(VALU_DEP_1) | instskip(NEXT) | instid1(VALU_DEP_1)
	v_subrev_nc_u32_e32 v6, 29, v5
	v_dual_lshlrev_b32 v3, v6, v3 :: v_dual_sub_nc_u32 v5, 30, v5
	s_delay_alu instid0(VALU_DEP_1) | instskip(NEXT) | instid1(VALU_DEP_1)
	v_dual_lshlrev_b32 v2, 24, v2 :: v_dual_bitop2_b32 v3, 3, v3 bitop3:0x40
	v_dual_cndmask_b32 v5, v7, v5, vcc_lo :: v_dual_cndmask_b32 v3, v4, v3, vcc_lo
	s_delay_alu instid0(VALU_DEP_2) | instskip(NEXT) | instid1(VALU_DEP_2)
	v_and_b32_e32 v2, 0x80000000, v2
	v_lshl_add_u32 v4, v5, 23, 0x37800000
	s_delay_alu instid0(VALU_DEP_3) | instskip(NEXT) | instid1(VALU_DEP_1)
	v_lshlrev_b32_e32 v3, 21, v3
	v_or3_b32 v42, v2, v4, v3
.LBB44_973:
	s_or_b32 exec_lo, exec_lo, s2
	s_mov_b32 s1, 0
	s_branch .LBB44_979
.LBB44_974:
	s_mov_b32 s2, -1
                                        ; implicit-def: $vgpr42
	s_branch .LBB44_985
.LBB44_975:
	s_or_saveexec_b32 s2, s2
	v_mov_b32_e32 v42, 0x7f800001
	s_xor_b32 exec_lo, exec_lo, s2
	s_cbranch_execz .LBB44_958
.LBB44_976:
	v_cmp_ne_u16_e32 vcc_lo, 0, v2
	v_mov_b32_e32 v42, 0
	s_and_not1_b32 s1, s1, exec_lo
	s_and_b32 s3, vcc_lo, exec_lo
	s_delay_alu instid0(SALU_CYCLE_1)
	s_or_b32 s1, s1, s3
	s_or_b32 exec_lo, exec_lo, s2
	s_and_saveexec_b32 s2, s1
	s_cbranch_execnz .LBB44_959
	s_branch .LBB44_960
.LBB44_977:
	s_mov_b32 s1, -1
                                        ; implicit-def: $vgpr42
	s_branch .LBB44_982
.LBB44_978:
	s_mov_b32 s1, -1
                                        ; implicit-def: $vgpr42
.LBB44_979:
	s_delay_alu instid0(SALU_CYCLE_1)
	s_and_b32 vcc_lo, exec_lo, s1
	s_cbranch_vccz .LBB44_981
; %bb.980:
	global_load_u8 v2, v[0:1], off
	s_wait_loadcnt 0x0
	v_lshlrev_b32_e32 v2, 24, v2
	s_delay_alu instid0(VALU_DEP_1) | instskip(NEXT) | instid1(VALU_DEP_1)
	v_and_b32_e32 v3, 0x7f000000, v2
	v_clz_i32_u32_e32 v4, v3
	v_cmp_ne_u32_e32 vcc_lo, 0, v3
	v_add_nc_u32_e32 v6, 0x1000000, v3
	s_delay_alu instid0(VALU_DEP_3) | instskip(NEXT) | instid1(VALU_DEP_1)
	v_min_u32_e32 v4, 32, v4
	v_sub_nc_u32_e64 v4, v4, 4 clamp
	s_delay_alu instid0(VALU_DEP_1) | instskip(NEXT) | instid1(VALU_DEP_1)
	v_dual_lshlrev_b32 v5, v4, v3 :: v_dual_lshlrev_b32 v4, 23, v4
	v_lshrrev_b32_e32 v5, 4, v5
	s_delay_alu instid0(VALU_DEP_1) | instskip(NEXT) | instid1(VALU_DEP_1)
	v_dual_sub_nc_u32 v4, v5, v4 :: v_dual_ashrrev_i32 v5, 8, v6
	v_add_nc_u32_e32 v4, 0x3c000000, v4
	s_delay_alu instid0(VALU_DEP_1) | instskip(NEXT) | instid1(VALU_DEP_1)
	v_and_or_b32 v4, 0x7f800000, v5, v4
	v_cndmask_b32_e32 v3, 0, v4, vcc_lo
	s_delay_alu instid0(VALU_DEP_1)
	v_and_or_b32 v42, 0x80000000, v2, v3
.LBB44_981:
	s_mov_b32 s1, 0
.LBB44_982:
	s_delay_alu instid0(SALU_CYCLE_1)
	s_and_not1_b32 vcc_lo, exec_lo, s1
	s_cbranch_vccnz .LBB44_984
; %bb.983:
	global_load_u8 v2, v[0:1], off
	s_wait_loadcnt 0x0
	v_lshlrev_b32_e32 v3, 25, v2
	v_lshlrev_b16 v2, 8, v2
	s_delay_alu instid0(VALU_DEP_1) | instskip(SKIP_1) | instid1(VALU_DEP_2)
	v_and_or_b32 v5, 0x7f00, v2, 0.5
	v_bfe_i32 v2, v2, 0, 16
	v_dual_add_f32 v5, -0.5, v5 :: v_dual_lshrrev_b32 v4, 4, v3
	v_cmp_gt_u32_e32 vcc_lo, 0x8000000, v3
	s_delay_alu instid0(VALU_DEP_2) | instskip(NEXT) | instid1(VALU_DEP_1)
	v_or_b32_e32 v4, 0x70000000, v4
	v_mul_f32_e32 v4, 0x7800000, v4
	s_delay_alu instid0(VALU_DEP_1) | instskip(NEXT) | instid1(VALU_DEP_1)
	v_cndmask_b32_e32 v3, v4, v5, vcc_lo
	v_and_or_b32 v42, 0x80000000, v2, v3
.LBB44_984:
	s_mov_b32 s2, 0
	s_mov_b32 s1, -1
.LBB44_985:
	s_and_not1_b32 vcc_lo, exec_lo, s2
	s_cbranch_vccnz .LBB44_998
; %bb.986:
	s_cmp_gt_i32 s0, 14
	s_cbranch_scc0 .LBB44_989
; %bb.987:
	s_cmp_eq_u32 s0, 15
	s_cbranch_scc0 .LBB44_992
; %bb.988:
	global_load_u16 v2, v[0:1], off
	s_mov_b32 s1, -1
	s_mov_b32 s67, 0
	s_wait_loadcnt 0x0
	v_lshlrev_b32_e32 v42, 16, v2
	s_branch .LBB44_993
.LBB44_989:
	s_mov_b32 s2, -1
                                        ; implicit-def: $vgpr42
	s_branch .LBB44_994
.LBB44_990:
	s_or_saveexec_b32 s2, s2
	v_mov_b32_e32 v42, 0x7f800001
	s_xor_b32 exec_lo, exec_lo, s2
	s_cbranch_execz .LBB44_971
.LBB44_991:
	v_cmp_ne_u16_e32 vcc_lo, 0, v2
	v_mov_b32_e32 v42, 0
	s_and_not1_b32 s1, s1, exec_lo
	s_and_b32 s3, vcc_lo, exec_lo
	s_delay_alu instid0(SALU_CYCLE_1)
	s_or_b32 s1, s1, s3
	s_or_b32 exec_lo, exec_lo, s2
	s_and_saveexec_b32 s2, s1
	s_cbranch_execnz .LBB44_972
	s_branch .LBB44_973
.LBB44_992:
	s_mov_b32 s67, -1
                                        ; implicit-def: $vgpr42
.LBB44_993:
	s_mov_b32 s2, 0
.LBB44_994:
	s_delay_alu instid0(SALU_CYCLE_1)
	s_and_b32 vcc_lo, exec_lo, s2
	s_cbranch_vccz .LBB44_998
; %bb.995:
	s_cmp_eq_u32 s0, 11
	s_cbranch_scc0 .LBB44_997
; %bb.996:
	global_load_u8 v2, v[0:1], off
	s_mov_b32 s67, 0
	s_mov_b32 s1, -1
	s_wait_loadcnt 0x0
	v_cmp_ne_u16_e32 vcc_lo, 0, v2
	v_cndmask_b32_e64 v42, 0, 1.0, vcc_lo
	s_branch .LBB44_998
.LBB44_997:
	s_mov_b32 s67, -1
                                        ; implicit-def: $vgpr42
.LBB44_998:
	s_mov_b32 s2, 0
.LBB44_999:
	s_delay_alu instid0(SALU_CYCLE_1)
	s_and_b32 vcc_lo, exec_lo, s2
	s_cbranch_vccz .LBB44_1048
; %bb.1000:
	s_cmp_lt_i32 s0, 5
	s_cbranch_scc1 .LBB44_1005
; %bb.1001:
	s_cmp_lt_i32 s0, 8
	s_cbranch_scc1 .LBB44_1006
	;; [unrolled: 3-line block ×3, first 2 shown]
; %bb.1003:
	s_cmp_gt_i32 s0, 9
	s_cbranch_scc0 .LBB44_1008
; %bb.1004:
	global_load_b64 v[2:3], v[0:1], off
	s_mov_b32 s1, 0
	s_wait_loadcnt 0x0
	v_cvt_f32_f64_e32 v42, v[2:3]
	s_branch .LBB44_1009
.LBB44_1005:
	s_mov_b32 s1, -1
                                        ; implicit-def: $vgpr42
	s_branch .LBB44_1027
.LBB44_1006:
	s_mov_b32 s1, -1
                                        ; implicit-def: $vgpr42
	s_branch .LBB44_1015
.LBB44_1007:
	s_mov_b32 s1, -1
                                        ; implicit-def: $vgpr42
	s_branch .LBB44_1012
.LBB44_1008:
	s_mov_b32 s1, -1
                                        ; implicit-def: $vgpr42
.LBB44_1009:
	s_delay_alu instid0(SALU_CYCLE_1)
	s_and_not1_b32 vcc_lo, exec_lo, s1
	s_cbranch_vccnz .LBB44_1011
; %bb.1010:
	s_wait_loadcnt 0x0
	global_load_b32 v42, v[0:1], off
.LBB44_1011:
	s_mov_b32 s1, 0
.LBB44_1012:
	s_delay_alu instid0(SALU_CYCLE_1)
	s_and_not1_b32 vcc_lo, exec_lo, s1
	s_cbranch_vccnz .LBB44_1014
; %bb.1013:
	global_load_b32 v2, v[0:1], off
	s_wait_loadcnt 0x0
	v_cvt_f32_f16_e32 v42, v2
.LBB44_1014:
	s_mov_b32 s1, 0
.LBB44_1015:
	s_delay_alu instid0(SALU_CYCLE_1)
	s_and_not1_b32 vcc_lo, exec_lo, s1
	s_cbranch_vccnz .LBB44_1026
; %bb.1016:
	s_cmp_lt_i32 s0, 6
	s_cbranch_scc1 .LBB44_1019
; %bb.1017:
	s_cmp_gt_i32 s0, 6
	s_cbranch_scc0 .LBB44_1020
; %bb.1018:
	global_load_b64 v[2:3], v[0:1], off
	s_mov_b32 s1, 0
	s_wait_loadcnt 0x0
	v_cvt_f32_f64_e32 v42, v[2:3]
	s_branch .LBB44_1021
.LBB44_1019:
	s_mov_b32 s1, -1
                                        ; implicit-def: $vgpr42
	s_branch .LBB44_1024
.LBB44_1020:
	s_mov_b32 s1, -1
                                        ; implicit-def: $vgpr42
.LBB44_1021:
	s_delay_alu instid0(SALU_CYCLE_1)
	s_and_not1_b32 vcc_lo, exec_lo, s1
	s_cbranch_vccnz .LBB44_1023
; %bb.1022:
	s_wait_loadcnt 0x0
	global_load_b32 v42, v[0:1], off
.LBB44_1023:
	s_mov_b32 s1, 0
.LBB44_1024:
	s_delay_alu instid0(SALU_CYCLE_1)
	s_and_not1_b32 vcc_lo, exec_lo, s1
	s_cbranch_vccnz .LBB44_1026
; %bb.1025:
	global_load_u16 v2, v[0:1], off
	s_wait_loadcnt 0x0
	v_cvt_f32_f16_e32 v42, v2
.LBB44_1026:
	s_mov_b32 s1, 0
.LBB44_1027:
	s_delay_alu instid0(SALU_CYCLE_1)
	s_and_not1_b32 vcc_lo, exec_lo, s1
	s_cbranch_vccnz .LBB44_1047
; %bb.1028:
	s_cmp_lt_i32 s0, 2
	s_cbranch_scc1 .LBB44_1032
; %bb.1029:
	s_cmp_lt_i32 s0, 3
	s_cbranch_scc1 .LBB44_1033
; %bb.1030:
	s_cmp_gt_i32 s0, 3
	s_cbranch_scc0 .LBB44_1034
; %bb.1031:
	global_load_b64 v[2:3], v[0:1], off
	s_mov_b32 s1, 0
	s_wait_loadcnt 0x0
	v_xor_b32_e32 v4, v2, v3
	v_cls_i32_e32 v5, v3
	s_delay_alu instid0(VALU_DEP_2) | instskip(NEXT) | instid1(VALU_DEP_1)
	v_ashrrev_i32_e32 v4, 31, v4
	v_add_nc_u32_e32 v4, 32, v4
	s_delay_alu instid0(VALU_DEP_1) | instskip(NEXT) | instid1(VALU_DEP_1)
	v_add_min_u32_e64 v4, v5, -1, v4
	v_lshlrev_b64_e32 v[2:3], v4, v[2:3]
	s_delay_alu instid0(VALU_DEP_1) | instskip(NEXT) | instid1(VALU_DEP_1)
	v_min_u32_e32 v2, 1, v2
	v_dual_sub_nc_u32 v3, 32, v4 :: v_dual_bitop2_b32 v2, v3, v2 bitop3:0x54
	s_delay_alu instid0(VALU_DEP_1) | instskip(NEXT) | instid1(VALU_DEP_1)
	v_cvt_f32_i32_e32 v2, v2
	v_ldexp_f32 v42, v2, v3
	s_branch .LBB44_1035
.LBB44_1032:
	s_mov_b32 s1, -1
                                        ; implicit-def: $vgpr42
	s_branch .LBB44_1041
.LBB44_1033:
	s_mov_b32 s1, -1
                                        ; implicit-def: $vgpr42
	s_branch .LBB44_1038
.LBB44_1034:
	s_mov_b32 s1, -1
                                        ; implicit-def: $vgpr42
.LBB44_1035:
	s_delay_alu instid0(SALU_CYCLE_1)
	s_and_not1_b32 vcc_lo, exec_lo, s1
	s_cbranch_vccnz .LBB44_1037
; %bb.1036:
	global_load_b32 v2, v[0:1], off
	s_wait_loadcnt 0x0
	v_cvt_f32_i32_e32 v42, v2
.LBB44_1037:
	s_mov_b32 s1, 0
.LBB44_1038:
	s_delay_alu instid0(SALU_CYCLE_1)
	s_and_not1_b32 vcc_lo, exec_lo, s1
	s_cbranch_vccnz .LBB44_1040
; %bb.1039:
	global_load_i16 v2, v[0:1], off
	s_wait_loadcnt 0x0
	v_cvt_f32_i32_e32 v42, v2
.LBB44_1040:
	s_mov_b32 s1, 0
.LBB44_1041:
	s_delay_alu instid0(SALU_CYCLE_1)
	s_and_not1_b32 vcc_lo, exec_lo, s1
	s_cbranch_vccnz .LBB44_1047
; %bb.1042:
	s_cmp_gt_i32 s0, 0
	s_mov_b32 s0, 0
	s_cbranch_scc0 .LBB44_1044
; %bb.1043:
	global_load_i8 v2, v[0:1], off
	s_wait_loadcnt 0x0
	v_cvt_f32_i32_e32 v42, v2
	s_branch .LBB44_1045
.LBB44_1044:
	s_mov_b32 s0, -1
                                        ; implicit-def: $vgpr42
.LBB44_1045:
	s_delay_alu instid0(SALU_CYCLE_1)
	s_and_not1_b32 vcc_lo, exec_lo, s0
	s_cbranch_vccnz .LBB44_1047
; %bb.1046:
	global_load_u8 v0, v[0:1], off
	s_wait_loadcnt 0x0
	v_cvt_f32_ubyte0_e32 v42, v0
.LBB44_1047:
	s_mov_b32 s1, -1
.LBB44_1048:
	s_delay_alu instid0(SALU_CYCLE_1)
	s_and_not1_b32 vcc_lo, exec_lo, s1
	s_cbranch_vccnz .LBB44_1051
; %bb.1049:
	s_and_not1_b32 vcc_lo, exec_lo, s55
	s_cbranch_vccnz .LBB44_1052
; %bb.1050:
	s_wait_loadcnt 0x0
	s_delay_alu instid0(VALU_DEP_1) | instskip(SKIP_2) | instid1(SALU_CYCLE_1)
	v_dual_mov_b32 v0, v40 :: v_dual_mov_b32 v1, v42
	s_get_pc_i64 s[0:1]
	s_add_nc_u64 s[0:1], s[0:1], _ZN12_GLOBAL__N_111calc_igammaIfEET_S1_S1_@rel64+4
	s_swap_pc_i64 s[30:31], s[0:1]
	s_mov_b32 s0, 0
	s_branch .LBB44_1053
.LBB44_1051:
	s_mov_b32 s4, 0
	s_mov_b32 s0, s62
	s_branch .LBB44_1178
.LBB44_1052:
	s_mov_b32 s0, -1
                                        ; implicit-def: $vgpr0
.LBB44_1053:
	s_delay_alu instid0(SALU_CYCLE_1)
	s_and_not1_b32 vcc_lo, exec_lo, s0
	s_cbranch_vccnz .LBB44_1055
; %bb.1054:
	s_wait_loadcnt 0x0
	s_delay_alu instid0(VALU_DEP_1) | instskip(SKIP_2) | instid1(SALU_CYCLE_1)
	v_dual_mov_b32 v0, v40 :: v_dual_mov_b32 v1, v42
	s_get_pc_i64 s[0:1]
	s_add_nc_u64 s[0:1], s[0:1], _ZN12_GLOBAL__N_112calc_igammacIfEET_S1_S1_@rel64+4
	s_swap_pc_i64 s[30:31], s[0:1]
.LBB44_1055:
	v_mul_lo_u32 v2, v60, s48
	s_and_b32 s1, s46, 0xff
	s_delay_alu instid0(SALU_CYCLE_1) | instskip(NEXT) | instid1(VALU_DEP_1)
	s_cmp_lt_i32 s1, 11
	v_ashrrev_i32_e32 v3, 31, v2
	s_delay_alu instid0(VALU_DEP_1)
	v_add_nc_u64_e32 v[2:3], s[36:37], v[2:3]
	s_cbranch_scc1 .LBB44_1062
; %bb.1056:
	s_and_b32 s2, 0xffff, s1
	s_delay_alu instid0(SALU_CYCLE_1)
	s_cmp_gt_i32 s2, 25
	s_cbranch_scc0 .LBB44_1063
; %bb.1057:
	s_cmp_gt_i32 s2, 28
	s_cbranch_scc0 .LBB44_1064
; %bb.1058:
	;; [unrolled: 3-line block ×4, first 2 shown]
	s_mov_b32 s4, 0
	s_mov_b32 s0, -1
	s_cmp_eq_u32 s2, 46
	s_mov_b32 s3, 0
	s_cbranch_scc0 .LBB44_1067
; %bb.1061:
	s_wait_xcnt 0x0
	v_bfe_u32 v1, v0, 16, 1
	v_cmp_o_f32_e32 vcc_lo, v0, v0
	s_mov_b32 s3, -1
	s_mov_b32 s0, 0
	s_delay_alu instid0(VALU_DEP_2) | instskip(NEXT) | instid1(VALU_DEP_1)
	v_add3_u32 v1, v0, v1, 0x7fff
	v_lshrrev_b32_e32 v1, 16, v1
	s_delay_alu instid0(VALU_DEP_1)
	v_cndmask_b32_e32 v1, 0x7fc0, v1, vcc_lo
	global_store_b32 v[2:3], v1, off
	s_branch .LBB44_1067
.LBB44_1062:
	s_mov_b32 s2, -1
	s_mov_b32 s3, 0
	s_mov_b32 s0, s62
	s_branch .LBB44_1136
.LBB44_1063:
	s_mov_b32 s4, -1
	s_mov_b32 s3, 0
	s_mov_b32 s0, s62
	s_branch .LBB44_1094
.LBB44_1064:
	s_mov_b32 s4, -1
	s_mov_b32 s3, 0
	s_mov_b32 s0, s62
	s_branch .LBB44_1077
.LBB44_1065:
	s_mov_b32 s4, -1
	s_mov_b32 s3, 0
	s_mov_b32 s0, s62
	s_branch .LBB44_1073
.LBB44_1066:
	s_mov_b32 s4, -1
	s_mov_b32 s3, 0
	s_mov_b32 s0, s62
.LBB44_1067:
	s_and_b32 vcc_lo, exec_lo, s4
	s_cbranch_vccz .LBB44_1072
; %bb.1068:
	s_cmp_eq_u32 s2, 44
	s_mov_b32 s0, -1
	s_cbranch_scc0 .LBB44_1072
; %bb.1069:
	v_bfe_u32 v4, v0, 23, 8
	s_wait_xcnt 0x0
	v_mov_b32_e32 v1, 0xff
	s_mov_b32 s3, exec_lo
	s_delay_alu instid0(VALU_DEP_2)
	v_cmpx_ne_u32_e32 0xff, v4
	s_cbranch_execz .LBB44_1071
; %bb.1070:
	v_and_b32_e32 v1, 0x400000, v0
	v_and_or_b32 v4, 0x3fffff, v0, v4
	s_delay_alu instid0(VALU_DEP_2) | instskip(NEXT) | instid1(VALU_DEP_2)
	v_cmp_ne_u32_e32 vcc_lo, 0, v1
	v_cmp_ne_u32_e64 s0, 0, v4
	v_lshrrev_b32_e32 v1, 23, v0
	s_and_b32 s0, vcc_lo, s0
	s_delay_alu instid0(SALU_CYCLE_1) | instskip(NEXT) | instid1(VALU_DEP_1)
	v_cndmask_b32_e64 v4, 0, 1, s0
	v_add_nc_u32_e32 v1, v1, v4
.LBB44_1071:
	s_or_b32 exec_lo, exec_lo, s3
	s_mov_b32 s3, -1
	s_mov_b32 s0, 0
	global_store_b8 v[2:3], v1, off
.LBB44_1072:
	s_mov_b32 s4, 0
.LBB44_1073:
	s_delay_alu instid0(SALU_CYCLE_1)
	s_and_b32 vcc_lo, exec_lo, s4
	s_cbranch_vccz .LBB44_1076
; %bb.1074:
	s_cmp_eq_u32 s2, 29
	s_mov_b32 s0, -1
	s_cbranch_scc0 .LBB44_1076
; %bb.1075:
	s_wait_xcnt 0x0
	v_trunc_f32_e32 v1, v0
	s_mov_b32 s3, -1
	s_mov_b32 s0, 0
	s_mov_b32 s4, 0
	s_delay_alu instid0(VALU_DEP_1) | instskip(NEXT) | instid1(VALU_DEP_1)
	v_mul_f32_e32 v4, 0x2f800000, v1
	v_floor_f32_e32 v4, v4
	s_delay_alu instid0(VALU_DEP_1) | instskip(SKIP_1) | instid1(VALU_DEP_2)
	v_fmamk_f32 v1, v4, 0xcf800000, v1
	v_cvt_u32_f32_e32 v5, v4
	v_cvt_u32_f32_e32 v4, v1
	global_store_b64 v[2:3], v[4:5], off
	s_branch .LBB44_1077
.LBB44_1076:
	s_mov_b32 s4, 0
.LBB44_1077:
	s_delay_alu instid0(SALU_CYCLE_1)
	s_and_b32 vcc_lo, exec_lo, s4
	s_cbranch_vccz .LBB44_1093
; %bb.1078:
	s_cmp_lt_i32 s2, 27
	s_mov_b32 s3, -1
	s_cbranch_scc1 .LBB44_1084
; %bb.1079:
	s_wait_xcnt 0x0
	v_cvt_u32_f32_e32 v1, v0
	s_cmp_gt_i32 s2, 27
	s_cbranch_scc0 .LBB44_1081
; %bb.1080:
	s_mov_b32 s3, 0
	global_store_b32 v[2:3], v1, off
.LBB44_1081:
	s_and_not1_b32 vcc_lo, exec_lo, s3
	s_cbranch_vccnz .LBB44_1083
; %bb.1082:
	global_store_b16 v[2:3], v1, off
.LBB44_1083:
	s_mov_b32 s3, 0
.LBB44_1084:
	s_delay_alu instid0(SALU_CYCLE_1)
	s_and_not1_b32 vcc_lo, exec_lo, s3
	s_cbranch_vccnz .LBB44_1092
; %bb.1085:
	s_wait_xcnt 0x0
	v_and_b32_e32 v1, 0x7fffffff, v0
	v_mov_b32_e32 v4, 0x80
	s_mov_b32 s3, exec_lo
	s_delay_alu instid0(VALU_DEP_2)
	v_cmpx_gt_u32_e32 0x43800000, v1
	s_cbranch_execz .LBB44_1091
; %bb.1086:
	v_cmp_lt_u32_e32 vcc_lo, 0x3bffffff, v1
	s_mov_b32 s4, 0
                                        ; implicit-def: $vgpr1
	s_and_saveexec_b32 s5, vcc_lo
	s_delay_alu instid0(SALU_CYCLE_1)
	s_xor_b32 s5, exec_lo, s5
	s_cbranch_execz .LBB44_1194
; %bb.1087:
	v_bfe_u32 v1, v0, 20, 1
	s_mov_b32 s4, exec_lo
	s_delay_alu instid0(VALU_DEP_1) | instskip(NEXT) | instid1(VALU_DEP_1)
	v_add3_u32 v1, v0, v1, 0x487ffff
	v_lshrrev_b32_e32 v1, 20, v1
	s_and_not1_saveexec_b32 s5, s5
	s_cbranch_execnz .LBB44_1195
.LBB44_1088:
	s_or_b32 exec_lo, exec_lo, s5
	v_mov_b32_e32 v4, 0
	s_and_saveexec_b32 s5, s4
.LBB44_1089:
	v_lshrrev_b32_e32 v4, 24, v0
	s_delay_alu instid0(VALU_DEP_1)
	v_and_or_b32 v4, 0x80, v4, v1
.LBB44_1090:
	s_or_b32 exec_lo, exec_lo, s5
.LBB44_1091:
	s_delay_alu instid0(SALU_CYCLE_1)
	s_or_b32 exec_lo, exec_lo, s3
	global_store_b8 v[2:3], v4, off
.LBB44_1092:
	s_mov_b32 s3, -1
.LBB44_1093:
	s_mov_b32 s4, 0
.LBB44_1094:
	s_delay_alu instid0(SALU_CYCLE_1)
	s_and_b32 vcc_lo, exec_lo, s4
	s_cbranch_vccz .LBB44_1135
; %bb.1095:
	s_cmp_gt_i32 s2, 22
	s_mov_b32 s4, -1
	s_cbranch_scc0 .LBB44_1127
; %bb.1096:
	s_cmp_lt_i32 s2, 24
	s_mov_b32 s3, -1
	s_cbranch_scc1 .LBB44_1116
; %bb.1097:
	s_cmp_gt_i32 s2, 24
	s_cbranch_scc0 .LBB44_1105
; %bb.1098:
	s_wait_xcnt 0x0
	v_and_b32_e32 v1, 0x7fffffff, v0
	v_mov_b32_e32 v4, 0x80
	s_mov_b32 s3, exec_lo
	s_delay_alu instid0(VALU_DEP_2)
	v_cmpx_gt_u32_e32 0x47800000, v1
	s_cbranch_execz .LBB44_1104
; %bb.1099:
	v_cmp_lt_u32_e32 vcc_lo, 0x37ffffff, v1
	s_mov_b32 s4, 0
                                        ; implicit-def: $vgpr1
	s_and_saveexec_b32 s5, vcc_lo
	s_delay_alu instid0(SALU_CYCLE_1)
	s_xor_b32 s5, exec_lo, s5
	s_cbranch_execz .LBB44_2235
; %bb.1100:
	v_bfe_u32 v1, v0, 21, 1
	s_mov_b32 s4, exec_lo
	s_delay_alu instid0(VALU_DEP_1) | instskip(NEXT) | instid1(VALU_DEP_1)
	v_add3_u32 v1, v0, v1, 0x88fffff
	v_lshrrev_b32_e32 v1, 21, v1
	s_and_not1_saveexec_b32 s5, s5
	s_cbranch_execnz .LBB44_2236
.LBB44_1101:
	s_or_b32 exec_lo, exec_lo, s5
	v_mov_b32_e32 v4, 0
	s_and_saveexec_b32 s5, s4
.LBB44_1102:
	v_lshrrev_b32_e32 v4, 24, v0
	s_delay_alu instid0(VALU_DEP_1)
	v_and_or_b32 v4, 0x80, v4, v1
.LBB44_1103:
	s_or_b32 exec_lo, exec_lo, s5
.LBB44_1104:
	s_delay_alu instid0(SALU_CYCLE_1)
	s_or_b32 exec_lo, exec_lo, s3
	s_mov_b32 s3, 0
	global_store_b8 v[2:3], v4, off
.LBB44_1105:
	s_and_b32 vcc_lo, exec_lo, s3
	s_cbranch_vccz .LBB44_1115
; %bb.1106:
	s_wait_xcnt 0x0
	v_and_b32_e32 v4, 0x7fffffff, v0
	s_mov_b32 s3, exec_lo
                                        ; implicit-def: $vgpr1
	s_delay_alu instid0(VALU_DEP_1)
	v_cmpx_gt_u32_e32 0x43f00000, v4
	s_xor_b32 s3, exec_lo, s3
	s_cbranch_execz .LBB44_1112
; %bb.1107:
	s_mov_b32 s4, exec_lo
                                        ; implicit-def: $vgpr1
	v_cmpx_lt_u32_e32 0x3c7fffff, v4
	s_xor_b32 s4, exec_lo, s4
; %bb.1108:
	v_bfe_u32 v1, v0, 20, 1
	s_delay_alu instid0(VALU_DEP_1) | instskip(NEXT) | instid1(VALU_DEP_1)
	v_add3_u32 v1, v0, v1, 0x407ffff
	v_and_b32_e32 v4, 0xff00000, v1
	v_lshrrev_b32_e32 v1, 20, v1
	s_delay_alu instid0(VALU_DEP_2) | instskip(NEXT) | instid1(VALU_DEP_2)
	v_cmp_ne_u32_e32 vcc_lo, 0x7f00000, v4
	v_cndmask_b32_e32 v1, 0x7e, v1, vcc_lo
; %bb.1109:
	s_and_not1_saveexec_b32 s4, s4
; %bb.1110:
	v_add_f32_e64 v1, 0x46800000, |v0|
; %bb.1111:
	s_or_b32 exec_lo, exec_lo, s4
                                        ; implicit-def: $vgpr4
.LBB44_1112:
	s_and_not1_saveexec_b32 s3, s3
; %bb.1113:
	v_mov_b32_e32 v1, 0x7f
	v_cmp_lt_u32_e32 vcc_lo, 0x7f800000, v4
	s_delay_alu instid0(VALU_DEP_2)
	v_cndmask_b32_e32 v1, 0x7e, v1, vcc_lo
; %bb.1114:
	s_or_b32 exec_lo, exec_lo, s3
	v_lshrrev_b32_e32 v4, 24, v0
	s_delay_alu instid0(VALU_DEP_1)
	v_and_or_b32 v1, 0x80, v4, v1
	global_store_b8 v[2:3], v1, off
.LBB44_1115:
	s_mov_b32 s3, 0
.LBB44_1116:
	s_delay_alu instid0(SALU_CYCLE_1)
	s_and_not1_b32 vcc_lo, exec_lo, s3
	s_cbranch_vccnz .LBB44_1126
; %bb.1117:
	s_wait_xcnt 0x0
	v_and_b32_e32 v4, 0x7fffffff, v0
	s_mov_b32 s3, exec_lo
                                        ; implicit-def: $vgpr1
	s_delay_alu instid0(VALU_DEP_1)
	v_cmpx_gt_u32_e32 0x47800000, v4
	s_xor_b32 s3, exec_lo, s3
	s_cbranch_execz .LBB44_1123
; %bb.1118:
	s_mov_b32 s4, exec_lo
                                        ; implicit-def: $vgpr1
	v_cmpx_lt_u32_e32 0x387fffff, v4
	s_xor_b32 s4, exec_lo, s4
; %bb.1119:
	v_bfe_u32 v1, v0, 21, 1
	s_delay_alu instid0(VALU_DEP_1) | instskip(NEXT) | instid1(VALU_DEP_1)
	v_add3_u32 v1, v0, v1, 0x80fffff
	v_lshrrev_b32_e32 v1, 21, v1
; %bb.1120:
	s_and_not1_saveexec_b32 s4, s4
; %bb.1121:
	v_add_f32_e64 v1, 0x43000000, |v0|
; %bb.1122:
	s_or_b32 exec_lo, exec_lo, s4
                                        ; implicit-def: $vgpr4
.LBB44_1123:
	s_and_not1_saveexec_b32 s3, s3
; %bb.1124:
	v_mov_b32_e32 v1, 0x7f
	v_cmp_lt_u32_e32 vcc_lo, 0x7f800000, v4
	s_delay_alu instid0(VALU_DEP_2)
	v_cndmask_b32_e32 v1, 0x7c, v1, vcc_lo
; %bb.1125:
	s_or_b32 exec_lo, exec_lo, s3
	v_lshrrev_b32_e32 v4, 24, v0
	s_delay_alu instid0(VALU_DEP_1)
	v_and_or_b32 v1, 0x80, v4, v1
	global_store_b8 v[2:3], v1, off
.LBB44_1126:
	s_mov_b32 s4, 0
	s_mov_b32 s3, -1
.LBB44_1127:
	s_and_not1_b32 vcc_lo, exec_lo, s4
	s_cbranch_vccnz .LBB44_1135
; %bb.1128:
	s_cmp_gt_i32 s2, 14
	s_mov_b32 s4, -1
	s_cbranch_scc0 .LBB44_1132
; %bb.1129:
	s_cmp_eq_u32 s2, 15
	s_mov_b32 s0, -1
	s_cbranch_scc0 .LBB44_1131
; %bb.1130:
	s_wait_xcnt 0x0
	v_bfe_u32 v1, v0, 16, 1
	v_cmp_o_f32_e32 vcc_lo, v0, v0
	s_mov_b32 s3, -1
	s_mov_b32 s0, 0
	s_delay_alu instid0(VALU_DEP_2) | instskip(NEXT) | instid1(VALU_DEP_1)
	v_add3_u32 v1, v0, v1, 0x7fff
	v_lshrrev_b32_e32 v1, 16, v1
	s_delay_alu instid0(VALU_DEP_1)
	v_cndmask_b32_e32 v1, 0x7fc0, v1, vcc_lo
	global_store_b16 v[2:3], v1, off
.LBB44_1131:
	s_mov_b32 s4, 0
.LBB44_1132:
	s_delay_alu instid0(SALU_CYCLE_1)
	s_and_b32 vcc_lo, exec_lo, s4
	s_cbranch_vccz .LBB44_1135
; %bb.1133:
	s_cmp_eq_u32 s2, 11
	s_mov_b32 s0, -1
	s_cbranch_scc0 .LBB44_1135
; %bb.1134:
	v_cmp_neq_f32_e32 vcc_lo, 0, v0
	s_mov_b32 s0, 0
	s_mov_b32 s3, -1
	s_wait_xcnt 0x0
	v_cndmask_b32_e64 v1, 0, 1, vcc_lo
	global_store_b8 v[2:3], v1, off
.LBB44_1135:
	s_mov_b32 s2, 0
.LBB44_1136:
	s_delay_alu instid0(SALU_CYCLE_1)
	s_and_b32 vcc_lo, exec_lo, s2
	s_cbranch_vccz .LBB44_1175
; %bb.1137:
	s_and_b32 s1, 0xffff, s1
	s_mov_b32 s2, -1
	s_cmp_lt_i32 s1, 5
	s_cbranch_scc1 .LBB44_1158
; %bb.1138:
	s_cmp_lt_i32 s1, 8
	s_cbranch_scc1 .LBB44_1148
; %bb.1139:
	;; [unrolled: 3-line block ×3, first 2 shown]
	s_cmp_gt_i32 s1, 9
	s_cbranch_scc0 .LBB44_1142
; %bb.1141:
	s_wait_xcnt 0x0
	v_cvt_f64_f32_e32 v[4:5], v0
	v_mov_b32_e32 v6, 0
	s_mov_b32 s2, 0
	s_delay_alu instid0(VALU_DEP_1)
	v_mov_b32_e32 v7, v6
	global_store_b128 v[2:3], v[4:7], off
.LBB44_1142:
	s_and_not1_b32 vcc_lo, exec_lo, s2
	s_cbranch_vccnz .LBB44_1144
; %bb.1143:
	s_wait_xcnt 0x0
	v_mov_b32_e32 v1, 0
	global_store_b64 v[2:3], v[0:1], off
.LBB44_1144:
	s_mov_b32 s2, 0
.LBB44_1145:
	s_delay_alu instid0(SALU_CYCLE_1)
	s_and_not1_b32 vcc_lo, exec_lo, s2
	s_cbranch_vccnz .LBB44_1147
; %bb.1146:
	s_wait_xcnt 0x0
	v_cvt_f16_f32_e32 v1, v0
	s_delay_alu instid0(VALU_DEP_1)
	v_and_b32_e32 v1, 0xffff, v1
	global_store_b32 v[2:3], v1, off
.LBB44_1147:
	s_mov_b32 s2, 0
.LBB44_1148:
	s_delay_alu instid0(SALU_CYCLE_1)
	s_and_not1_b32 vcc_lo, exec_lo, s2
	s_cbranch_vccnz .LBB44_1157
; %bb.1149:
	s_cmp_lt_i32 s1, 6
	s_mov_b32 s2, -1
	s_cbranch_scc1 .LBB44_1155
; %bb.1150:
	s_cmp_gt_i32 s1, 6
	s_cbranch_scc0 .LBB44_1152
; %bb.1151:
	s_wait_xcnt 0x0
	v_cvt_f64_f32_e32 v[4:5], v0
	s_mov_b32 s2, 0
	global_store_b64 v[2:3], v[4:5], off
.LBB44_1152:
	s_and_not1_b32 vcc_lo, exec_lo, s2
	s_cbranch_vccnz .LBB44_1154
; %bb.1153:
	global_store_b32 v[2:3], v0, off
.LBB44_1154:
	s_mov_b32 s2, 0
.LBB44_1155:
	s_delay_alu instid0(SALU_CYCLE_1)
	s_and_not1_b32 vcc_lo, exec_lo, s2
	s_cbranch_vccnz .LBB44_1157
; %bb.1156:
	s_wait_xcnt 0x0
	v_cvt_f16_f32_e32 v1, v0
	global_store_b16 v[2:3], v1, off
.LBB44_1157:
	s_mov_b32 s2, 0
.LBB44_1158:
	s_delay_alu instid0(SALU_CYCLE_1)
	s_and_not1_b32 vcc_lo, exec_lo, s2
	s_cbranch_vccnz .LBB44_1174
; %bb.1159:
	s_cmp_lt_i32 s1, 2
	s_mov_b32 s2, -1
	s_cbranch_scc1 .LBB44_1169
; %bb.1160:
	s_cmp_lt_i32 s1, 3
	s_cbranch_scc1 .LBB44_1166
; %bb.1161:
	s_cmp_gt_i32 s1, 3
	s_cbranch_scc0 .LBB44_1163
; %bb.1162:
	s_wait_xcnt 0x0
	v_trunc_f32_e32 v1, v0
	s_mov_b32 s2, 0
	s_delay_alu instid0(VALU_DEP_1) | instskip(NEXT) | instid1(VALU_DEP_1)
	v_mul_f32_e64 v4, 0x2f800000, |v1|
	v_floor_f32_e32 v5, v4
	v_ashrrev_i32_e32 v4, 31, v1
	s_delay_alu instid0(VALU_DEP_2) | instskip(SKIP_1) | instid1(VALU_DEP_3)
	v_fma_f32 v6, 0xcf800000, v5, |v1|
	v_cvt_u32_f32_e32 v1, v5
	v_mov_b32_e32 v5, v4
	s_delay_alu instid0(VALU_DEP_3) | instskip(NEXT) | instid1(VALU_DEP_3)
	v_cvt_u32_f32_e32 v6, v6
	v_xor_b32_e32 v7, v1, v4
	s_delay_alu instid0(VALU_DEP_2) | instskip(NEXT) | instid1(VALU_DEP_1)
	v_xor_b32_e32 v6, v6, v4
	v_sub_nc_u64_e32 v[4:5], v[6:7], v[4:5]
	global_store_b64 v[2:3], v[4:5], off
.LBB44_1163:
	s_and_not1_b32 vcc_lo, exec_lo, s2
	s_cbranch_vccnz .LBB44_1165
; %bb.1164:
	s_wait_xcnt 0x0
	v_cvt_i32_f32_e32 v1, v0
	global_store_b32 v[2:3], v1, off
.LBB44_1165:
	s_mov_b32 s2, 0
.LBB44_1166:
	s_delay_alu instid0(SALU_CYCLE_1)
	s_and_not1_b32 vcc_lo, exec_lo, s2
	s_cbranch_vccnz .LBB44_1168
; %bb.1167:
	s_wait_xcnt 0x0
	v_cvt_i32_f32_e32 v1, v0
	global_store_b16 v[2:3], v1, off
.LBB44_1168:
	s_mov_b32 s2, 0
.LBB44_1169:
	s_delay_alu instid0(SALU_CYCLE_1)
	s_and_not1_b32 vcc_lo, exec_lo, s2
	s_cbranch_vccnz .LBB44_1174
; %bb.1170:
	s_cmp_gt_i32 s1, 0
	s_mov_b32 s1, -1
	s_cbranch_scc0 .LBB44_1172
; %bb.1171:
	s_wait_xcnt 0x0
	v_cvt_i32_f32_e32 v1, v0
	s_mov_b32 s1, 0
	global_store_b8 v[2:3], v1, off
.LBB44_1172:
	s_and_not1_b32 vcc_lo, exec_lo, s1
	s_cbranch_vccnz .LBB44_1174
; %bb.1173:
	s_wait_xcnt 0x0
	v_trunc_f32_e32 v0, v0
	s_delay_alu instid0(VALU_DEP_1) | instskip(NEXT) | instid1(VALU_DEP_1)
	v_mul_f32_e64 v1, 0x2f800000, |v0|
	v_floor_f32_e32 v1, v1
	s_delay_alu instid0(VALU_DEP_1) | instskip(SKIP_1) | instid1(VALU_DEP_2)
	v_fma_f32 v1, 0xcf800000, v1, |v0|
	v_ashrrev_i32_e32 v0, 31, v0
	v_cvt_u32_f32_e32 v1, v1
	s_delay_alu instid0(VALU_DEP_1) | instskip(NEXT) | instid1(VALU_DEP_1)
	v_xor_b32_e32 v1, v1, v0
	v_sub_nc_u32_e32 v0, v1, v0
	global_store_b8 v[2:3], v0, off
.LBB44_1174:
	s_mov_b32 s3, -1
.LBB44_1175:
	s_delay_alu instid0(SALU_CYCLE_1)
	s_and_not1_b32 vcc_lo, exec_lo, s3
	s_cbranch_vccnz .LBB44_1177
; %bb.1176:
	v_add_nc_u32_e32 v60, 0x80, v60
	s_mov_b32 s4, -1
	s_branch .LBB44_1179
.LBB44_1177:
	s_mov_b32 s4, 0
.LBB44_1178:
                                        ; implicit-def: $vgpr60
.LBB44_1179:
	s_and_not1_b32 s1, s62, exec_lo
	s_and_b32 s0, s0, exec_lo
	s_and_not1_b32 s5, s61, exec_lo
	s_or_b32 s2, s1, s0
	s_and_not1_b32 s0, s63, exec_lo
	s_and_b32 s1, s67, exec_lo
	s_and_b32 s6, s66, exec_lo
	s_or_b32 s3, s0, s1
	s_or_b32 s1, s5, s6
	s_or_not1_b32 s8, s4, exec_lo
.LBB44_1180:
	s_wait_xcnt 0x0
	s_or_b32 exec_lo, exec_lo, s65
	s_mov_b32 s5, 0
	s_mov_b32 s6, 0
	;; [unrolled: 1-line block ×3, first 2 shown]
                                        ; implicit-def: $sgpr0
                                        ; implicit-def: $vgpr0_vgpr1
                                        ; implicit-def: $vgpr40
	s_and_saveexec_b32 s4, s8
	s_cbranch_execz .LBB44_1263
; %bb.1181:
	s_mov_b32 s8, 0
	s_mov_b32 s9, s1
	;; [unrolled: 1-line block ×3, first 2 shown]
	s_mov_b32 s5, exec_lo
                                        ; implicit-def: $sgpr0
                                        ; implicit-def: $vgpr0_vgpr1
                                        ; implicit-def: $vgpr40
	v_cmpx_gt_i32_e64 s56, v60
	s_cbranch_execz .LBB44_1262
; %bb.1182:
	v_mul_lo_u32 v0, v60, s49
	s_and_b32 s0, s53, 0xff
	s_delay_alu instid0(SALU_CYCLE_1) | instskip(NEXT) | instid1(VALU_DEP_1)
	s_cmp_lt_i32 s0, 11
	v_ashrrev_i32_e32 v1, 31, v0
	s_delay_alu instid0(VALU_DEP_1)
	v_add_nc_u64_e32 v[0:1], s[38:39], v[0:1]
	s_cbranch_scc1 .LBB44_1189
; %bb.1183:
	s_and_b32 s6, 0xffff, s0
	s_delay_alu instid0(SALU_CYCLE_1)
	s_cmp_gt_i32 s6, 25
	s_cbranch_scc0 .LBB44_1190
; %bb.1184:
	s_cmp_gt_i32 s6, 28
	s_cbranch_scc0 .LBB44_1191
; %bb.1185:
	;; [unrolled: 3-line block ×4, first 2 shown]
	s_cmp_eq_u32 s6, 46
	s_cbranch_scc0 .LBB44_1196
; %bb.1188:
	global_load_b32 v2, v[0:1], off
	s_mov_b32 s9, -1
	s_wait_loadcnt 0x0
	v_lshlrev_b32_e32 v40, 16, v2
	s_branch .LBB44_1198
.LBB44_1189:
	s_mov_b32 s6, -1
	s_mov_b32 s9, 0
	s_mov_b32 s7, s1
                                        ; implicit-def: $vgpr40
	s_branch .LBB44_1261
.LBB44_1190:
	s_mov_b32 s10, -1
	s_mov_b32 s9, 0
	s_mov_b32 s7, s1
                                        ; implicit-def: $vgpr40
	s_branch .LBB44_1227
.LBB44_1191:
	s_mov_b32 s10, -1
	s_mov_b32 s9, 0
	s_mov_b32 s7, s1
                                        ; implicit-def: $vgpr40
	s_branch .LBB44_1208
.LBB44_1192:
	s_mov_b32 s10, -1
	s_mov_b32 s9, 0
	s_mov_b32 s7, s1
                                        ; implicit-def: $vgpr40
	s_branch .LBB44_1203
.LBB44_1193:
	s_mov_b32 s10, -1
	s_mov_b32 s9, 0
	s_mov_b32 s7, s1
	s_branch .LBB44_1197
.LBB44_1194:
	s_and_not1_saveexec_b32 s5, s5
	s_cbranch_execz .LBB44_1088
.LBB44_1195:
	v_add_f32_e64 v1, 0x46000000, |v0|
	s_and_not1_b32 s4, s4, exec_lo
	s_delay_alu instid0(VALU_DEP_1) | instskip(NEXT) | instid1(VALU_DEP_1)
	v_and_b32_e32 v1, 0xff, v1
	v_cmp_ne_u32_e32 vcc_lo, 0, v1
	s_and_b32 s6, vcc_lo, exec_lo
	s_delay_alu instid0(SALU_CYCLE_1)
	s_or_b32 s4, s4, s6
	s_or_b32 exec_lo, exec_lo, s5
	v_mov_b32_e32 v4, 0
	s_and_saveexec_b32 s5, s4
	s_cbranch_execnz .LBB44_1089
	s_branch .LBB44_1090
.LBB44_1196:
	s_mov_b32 s7, -1
	s_mov_b32 s9, 0
.LBB44_1197:
                                        ; implicit-def: $vgpr40
.LBB44_1198:
	s_and_b32 vcc_lo, exec_lo, s10
	s_cbranch_vccz .LBB44_1202
; %bb.1199:
	s_cmp_eq_u32 s6, 44
	s_cbranch_scc0 .LBB44_1201
; %bb.1200:
	global_load_u8 v2, v[0:1], off
	s_mov_b32 s7, 0
	s_mov_b32 s9, -1
	s_wait_loadcnt 0x0
	v_lshlrev_b32_e32 v3, 23, v2
	v_cmp_ne_u32_e32 vcc_lo, 0xff, v2
	s_delay_alu instid0(VALU_DEP_2) | instskip(SKIP_1) | instid1(VALU_DEP_2)
	v_cndmask_b32_e32 v3, 0x7f800001, v3, vcc_lo
	v_cmp_ne_u32_e32 vcc_lo, 0, v2
	v_cndmask_b32_e32 v40, 0x400000, v3, vcc_lo
	s_branch .LBB44_1202
.LBB44_1201:
	s_mov_b32 s7, -1
                                        ; implicit-def: $vgpr40
.LBB44_1202:
	s_mov_b32 s10, 0
.LBB44_1203:
	s_delay_alu instid0(SALU_CYCLE_1)
	s_and_b32 vcc_lo, exec_lo, s10
	s_cbranch_vccz .LBB44_1207
; %bb.1204:
	s_cmp_eq_u32 s6, 29
	s_cbranch_scc0 .LBB44_1206
; %bb.1205:
	global_load_b64 v[2:3], v[0:1], off
	s_mov_b32 s7, 0
	s_mov_b32 s9, -1
	s_mov_b32 s10, 0
	s_wait_loadcnt 0x0
	v_clz_i32_u32_e32 v4, v3
	s_delay_alu instid0(VALU_DEP_1) | instskip(NEXT) | instid1(VALU_DEP_1)
	v_min_u32_e32 v4, 32, v4
	v_lshlrev_b64_e32 v[2:3], v4, v[2:3]
	s_delay_alu instid0(VALU_DEP_1) | instskip(NEXT) | instid1(VALU_DEP_1)
	v_min_u32_e32 v2, 1, v2
	v_dual_sub_nc_u32 v3, 32, v4 :: v_dual_bitop2_b32 v2, v3, v2 bitop3:0x54
	s_delay_alu instid0(VALU_DEP_1) | instskip(NEXT) | instid1(VALU_DEP_1)
	v_cvt_f32_u32_e32 v2, v2
	v_ldexp_f32 v40, v2, v3
	s_branch .LBB44_1208
.LBB44_1206:
	s_mov_b32 s7, -1
                                        ; implicit-def: $vgpr40
.LBB44_1207:
	s_mov_b32 s10, 0
.LBB44_1208:
	s_delay_alu instid0(SALU_CYCLE_1)
	s_and_b32 vcc_lo, exec_lo, s10
	s_cbranch_vccz .LBB44_1226
; %bb.1209:
	s_cmp_lt_i32 s6, 27
	s_cbranch_scc1 .LBB44_1212
; %bb.1210:
	s_cmp_gt_i32 s6, 27
	s_cbranch_scc0 .LBB44_1213
; %bb.1211:
	global_load_b32 v2, v[0:1], off
	s_mov_b32 s9, 0
	s_wait_loadcnt 0x0
	v_cvt_f32_u32_e32 v40, v2
	s_branch .LBB44_1214
.LBB44_1212:
	s_mov_b32 s9, -1
                                        ; implicit-def: $vgpr40
	s_branch .LBB44_1217
.LBB44_1213:
	s_mov_b32 s9, -1
                                        ; implicit-def: $vgpr40
.LBB44_1214:
	s_delay_alu instid0(SALU_CYCLE_1)
	s_and_not1_b32 vcc_lo, exec_lo, s9
	s_cbranch_vccnz .LBB44_1216
; %bb.1215:
	global_load_u16 v2, v[0:1], off
	s_wait_loadcnt 0x0
	v_cvt_f32_u32_e32 v40, v2
.LBB44_1216:
	s_mov_b32 s9, 0
.LBB44_1217:
	s_delay_alu instid0(SALU_CYCLE_1)
	s_and_not1_b32 vcc_lo, exec_lo, s9
	s_cbranch_vccnz .LBB44_1225
; %bb.1218:
	global_load_u8 v2, v[0:1], off
	s_mov_b32 s9, 0
	s_mov_b32 s10, exec_lo
	s_wait_loadcnt 0x0
	v_cmpx_lt_i16_e32 0x7f, v2
	s_xor_b32 s10, exec_lo, s10
	s_cbranch_execz .LBB44_1239
; %bb.1219:
	s_mov_b32 s9, -1
	s_mov_b32 s11, exec_lo
	v_cmpx_eq_u16_e32 0x80, v2
; %bb.1220:
	s_xor_b32 s9, exec_lo, -1
; %bb.1221:
	s_or_b32 exec_lo, exec_lo, s11
	s_delay_alu instid0(SALU_CYCLE_1)
	s_and_b32 s9, s9, exec_lo
	s_or_saveexec_b32 s10, s10
	v_mov_b32_e32 v40, 0x7f800001
	s_xor_b32 exec_lo, exec_lo, s10
	s_cbranch_execnz .LBB44_1240
.LBB44_1222:
	s_or_b32 exec_lo, exec_lo, s10
	s_and_saveexec_b32 s10, s9
	s_cbranch_execz .LBB44_1224
.LBB44_1223:
	v_and_b32_e32 v3, 0xffff, v2
	s_delay_alu instid0(VALU_DEP_1) | instskip(SKIP_1) | instid1(VALU_DEP_2)
	v_and_b32_e32 v4, 7, v3
	v_bfe_u32 v7, v3, 3, 4
	v_clz_i32_u32_e32 v5, v4
	s_delay_alu instid0(VALU_DEP_2) | instskip(NEXT) | instid1(VALU_DEP_2)
	v_cmp_eq_u32_e32 vcc_lo, 0, v7
	v_min_u32_e32 v5, 32, v5
	s_delay_alu instid0(VALU_DEP_1) | instskip(NEXT) | instid1(VALU_DEP_1)
	v_subrev_nc_u32_e32 v6, 28, v5
	v_dual_lshlrev_b32 v3, v6, v3 :: v_dual_sub_nc_u32 v5, 29, v5
	s_delay_alu instid0(VALU_DEP_1) | instskip(NEXT) | instid1(VALU_DEP_1)
	v_dual_lshlrev_b32 v2, 24, v2 :: v_dual_bitop2_b32 v3, 7, v3 bitop3:0x40
	v_dual_cndmask_b32 v5, v7, v5, vcc_lo :: v_dual_cndmask_b32 v3, v4, v3, vcc_lo
	s_delay_alu instid0(VALU_DEP_2) | instskip(NEXT) | instid1(VALU_DEP_2)
	v_and_b32_e32 v2, 0x80000000, v2
	v_lshl_add_u32 v4, v5, 23, 0x3b800000
	s_delay_alu instid0(VALU_DEP_3) | instskip(NEXT) | instid1(VALU_DEP_1)
	v_lshlrev_b32_e32 v3, 20, v3
	v_or3_b32 v40, v2, v4, v3
.LBB44_1224:
	s_or_b32 exec_lo, exec_lo, s10
.LBB44_1225:
	s_mov_b32 s9, -1
.LBB44_1226:
	s_mov_b32 s10, 0
.LBB44_1227:
	s_delay_alu instid0(SALU_CYCLE_1)
	s_and_b32 vcc_lo, exec_lo, s10
	s_cbranch_vccz .LBB44_1260
; %bb.1228:
	s_cmp_gt_i32 s6, 22
	s_cbranch_scc0 .LBB44_1238
; %bb.1229:
	s_cmp_lt_i32 s6, 24
	s_cbranch_scc1 .LBB44_1241
; %bb.1230:
	s_cmp_gt_i32 s6, 24
	s_cbranch_scc0 .LBB44_1242
; %bb.1231:
	global_load_u8 v2, v[0:1], off
	s_mov_b32 s9, exec_lo
	s_wait_loadcnt 0x0
	v_cmpx_lt_i16_e32 0x7f, v2
	s_xor_b32 s9, exec_lo, s9
	s_cbranch_execz .LBB44_1254
; %bb.1232:
	s_mov_b32 s8, -1
	s_mov_b32 s10, exec_lo
	v_cmpx_eq_u16_e32 0x80, v2
; %bb.1233:
	s_xor_b32 s8, exec_lo, -1
; %bb.1234:
	s_or_b32 exec_lo, exec_lo, s10
	s_delay_alu instid0(SALU_CYCLE_1)
	s_and_b32 s8, s8, exec_lo
	s_or_saveexec_b32 s9, s9
	v_mov_b32_e32 v40, 0x7f800001
	s_xor_b32 exec_lo, exec_lo, s9
	s_cbranch_execnz .LBB44_1255
.LBB44_1235:
	s_or_b32 exec_lo, exec_lo, s9
	s_and_saveexec_b32 s9, s8
	s_cbranch_execz .LBB44_1237
.LBB44_1236:
	v_and_b32_e32 v3, 0xffff, v2
	s_delay_alu instid0(VALU_DEP_1) | instskip(SKIP_1) | instid1(VALU_DEP_2)
	v_and_b32_e32 v4, 3, v3
	v_bfe_u32 v7, v3, 2, 5
	v_clz_i32_u32_e32 v5, v4
	s_delay_alu instid0(VALU_DEP_2) | instskip(NEXT) | instid1(VALU_DEP_2)
	v_cmp_eq_u32_e32 vcc_lo, 0, v7
	v_min_u32_e32 v5, 32, v5
	s_delay_alu instid0(VALU_DEP_1) | instskip(NEXT) | instid1(VALU_DEP_1)
	v_subrev_nc_u32_e32 v6, 29, v5
	v_dual_lshlrev_b32 v3, v6, v3 :: v_dual_sub_nc_u32 v5, 30, v5
	s_delay_alu instid0(VALU_DEP_1) | instskip(NEXT) | instid1(VALU_DEP_1)
	v_dual_lshlrev_b32 v2, 24, v2 :: v_dual_bitop2_b32 v3, 3, v3 bitop3:0x40
	v_dual_cndmask_b32 v5, v7, v5, vcc_lo :: v_dual_cndmask_b32 v3, v4, v3, vcc_lo
	s_delay_alu instid0(VALU_DEP_2) | instskip(NEXT) | instid1(VALU_DEP_2)
	v_and_b32_e32 v2, 0x80000000, v2
	v_lshl_add_u32 v4, v5, 23, 0x37800000
	s_delay_alu instid0(VALU_DEP_3) | instskip(NEXT) | instid1(VALU_DEP_1)
	v_lshlrev_b32_e32 v3, 21, v3
	v_or3_b32 v40, v2, v4, v3
.LBB44_1237:
	s_or_b32 exec_lo, exec_lo, s9
	s_mov_b32 s8, 0
	s_branch .LBB44_1243
.LBB44_1238:
	s_mov_b32 s8, -1
                                        ; implicit-def: $vgpr40
	s_branch .LBB44_1249
.LBB44_1239:
	s_or_saveexec_b32 s10, s10
	v_mov_b32_e32 v40, 0x7f800001
	s_xor_b32 exec_lo, exec_lo, s10
	s_cbranch_execz .LBB44_1222
.LBB44_1240:
	v_cmp_ne_u16_e32 vcc_lo, 0, v2
	v_mov_b32_e32 v40, 0
	s_and_not1_b32 s9, s9, exec_lo
	s_and_b32 s11, vcc_lo, exec_lo
	s_delay_alu instid0(SALU_CYCLE_1)
	s_or_b32 s9, s9, s11
	s_or_b32 exec_lo, exec_lo, s10
	s_and_saveexec_b32 s10, s9
	s_cbranch_execnz .LBB44_1223
	s_branch .LBB44_1224
.LBB44_1241:
	s_mov_b32 s8, -1
                                        ; implicit-def: $vgpr40
	s_branch .LBB44_1246
.LBB44_1242:
	s_mov_b32 s8, -1
                                        ; implicit-def: $vgpr40
.LBB44_1243:
	s_delay_alu instid0(SALU_CYCLE_1)
	s_and_b32 vcc_lo, exec_lo, s8
	s_cbranch_vccz .LBB44_1245
; %bb.1244:
	global_load_u8 v2, v[0:1], off
	s_wait_loadcnt 0x0
	v_lshlrev_b32_e32 v2, 24, v2
	s_delay_alu instid0(VALU_DEP_1) | instskip(NEXT) | instid1(VALU_DEP_1)
	v_and_b32_e32 v3, 0x7f000000, v2
	v_clz_i32_u32_e32 v4, v3
	v_cmp_ne_u32_e32 vcc_lo, 0, v3
	v_add_nc_u32_e32 v6, 0x1000000, v3
	s_delay_alu instid0(VALU_DEP_3) | instskip(NEXT) | instid1(VALU_DEP_1)
	v_min_u32_e32 v4, 32, v4
	v_sub_nc_u32_e64 v4, v4, 4 clamp
	s_delay_alu instid0(VALU_DEP_1) | instskip(NEXT) | instid1(VALU_DEP_1)
	v_dual_lshlrev_b32 v5, v4, v3 :: v_dual_lshlrev_b32 v4, 23, v4
	v_lshrrev_b32_e32 v5, 4, v5
	s_delay_alu instid0(VALU_DEP_1) | instskip(NEXT) | instid1(VALU_DEP_1)
	v_dual_sub_nc_u32 v4, v5, v4 :: v_dual_ashrrev_i32 v5, 8, v6
	v_add_nc_u32_e32 v4, 0x3c000000, v4
	s_delay_alu instid0(VALU_DEP_1) | instskip(NEXT) | instid1(VALU_DEP_1)
	v_and_or_b32 v4, 0x7f800000, v5, v4
	v_cndmask_b32_e32 v3, 0, v4, vcc_lo
	s_delay_alu instid0(VALU_DEP_1)
	v_and_or_b32 v40, 0x80000000, v2, v3
.LBB44_1245:
	s_mov_b32 s8, 0
.LBB44_1246:
	s_delay_alu instid0(SALU_CYCLE_1)
	s_and_not1_b32 vcc_lo, exec_lo, s8
	s_cbranch_vccnz .LBB44_1248
; %bb.1247:
	global_load_u8 v2, v[0:1], off
	s_wait_loadcnt 0x0
	v_lshlrev_b32_e32 v3, 25, v2
	v_lshlrev_b16 v2, 8, v2
	s_delay_alu instid0(VALU_DEP_1) | instskip(SKIP_1) | instid1(VALU_DEP_2)
	v_and_or_b32 v5, 0x7f00, v2, 0.5
	v_bfe_i32 v2, v2, 0, 16
	v_dual_add_f32 v5, -0.5, v5 :: v_dual_lshrrev_b32 v4, 4, v3
	v_cmp_gt_u32_e32 vcc_lo, 0x8000000, v3
	s_delay_alu instid0(VALU_DEP_2) | instskip(NEXT) | instid1(VALU_DEP_1)
	v_or_b32_e32 v4, 0x70000000, v4
	v_mul_f32_e32 v4, 0x7800000, v4
	s_delay_alu instid0(VALU_DEP_1) | instskip(NEXT) | instid1(VALU_DEP_1)
	v_cndmask_b32_e32 v3, v4, v5, vcc_lo
	v_and_or_b32 v40, 0x80000000, v2, v3
.LBB44_1248:
	s_mov_b32 s8, 0
	s_mov_b32 s9, -1
.LBB44_1249:
	s_and_not1_b32 vcc_lo, exec_lo, s8
	s_mov_b32 s8, 0
	s_cbranch_vccnz .LBB44_1260
; %bb.1250:
	s_cmp_gt_i32 s6, 14
	s_cbranch_scc0 .LBB44_1253
; %bb.1251:
	s_cmp_eq_u32 s6, 15
	s_cbranch_scc0 .LBB44_1256
; %bb.1252:
	global_load_u16 v2, v[0:1], off
	s_mov_b32 s7, 0
	s_mov_b32 s9, -1
	s_wait_loadcnt 0x0
	v_lshlrev_b32_e32 v40, 16, v2
	s_branch .LBB44_1258
.LBB44_1253:
	s_mov_b32 s8, -1
	s_branch .LBB44_1257
.LBB44_1254:
	s_or_saveexec_b32 s9, s9
	v_mov_b32_e32 v40, 0x7f800001
	s_xor_b32 exec_lo, exec_lo, s9
	s_cbranch_execz .LBB44_1235
.LBB44_1255:
	v_cmp_ne_u16_e32 vcc_lo, 0, v2
	v_mov_b32_e32 v40, 0
	s_and_not1_b32 s8, s8, exec_lo
	s_and_b32 s10, vcc_lo, exec_lo
	s_delay_alu instid0(SALU_CYCLE_1)
	s_or_b32 s8, s8, s10
	s_or_b32 exec_lo, exec_lo, s9
	s_and_saveexec_b32 s9, s8
	s_cbranch_execnz .LBB44_1236
	s_branch .LBB44_1237
.LBB44_1256:
	s_mov_b32 s7, -1
.LBB44_1257:
                                        ; implicit-def: $vgpr40
.LBB44_1258:
	s_and_b32 vcc_lo, exec_lo, s8
	s_mov_b32 s8, 0
	s_cbranch_vccz .LBB44_1260
; %bb.1259:
	s_cmp_lg_u32 s6, 11
	s_mov_b32 s8, -1
	s_cselect_b32 s6, -1, 0
	s_and_not1_b32 s7, s7, exec_lo
	s_and_b32 s6, s6, exec_lo
	s_delay_alu instid0(SALU_CYCLE_1)
	s_or_b32 s7, s7, s6
.LBB44_1260:
	s_mov_b32 s6, 0
.LBB44_1261:
	s_and_b32 s10, s9, exec_lo
	s_and_not1_b32 s9, s1, exec_lo
	s_and_b32 s7, s7, exec_lo
	s_and_b32 s6, s6, exec_lo
	;; [unrolled: 1-line block ×3, first 2 shown]
	s_or_b32 s9, s9, s7
.LBB44_1262:
	s_wait_xcnt 0x0
	s_or_b32 exec_lo, exec_lo, s5
	s_delay_alu instid0(SALU_CYCLE_1)
	s_and_not1_b32 s1, s1, exec_lo
	s_and_b32 s9, s9, exec_lo
	s_and_b32 s7, s10, exec_lo
	;; [unrolled: 1-line block ×4, first 2 shown]
	s_or_b32 s1, s1, s9
.LBB44_1263:
	s_or_b32 exec_lo, exec_lo, s4
	s_delay_alu instid0(SALU_CYCLE_1)
	s_and_not1_b32 s8, s63, exec_lo
	s_and_b32 s3, s3, exec_lo
	s_and_not1_b32 s4, s62, exec_lo
	s_and_b32 s2, s2, exec_lo
	s_or_b32 s63, s8, s3
	s_and_b32 s3, s6, exec_lo
	s_and_not1_b32 s6, s61, exec_lo
	s_and_b32 s1, s1, exec_lo
	s_or_b32 s62, s4, s2
	s_and_b32 s4, s7, exec_lo
	s_and_b32 s2, s5, exec_lo
	s_or_b32 s61, s6, s1
.LBB44_1264:
	s_or_b32 exec_lo, exec_lo, s64
	s_delay_alu instid0(SALU_CYCLE_1)
	s_and_not1_b32 s1, s57, exec_lo
	s_and_b32 s5, s62, exec_lo
	s_and_not1_b32 s6, s58, exec_lo
	s_and_b32 s7, s63, exec_lo
	s_or_b32 s57, s1, s5
	s_and_b32 s1, s4, exec_lo
	s_and_not1_b32 s4, s59, exec_lo
	s_and_b32 s5, s61, exec_lo
	s_or_b32 s58, s6, s7
	s_and_b32 s3, s3, exec_lo
	s_and_b32 s61, s2, exec_lo
	s_or_b32 s59, s4, s5
	s_or_b32 exec_lo, exec_lo, s60
	s_mov_b32 s56, 0
	s_and_saveexec_b32 s2, s59
	s_cbranch_execz .LBB44_396
.LBB44_1265:
	s_mov_b32 s56, exec_lo
	s_and_not1_b32 s61, s61, exec_lo
	s_trap 2
	s_or_b32 exec_lo, exec_lo, s2
	s_and_saveexec_b32 s2, s61
	s_delay_alu instid0(SALU_CYCLE_1)
	s_xor_b32 s2, exec_lo, s2
	s_cbranch_execnz .LBB44_397
.LBB44_1266:
	s_or_b32 exec_lo, exec_lo, s2
	s_and_saveexec_b32 s2, s3
	s_cbranch_execz .LBB44_1312
.LBB44_1267:
	s_sext_i32_i16 s3, s0
	s_delay_alu instid0(SALU_CYCLE_1)
	s_cmp_lt_i32 s3, 5
	s_cbranch_scc1 .LBB44_1272
; %bb.1268:
	s_cmp_lt_i32 s3, 8
	s_cbranch_scc1 .LBB44_1273
; %bb.1269:
	;; [unrolled: 3-line block ×3, first 2 shown]
	s_cmp_gt_i32 s3, 9
	s_cbranch_scc0 .LBB44_1275
; %bb.1271:
	global_load_b64 v[2:3], v[0:1], off
	s_mov_b32 s3, 0
	s_wait_loadcnt 0x0
	v_cvt_f32_f64_e32 v40, v[2:3]
	s_branch .LBB44_1276
.LBB44_1272:
                                        ; implicit-def: $vgpr40
	s_branch .LBB44_1293
.LBB44_1273:
                                        ; implicit-def: $vgpr40
	s_branch .LBB44_1282
.LBB44_1274:
	s_mov_b32 s3, -1
                                        ; implicit-def: $vgpr40
	s_branch .LBB44_1279
.LBB44_1275:
	s_mov_b32 s3, -1
                                        ; implicit-def: $vgpr40
.LBB44_1276:
	s_delay_alu instid0(SALU_CYCLE_1)
	s_and_not1_b32 vcc_lo, exec_lo, s3
	s_cbranch_vccnz .LBB44_1278
; %bb.1277:
	s_wait_loadcnt 0x0
	global_load_b32 v40, v[0:1], off
.LBB44_1278:
	s_mov_b32 s3, 0
.LBB44_1279:
	s_delay_alu instid0(SALU_CYCLE_1)
	s_and_not1_b32 vcc_lo, exec_lo, s3
	s_cbranch_vccnz .LBB44_1281
; %bb.1280:
	global_load_b32 v2, v[0:1], off
	s_wait_loadcnt 0x0
	v_cvt_f32_f16_e32 v40, v2
.LBB44_1281:
	s_cbranch_execnz .LBB44_1292
.LBB44_1282:
	s_sext_i32_i16 s3, s0
	s_delay_alu instid0(SALU_CYCLE_1)
	s_cmp_lt_i32 s3, 6
	s_cbranch_scc1 .LBB44_1285
; %bb.1283:
	s_cmp_gt_i32 s3, 6
	s_cbranch_scc0 .LBB44_1286
; %bb.1284:
	global_load_b64 v[2:3], v[0:1], off
	s_mov_b32 s3, 0
	s_wait_loadcnt 0x0
	v_cvt_f32_f64_e32 v40, v[2:3]
	s_branch .LBB44_1287
.LBB44_1285:
	s_mov_b32 s3, -1
                                        ; implicit-def: $vgpr40
	s_branch .LBB44_1290
.LBB44_1286:
	s_mov_b32 s3, -1
                                        ; implicit-def: $vgpr40
.LBB44_1287:
	s_delay_alu instid0(SALU_CYCLE_1)
	s_and_not1_b32 vcc_lo, exec_lo, s3
	s_cbranch_vccnz .LBB44_1289
; %bb.1288:
	s_wait_loadcnt 0x0
	global_load_b32 v40, v[0:1], off
.LBB44_1289:
	s_mov_b32 s3, 0
.LBB44_1290:
	s_delay_alu instid0(SALU_CYCLE_1)
	s_and_not1_b32 vcc_lo, exec_lo, s3
	s_cbranch_vccnz .LBB44_1292
; %bb.1291:
	global_load_u16 v2, v[0:1], off
	s_wait_loadcnt 0x0
	v_cvt_f32_f16_e32 v40, v2
.LBB44_1292:
	s_cbranch_execnz .LBB44_1311
.LBB44_1293:
	s_sext_i32_i16 s3, s0
	s_delay_alu instid0(SALU_CYCLE_1)
	s_cmp_lt_i32 s3, 2
	s_cbranch_scc1 .LBB44_1297
; %bb.1294:
	s_cmp_lt_i32 s3, 3
	s_cbranch_scc1 .LBB44_1298
; %bb.1295:
	s_cmp_gt_i32 s3, 3
	s_cbranch_scc0 .LBB44_1299
; %bb.1296:
	global_load_b64 v[2:3], v[0:1], off
	s_mov_b32 s3, 0
	s_wait_loadcnt 0x0
	v_xor_b32_e32 v4, v2, v3
	v_cls_i32_e32 v5, v3
	s_delay_alu instid0(VALU_DEP_2) | instskip(NEXT) | instid1(VALU_DEP_1)
	v_ashrrev_i32_e32 v4, 31, v4
	v_add_nc_u32_e32 v4, 32, v4
	s_delay_alu instid0(VALU_DEP_1) | instskip(NEXT) | instid1(VALU_DEP_1)
	v_add_min_u32_e64 v4, v5, -1, v4
	v_lshlrev_b64_e32 v[2:3], v4, v[2:3]
	s_delay_alu instid0(VALU_DEP_1) | instskip(NEXT) | instid1(VALU_DEP_1)
	v_min_u32_e32 v2, 1, v2
	v_dual_sub_nc_u32 v3, 32, v4 :: v_dual_bitop2_b32 v2, v3, v2 bitop3:0x54
	s_delay_alu instid0(VALU_DEP_1) | instskip(NEXT) | instid1(VALU_DEP_1)
	v_cvt_f32_i32_e32 v2, v2
	v_ldexp_f32 v40, v2, v3
	s_branch .LBB44_1300
.LBB44_1297:
                                        ; implicit-def: $vgpr40
	s_branch .LBB44_1306
.LBB44_1298:
	s_mov_b32 s3, -1
                                        ; implicit-def: $vgpr40
	s_branch .LBB44_1303
.LBB44_1299:
	s_mov_b32 s3, -1
                                        ; implicit-def: $vgpr40
.LBB44_1300:
	s_delay_alu instid0(SALU_CYCLE_1)
	s_and_not1_b32 vcc_lo, exec_lo, s3
	s_cbranch_vccnz .LBB44_1302
; %bb.1301:
	global_load_b32 v2, v[0:1], off
	s_wait_loadcnt 0x0
	v_cvt_f32_i32_e32 v40, v2
.LBB44_1302:
	s_mov_b32 s3, 0
.LBB44_1303:
	s_delay_alu instid0(SALU_CYCLE_1)
	s_and_not1_b32 vcc_lo, exec_lo, s3
	s_cbranch_vccnz .LBB44_1305
; %bb.1304:
	global_load_i16 v2, v[0:1], off
	s_wait_loadcnt 0x0
	v_cvt_f32_i32_e32 v40, v2
.LBB44_1305:
	s_cbranch_execnz .LBB44_1311
.LBB44_1306:
	s_sext_i32_i16 s0, s0
	s_delay_alu instid0(SALU_CYCLE_1)
	s_cmp_gt_i32 s0, 0
	s_mov_b32 s0, 0
	s_cbranch_scc0 .LBB44_1308
; %bb.1307:
	global_load_i8 v2, v[0:1], off
	s_wait_loadcnt 0x0
	v_cvt_f32_i32_e32 v40, v2
	s_branch .LBB44_1309
.LBB44_1308:
	s_mov_b32 s0, -1
                                        ; implicit-def: $vgpr40
.LBB44_1309:
	s_delay_alu instid0(SALU_CYCLE_1)
	s_and_not1_b32 vcc_lo, exec_lo, s0
	s_cbranch_vccnz .LBB44_1311
; %bb.1310:
	global_load_u8 v0, v[0:1], off
	s_wait_loadcnt 0x0
	v_cvt_f32_ubyte0_e32 v40, v0
.LBB44_1311:
	s_or_b32 s1, s1, exec_lo
.LBB44_1312:
	s_wait_xcnt 0x0
	s_or_b32 exec_lo, exec_lo, s2
	s_mov_b32 s2, 0
	s_mov_b32 s5, 0
	;; [unrolled: 1-line block ×3, first 2 shown]
                                        ; implicit-def: $vgpr0_vgpr1
                                        ; implicit-def: $vgpr42
	s_and_saveexec_b32 s0, s1
	s_cbranch_execz .LBB44_1320
; %bb.1313:
	v_mul_lo_u32 v0, v60, s50
	s_and_b32 s1, 0xffff, s47
	s_delay_alu instid0(SALU_CYCLE_1) | instskip(NEXT) | instid1(VALU_DEP_1)
	s_cmp_lt_i32 s1, 11
	v_ashrrev_i32_e32 v1, 31, v0
	s_delay_alu instid0(VALU_DEP_1)
	v_add_nc_u64_e32 v[0:1], s[34:35], v[0:1]
	s_cbranch_scc1 .LBB44_1323
; %bb.1314:
	s_cmp_gt_i32 s1, 25
	s_mov_b32 s3, 0
	s_cbranch_scc0 .LBB44_1324
; %bb.1315:
	s_cmp_gt_i32 s1, 28
	s_cbranch_scc0 .LBB44_1325
; %bb.1316:
	s_cmp_gt_i32 s1, 43
	;; [unrolled: 3-line block ×3, first 2 shown]
	s_cbranch_scc0 .LBB44_1327
; %bb.1318:
	s_cmp_eq_u32 s1, 46
	s_cbranch_scc0 .LBB44_1328
; %bb.1319:
	global_load_b32 v2, v[0:1], off
	s_mov_b32 s4, -1
	s_wait_loadcnt 0x0
	v_lshlrev_b32_e32 v42, 16, v2
	s_branch .LBB44_1330
.LBB44_1320:
	s_or_b32 exec_lo, exec_lo, s0
	s_and_saveexec_b32 s0, s58
	s_cbranch_execnz .LBB44_1393
.LBB44_1321:
	s_or_b32 exec_lo, exec_lo, s0
	s_and_saveexec_b32 s0, s2
	s_delay_alu instid0(SALU_CYCLE_1)
	s_xor_b32 s0, exec_lo, s0
	s_cbranch_execz .LBB44_1394
.LBB44_1322:
	global_load_u8 v2, v[0:1], off
	s_or_b32 s4, s4, exec_lo
	s_wait_loadcnt 0x0
	v_cmp_ne_u16_e32 vcc_lo, 0, v2
	v_cndmask_b32_e64 v42, 0, 1.0, vcc_lo
	s_wait_xcnt 0x0
	s_or_b32 exec_lo, exec_lo, s0
	s_and_saveexec_b32 s0, s5
	s_cbranch_execz .LBB44_1440
	s_branch .LBB44_1395
.LBB44_1323:
	s_mov_b32 s1, -1
	s_mov_b32 s3, 0
	s_mov_b32 s2, s58
                                        ; implicit-def: $vgpr42
	s_branch .LBB44_1392
.LBB44_1324:
	s_mov_b32 s2, s58
                                        ; implicit-def: $vgpr42
	s_cbranch_execnz .LBB44_1359
	s_branch .LBB44_1391
.LBB44_1325:
	s_mov_b32 s5, -1
	s_mov_b32 s2, s58
                                        ; implicit-def: $vgpr42
	s_branch .LBB44_1340
.LBB44_1326:
	s_mov_b32 s5, -1
	s_mov_b32 s2, s58
                                        ; implicit-def: $vgpr42
	s_branch .LBB44_1335
.LBB44_1327:
	s_mov_b32 s5, -1
	s_mov_b32 s2, s58
	s_branch .LBB44_1329
.LBB44_1328:
	s_mov_b32 s2, -1
.LBB44_1329:
                                        ; implicit-def: $vgpr42
.LBB44_1330:
	s_and_b32 vcc_lo, exec_lo, s5
	s_cbranch_vccz .LBB44_1334
; %bb.1331:
	s_cmp_eq_u32 s1, 44
	s_cbranch_scc0 .LBB44_1333
; %bb.1332:
	global_load_u8 v2, v[0:1], off
	s_mov_b32 s2, 0
	s_mov_b32 s4, -1
	s_wait_loadcnt 0x0
	v_lshlrev_b32_e32 v3, 23, v2
	v_cmp_ne_u32_e32 vcc_lo, 0xff, v2
	s_delay_alu instid0(VALU_DEP_2) | instskip(SKIP_1) | instid1(VALU_DEP_2)
	v_cndmask_b32_e32 v3, 0x7f800001, v3, vcc_lo
	v_cmp_ne_u32_e32 vcc_lo, 0, v2
	v_cndmask_b32_e32 v42, 0x400000, v3, vcc_lo
	s_branch .LBB44_1334
.LBB44_1333:
	s_mov_b32 s2, -1
                                        ; implicit-def: $vgpr42
.LBB44_1334:
	s_mov_b32 s5, 0
.LBB44_1335:
	s_delay_alu instid0(SALU_CYCLE_1)
	s_and_b32 vcc_lo, exec_lo, s5
	s_cbranch_vccz .LBB44_1339
; %bb.1336:
	s_cmp_eq_u32 s1, 29
	s_cbranch_scc0 .LBB44_1338
; %bb.1337:
	global_load_b64 v[2:3], v[0:1], off
	s_mov_b32 s2, 0
	s_mov_b32 s4, -1
	s_mov_b32 s5, 0
	s_wait_loadcnt 0x0
	v_clz_i32_u32_e32 v4, v3
	s_delay_alu instid0(VALU_DEP_1) | instskip(NEXT) | instid1(VALU_DEP_1)
	v_min_u32_e32 v4, 32, v4
	v_lshlrev_b64_e32 v[2:3], v4, v[2:3]
	s_delay_alu instid0(VALU_DEP_1) | instskip(NEXT) | instid1(VALU_DEP_1)
	v_min_u32_e32 v2, 1, v2
	v_dual_sub_nc_u32 v3, 32, v4 :: v_dual_bitop2_b32 v2, v3, v2 bitop3:0x54
	s_delay_alu instid0(VALU_DEP_1) | instskip(NEXT) | instid1(VALU_DEP_1)
	v_cvt_f32_u32_e32 v2, v2
	v_ldexp_f32 v42, v2, v3
	s_branch .LBB44_1340
.LBB44_1338:
	s_mov_b32 s2, -1
                                        ; implicit-def: $vgpr42
.LBB44_1339:
	s_mov_b32 s5, 0
.LBB44_1340:
	s_delay_alu instid0(SALU_CYCLE_1)
	s_and_b32 vcc_lo, exec_lo, s5
	s_cbranch_vccz .LBB44_1358
; %bb.1341:
	s_cmp_lt_i32 s1, 27
	s_cbranch_scc1 .LBB44_1344
; %bb.1342:
	s_cmp_gt_i32 s1, 27
	s_cbranch_scc0 .LBB44_1345
; %bb.1343:
	global_load_b32 v2, v[0:1], off
	s_mov_b32 s4, 0
	s_wait_loadcnt 0x0
	v_cvt_f32_u32_e32 v42, v2
	s_branch .LBB44_1346
.LBB44_1344:
	s_mov_b32 s4, -1
                                        ; implicit-def: $vgpr42
	s_branch .LBB44_1349
.LBB44_1345:
	s_mov_b32 s4, -1
                                        ; implicit-def: $vgpr42
.LBB44_1346:
	s_delay_alu instid0(SALU_CYCLE_1)
	s_and_not1_b32 vcc_lo, exec_lo, s4
	s_cbranch_vccnz .LBB44_1348
; %bb.1347:
	global_load_u16 v2, v[0:1], off
	s_wait_loadcnt 0x0
	v_cvt_f32_u32_e32 v42, v2
.LBB44_1348:
	s_mov_b32 s4, 0
.LBB44_1349:
	s_delay_alu instid0(SALU_CYCLE_1)
	s_and_not1_b32 vcc_lo, exec_lo, s4
	s_cbranch_vccnz .LBB44_1357
; %bb.1350:
	global_load_u8 v2, v[0:1], off
	s_mov_b32 s4, 0
	s_mov_b32 s5, exec_lo
	s_wait_loadcnt 0x0
	v_cmpx_lt_i16_e32 0x7f, v2
	s_xor_b32 s5, exec_lo, s5
	s_cbranch_execz .LBB44_1370
; %bb.1351:
	s_mov_b32 s4, -1
	s_mov_b32 s6, exec_lo
	v_cmpx_eq_u16_e32 0x80, v2
; %bb.1352:
	s_xor_b32 s4, exec_lo, -1
; %bb.1353:
	s_or_b32 exec_lo, exec_lo, s6
	s_delay_alu instid0(SALU_CYCLE_1)
	s_and_b32 s4, s4, exec_lo
	s_or_saveexec_b32 s5, s5
	v_mov_b32_e32 v42, 0x7f800001
	s_xor_b32 exec_lo, exec_lo, s5
	s_cbranch_execnz .LBB44_1371
.LBB44_1354:
	s_or_b32 exec_lo, exec_lo, s5
	s_and_saveexec_b32 s5, s4
	s_cbranch_execz .LBB44_1356
.LBB44_1355:
	v_and_b32_e32 v3, 0xffff, v2
	s_delay_alu instid0(VALU_DEP_1) | instskip(SKIP_1) | instid1(VALU_DEP_2)
	v_and_b32_e32 v4, 7, v3
	v_bfe_u32 v7, v3, 3, 4
	v_clz_i32_u32_e32 v5, v4
	s_delay_alu instid0(VALU_DEP_2) | instskip(NEXT) | instid1(VALU_DEP_2)
	v_cmp_eq_u32_e32 vcc_lo, 0, v7
	v_min_u32_e32 v5, 32, v5
	s_delay_alu instid0(VALU_DEP_1) | instskip(NEXT) | instid1(VALU_DEP_1)
	v_subrev_nc_u32_e32 v6, 28, v5
	v_dual_lshlrev_b32 v3, v6, v3 :: v_dual_sub_nc_u32 v5, 29, v5
	s_delay_alu instid0(VALU_DEP_1) | instskip(NEXT) | instid1(VALU_DEP_1)
	v_dual_lshlrev_b32 v2, 24, v2 :: v_dual_bitop2_b32 v3, 7, v3 bitop3:0x40
	v_dual_cndmask_b32 v5, v7, v5, vcc_lo :: v_dual_cndmask_b32 v3, v4, v3, vcc_lo
	s_delay_alu instid0(VALU_DEP_2) | instskip(NEXT) | instid1(VALU_DEP_2)
	v_and_b32_e32 v2, 0x80000000, v2
	v_lshl_add_u32 v4, v5, 23, 0x3b800000
	s_delay_alu instid0(VALU_DEP_3) | instskip(NEXT) | instid1(VALU_DEP_1)
	v_lshlrev_b32_e32 v3, 20, v3
	v_or3_b32 v42, v2, v4, v3
.LBB44_1356:
	s_or_b32 exec_lo, exec_lo, s5
.LBB44_1357:
	s_mov_b32 s4, -1
.LBB44_1358:
	s_branch .LBB44_1391
.LBB44_1359:
	s_cmp_gt_i32 s1, 22
	s_cbranch_scc0 .LBB44_1369
; %bb.1360:
	s_cmp_lt_i32 s1, 24
	s_cbranch_scc1 .LBB44_1372
; %bb.1361:
	s_cmp_gt_i32 s1, 24
	s_cbranch_scc0 .LBB44_1373
; %bb.1362:
	global_load_u8 v2, v[0:1], off
	s_mov_b32 s4, exec_lo
	s_wait_loadcnt 0x0
	v_cmpx_lt_i16_e32 0x7f, v2
	s_xor_b32 s4, exec_lo, s4
	s_cbranch_execz .LBB44_1385
; %bb.1363:
	s_mov_b32 s3, -1
	s_mov_b32 s5, exec_lo
	v_cmpx_eq_u16_e32 0x80, v2
; %bb.1364:
	s_xor_b32 s3, exec_lo, -1
; %bb.1365:
	s_or_b32 exec_lo, exec_lo, s5
	s_delay_alu instid0(SALU_CYCLE_1)
	s_and_b32 s3, s3, exec_lo
	s_or_saveexec_b32 s4, s4
	v_mov_b32_e32 v42, 0x7f800001
	s_xor_b32 exec_lo, exec_lo, s4
	s_cbranch_execnz .LBB44_1386
.LBB44_1366:
	s_or_b32 exec_lo, exec_lo, s4
	s_and_saveexec_b32 s4, s3
	s_cbranch_execz .LBB44_1368
.LBB44_1367:
	v_and_b32_e32 v3, 0xffff, v2
	s_delay_alu instid0(VALU_DEP_1) | instskip(SKIP_1) | instid1(VALU_DEP_2)
	v_and_b32_e32 v4, 3, v3
	v_bfe_u32 v7, v3, 2, 5
	v_clz_i32_u32_e32 v5, v4
	s_delay_alu instid0(VALU_DEP_2) | instskip(NEXT) | instid1(VALU_DEP_2)
	v_cmp_eq_u32_e32 vcc_lo, 0, v7
	v_min_u32_e32 v5, 32, v5
	s_delay_alu instid0(VALU_DEP_1) | instskip(NEXT) | instid1(VALU_DEP_1)
	v_subrev_nc_u32_e32 v6, 29, v5
	v_dual_lshlrev_b32 v3, v6, v3 :: v_dual_sub_nc_u32 v5, 30, v5
	s_delay_alu instid0(VALU_DEP_1) | instskip(NEXT) | instid1(VALU_DEP_1)
	v_dual_lshlrev_b32 v2, 24, v2 :: v_dual_bitop2_b32 v3, 3, v3 bitop3:0x40
	v_dual_cndmask_b32 v5, v7, v5, vcc_lo :: v_dual_cndmask_b32 v3, v4, v3, vcc_lo
	s_delay_alu instid0(VALU_DEP_2) | instskip(NEXT) | instid1(VALU_DEP_2)
	v_and_b32_e32 v2, 0x80000000, v2
	v_lshl_add_u32 v4, v5, 23, 0x37800000
	s_delay_alu instid0(VALU_DEP_3) | instskip(NEXT) | instid1(VALU_DEP_1)
	v_lshlrev_b32_e32 v3, 21, v3
	v_or3_b32 v42, v2, v4, v3
.LBB44_1368:
	s_or_b32 exec_lo, exec_lo, s4
	s_mov_b32 s3, 0
	s_branch .LBB44_1374
.LBB44_1369:
	s_mov_b32 s3, -1
                                        ; implicit-def: $vgpr42
	s_branch .LBB44_1380
.LBB44_1370:
	s_or_saveexec_b32 s5, s5
	v_mov_b32_e32 v42, 0x7f800001
	s_xor_b32 exec_lo, exec_lo, s5
	s_cbranch_execz .LBB44_1354
.LBB44_1371:
	v_cmp_ne_u16_e32 vcc_lo, 0, v2
	v_mov_b32_e32 v42, 0
	s_and_not1_b32 s4, s4, exec_lo
	s_and_b32 s6, vcc_lo, exec_lo
	s_delay_alu instid0(SALU_CYCLE_1)
	s_or_b32 s4, s4, s6
	s_or_b32 exec_lo, exec_lo, s5
	s_and_saveexec_b32 s5, s4
	s_cbranch_execnz .LBB44_1355
	s_branch .LBB44_1356
.LBB44_1372:
	s_mov_b32 s3, -1
                                        ; implicit-def: $vgpr42
	s_branch .LBB44_1377
.LBB44_1373:
	s_mov_b32 s3, -1
                                        ; implicit-def: $vgpr42
.LBB44_1374:
	s_delay_alu instid0(SALU_CYCLE_1)
	s_and_b32 vcc_lo, exec_lo, s3
	s_cbranch_vccz .LBB44_1376
; %bb.1375:
	global_load_u8 v2, v[0:1], off
	s_wait_loadcnt 0x0
	v_lshlrev_b32_e32 v2, 24, v2
	s_delay_alu instid0(VALU_DEP_1) | instskip(NEXT) | instid1(VALU_DEP_1)
	v_and_b32_e32 v3, 0x7f000000, v2
	v_clz_i32_u32_e32 v4, v3
	v_cmp_ne_u32_e32 vcc_lo, 0, v3
	v_add_nc_u32_e32 v6, 0x1000000, v3
	s_delay_alu instid0(VALU_DEP_3) | instskip(NEXT) | instid1(VALU_DEP_1)
	v_min_u32_e32 v4, 32, v4
	v_sub_nc_u32_e64 v4, v4, 4 clamp
	s_delay_alu instid0(VALU_DEP_1) | instskip(NEXT) | instid1(VALU_DEP_1)
	v_dual_lshlrev_b32 v5, v4, v3 :: v_dual_lshlrev_b32 v4, 23, v4
	v_lshrrev_b32_e32 v5, 4, v5
	s_delay_alu instid0(VALU_DEP_1) | instskip(NEXT) | instid1(VALU_DEP_1)
	v_dual_sub_nc_u32 v4, v5, v4 :: v_dual_ashrrev_i32 v5, 8, v6
	v_add_nc_u32_e32 v4, 0x3c000000, v4
	s_delay_alu instid0(VALU_DEP_1) | instskip(NEXT) | instid1(VALU_DEP_1)
	v_and_or_b32 v4, 0x7f800000, v5, v4
	v_cndmask_b32_e32 v3, 0, v4, vcc_lo
	s_delay_alu instid0(VALU_DEP_1)
	v_and_or_b32 v42, 0x80000000, v2, v3
.LBB44_1376:
	s_mov_b32 s3, 0
.LBB44_1377:
	s_delay_alu instid0(SALU_CYCLE_1)
	s_and_not1_b32 vcc_lo, exec_lo, s3
	s_cbranch_vccnz .LBB44_1379
; %bb.1378:
	global_load_u8 v2, v[0:1], off
	s_wait_loadcnt 0x0
	v_lshlrev_b32_e32 v3, 25, v2
	v_lshlrev_b16 v2, 8, v2
	s_delay_alu instid0(VALU_DEP_1) | instskip(SKIP_1) | instid1(VALU_DEP_2)
	v_and_or_b32 v5, 0x7f00, v2, 0.5
	v_bfe_i32 v2, v2, 0, 16
	v_dual_add_f32 v5, -0.5, v5 :: v_dual_lshrrev_b32 v4, 4, v3
	v_cmp_gt_u32_e32 vcc_lo, 0x8000000, v3
	s_delay_alu instid0(VALU_DEP_2) | instskip(NEXT) | instid1(VALU_DEP_1)
	v_or_b32_e32 v4, 0x70000000, v4
	v_mul_f32_e32 v4, 0x7800000, v4
	s_delay_alu instid0(VALU_DEP_1) | instskip(NEXT) | instid1(VALU_DEP_1)
	v_cndmask_b32_e32 v3, v4, v5, vcc_lo
	v_and_or_b32 v42, 0x80000000, v2, v3
.LBB44_1379:
	s_mov_b32 s3, 0
	s_mov_b32 s4, -1
.LBB44_1380:
	s_and_not1_b32 vcc_lo, exec_lo, s3
	s_mov_b32 s3, 0
	s_cbranch_vccnz .LBB44_1391
; %bb.1381:
	s_cmp_gt_i32 s1, 14
	s_cbranch_scc0 .LBB44_1384
; %bb.1382:
	s_cmp_eq_u32 s1, 15
	s_cbranch_scc0 .LBB44_1387
; %bb.1383:
	global_load_u16 v2, v[0:1], off
	s_mov_b32 s2, 0
	s_mov_b32 s4, -1
	s_wait_loadcnt 0x0
	v_lshlrev_b32_e32 v42, 16, v2
	s_branch .LBB44_1389
.LBB44_1384:
	s_mov_b32 s3, -1
	s_branch .LBB44_1388
.LBB44_1385:
	s_or_saveexec_b32 s4, s4
	v_mov_b32_e32 v42, 0x7f800001
	s_xor_b32 exec_lo, exec_lo, s4
	s_cbranch_execz .LBB44_1366
.LBB44_1386:
	v_cmp_ne_u16_e32 vcc_lo, 0, v2
	v_mov_b32_e32 v42, 0
	s_and_not1_b32 s3, s3, exec_lo
	s_and_b32 s5, vcc_lo, exec_lo
	s_delay_alu instid0(SALU_CYCLE_1)
	s_or_b32 s3, s3, s5
	s_or_b32 exec_lo, exec_lo, s4
	s_and_saveexec_b32 s4, s3
	s_cbranch_execnz .LBB44_1367
	s_branch .LBB44_1368
.LBB44_1387:
	s_mov_b32 s2, -1
.LBB44_1388:
                                        ; implicit-def: $vgpr42
.LBB44_1389:
	s_and_b32 vcc_lo, exec_lo, s3
	s_mov_b32 s3, 0
	s_cbranch_vccz .LBB44_1391
; %bb.1390:
	s_cmp_lg_u32 s1, 11
	s_mov_b32 s3, -1
	s_cselect_b32 s1, -1, 0
	s_and_not1_b32 s2, s2, exec_lo
	s_and_b32 s1, s1, exec_lo
	s_delay_alu instid0(SALU_CYCLE_1)
	s_or_b32 s2, s2, s1
.LBB44_1391:
	s_mov_b32 s1, 0
.LBB44_1392:
	s_delay_alu instid0(SALU_CYCLE_1)
	s_and_b32 s5, s1, exec_lo
	s_and_not1_b32 s1, s58, exec_lo
	s_and_b32 s6, s2, exec_lo
	s_and_b32 s4, s4, exec_lo
	;; [unrolled: 1-line block ×3, first 2 shown]
	s_or_b32 s58, s1, s6
	s_wait_xcnt 0x0
	s_or_b32 exec_lo, exec_lo, s0
	s_and_saveexec_b32 s0, s58
	s_cbranch_execz .LBB44_1321
.LBB44_1393:
	s_or_b32 s56, s56, exec_lo
	s_and_not1_b32 s2, s2, exec_lo
	s_trap 2
	s_or_b32 exec_lo, exec_lo, s0
	s_and_saveexec_b32 s0, s2
	s_delay_alu instid0(SALU_CYCLE_1)
	s_xor_b32 s0, exec_lo, s0
	s_cbranch_execnz .LBB44_1322
.LBB44_1394:
	s_or_b32 exec_lo, exec_lo, s0
	s_and_saveexec_b32 s0, s5
	s_cbranch_execz .LBB44_1440
.LBB44_1395:
	s_sext_i32_i16 s1, s47
	s_delay_alu instid0(SALU_CYCLE_1)
	s_cmp_lt_i32 s1, 5
	s_cbranch_scc1 .LBB44_1400
; %bb.1396:
	s_cmp_lt_i32 s1, 8
	s_cbranch_scc1 .LBB44_1401
; %bb.1397:
	;; [unrolled: 3-line block ×3, first 2 shown]
	s_cmp_gt_i32 s1, 9
	s_cbranch_scc0 .LBB44_1403
; %bb.1399:
	global_load_b64 v[2:3], v[0:1], off
	s_mov_b32 s1, 0
	s_wait_loadcnt 0x0
	v_cvt_f32_f64_e32 v42, v[2:3]
	s_branch .LBB44_1404
.LBB44_1400:
                                        ; implicit-def: $vgpr42
	s_branch .LBB44_1421
.LBB44_1401:
                                        ; implicit-def: $vgpr42
	s_branch .LBB44_1410
.LBB44_1402:
	s_mov_b32 s1, -1
                                        ; implicit-def: $vgpr42
	s_branch .LBB44_1407
.LBB44_1403:
	s_mov_b32 s1, -1
                                        ; implicit-def: $vgpr42
.LBB44_1404:
	s_delay_alu instid0(SALU_CYCLE_1)
	s_and_not1_b32 vcc_lo, exec_lo, s1
	s_cbranch_vccnz .LBB44_1406
; %bb.1405:
	s_wait_loadcnt 0x0
	global_load_b32 v42, v[0:1], off
.LBB44_1406:
	s_mov_b32 s1, 0
.LBB44_1407:
	s_delay_alu instid0(SALU_CYCLE_1)
	s_and_not1_b32 vcc_lo, exec_lo, s1
	s_cbranch_vccnz .LBB44_1409
; %bb.1408:
	global_load_b32 v2, v[0:1], off
	s_wait_loadcnt 0x0
	v_cvt_f32_f16_e32 v42, v2
.LBB44_1409:
	s_cbranch_execnz .LBB44_1420
.LBB44_1410:
	s_sext_i32_i16 s1, s47
	s_delay_alu instid0(SALU_CYCLE_1)
	s_cmp_lt_i32 s1, 6
	s_cbranch_scc1 .LBB44_1413
; %bb.1411:
	s_cmp_gt_i32 s1, 6
	s_cbranch_scc0 .LBB44_1414
; %bb.1412:
	global_load_b64 v[2:3], v[0:1], off
	s_mov_b32 s1, 0
	s_wait_loadcnt 0x0
	v_cvt_f32_f64_e32 v42, v[2:3]
	s_branch .LBB44_1415
.LBB44_1413:
	s_mov_b32 s1, -1
                                        ; implicit-def: $vgpr42
	s_branch .LBB44_1418
.LBB44_1414:
	s_mov_b32 s1, -1
                                        ; implicit-def: $vgpr42
.LBB44_1415:
	s_delay_alu instid0(SALU_CYCLE_1)
	s_and_not1_b32 vcc_lo, exec_lo, s1
	s_cbranch_vccnz .LBB44_1417
; %bb.1416:
	s_wait_loadcnt 0x0
	global_load_b32 v42, v[0:1], off
.LBB44_1417:
	s_mov_b32 s1, 0
.LBB44_1418:
	s_delay_alu instid0(SALU_CYCLE_1)
	s_and_not1_b32 vcc_lo, exec_lo, s1
	s_cbranch_vccnz .LBB44_1420
; %bb.1419:
	global_load_u16 v2, v[0:1], off
	s_wait_loadcnt 0x0
	v_cvt_f32_f16_e32 v42, v2
.LBB44_1420:
	s_cbranch_execnz .LBB44_1439
.LBB44_1421:
	s_sext_i32_i16 s1, s47
	s_delay_alu instid0(SALU_CYCLE_1)
	s_cmp_lt_i32 s1, 2
	s_cbranch_scc1 .LBB44_1425
; %bb.1422:
	s_cmp_lt_i32 s1, 3
	s_cbranch_scc1 .LBB44_1426
; %bb.1423:
	s_cmp_gt_i32 s1, 3
	s_cbranch_scc0 .LBB44_1427
; %bb.1424:
	global_load_b64 v[2:3], v[0:1], off
	s_mov_b32 s1, 0
	s_wait_loadcnt 0x0
	v_xor_b32_e32 v4, v2, v3
	v_cls_i32_e32 v5, v3
	s_delay_alu instid0(VALU_DEP_2) | instskip(NEXT) | instid1(VALU_DEP_1)
	v_ashrrev_i32_e32 v4, 31, v4
	v_add_nc_u32_e32 v4, 32, v4
	s_delay_alu instid0(VALU_DEP_1) | instskip(NEXT) | instid1(VALU_DEP_1)
	v_add_min_u32_e64 v4, v5, -1, v4
	v_lshlrev_b64_e32 v[2:3], v4, v[2:3]
	s_delay_alu instid0(VALU_DEP_1) | instskip(NEXT) | instid1(VALU_DEP_1)
	v_min_u32_e32 v2, 1, v2
	v_dual_sub_nc_u32 v3, 32, v4 :: v_dual_bitop2_b32 v2, v3, v2 bitop3:0x54
	s_delay_alu instid0(VALU_DEP_1) | instskip(NEXT) | instid1(VALU_DEP_1)
	v_cvt_f32_i32_e32 v2, v2
	v_ldexp_f32 v42, v2, v3
	s_branch .LBB44_1428
.LBB44_1425:
                                        ; implicit-def: $vgpr42
	s_branch .LBB44_1434
.LBB44_1426:
	s_mov_b32 s1, -1
                                        ; implicit-def: $vgpr42
	s_branch .LBB44_1431
.LBB44_1427:
	s_mov_b32 s1, -1
                                        ; implicit-def: $vgpr42
.LBB44_1428:
	s_delay_alu instid0(SALU_CYCLE_1)
	s_and_not1_b32 vcc_lo, exec_lo, s1
	s_cbranch_vccnz .LBB44_1430
; %bb.1429:
	global_load_b32 v2, v[0:1], off
	s_wait_loadcnt 0x0
	v_cvt_f32_i32_e32 v42, v2
.LBB44_1430:
	s_mov_b32 s1, 0
.LBB44_1431:
	s_delay_alu instid0(SALU_CYCLE_1)
	s_and_not1_b32 vcc_lo, exec_lo, s1
	s_cbranch_vccnz .LBB44_1433
; %bb.1432:
	global_load_i16 v2, v[0:1], off
	s_wait_loadcnt 0x0
	v_cvt_f32_i32_e32 v42, v2
.LBB44_1433:
	s_cbranch_execnz .LBB44_1439
.LBB44_1434:
	s_sext_i32_i16 s1, s47
	s_delay_alu instid0(SALU_CYCLE_1)
	s_cmp_gt_i32 s1, 0
	s_mov_b32 s1, 0
	s_cbranch_scc0 .LBB44_1436
; %bb.1435:
	global_load_i8 v2, v[0:1], off
	s_wait_loadcnt 0x0
	v_cvt_f32_i32_e32 v42, v2
	s_branch .LBB44_1437
.LBB44_1436:
	s_mov_b32 s1, -1
                                        ; implicit-def: $vgpr42
.LBB44_1437:
	s_delay_alu instid0(SALU_CYCLE_1)
	s_and_not1_b32 vcc_lo, exec_lo, s1
	s_cbranch_vccnz .LBB44_1439
; %bb.1438:
	global_load_u8 v0, v[0:1], off
	s_wait_loadcnt 0x0
	v_cvt_f32_ubyte0_e32 v42, v0
.LBB44_1439:
	s_or_b32 s4, s4, exec_lo
.LBB44_1440:
	s_wait_xcnt 0x0
	s_or_b32 exec_lo, exec_lo, s0
	s_mov_b32 s0, 0
	s_mov_b32 s2, 0
                                        ; implicit-def: $sgpr1
                                        ; implicit-def: $vgpr2_vgpr3
                                        ; implicit-def: $vgpr0
	s_and_saveexec_b32 s58, s4
	s_cbranch_execz .LBB44_1443
; %bb.1441:
	s_and_not1_b32 vcc_lo, exec_lo, s55
	s_cbranch_vccnz .LBB44_1446
; %bb.1442:
	s_wait_loadcnt 0x0
	s_delay_alu instid0(VALU_DEP_1) | instskip(SKIP_2) | instid1(SALU_CYCLE_1)
	v_dual_mov_b32 v0, v40 :: v_dual_mov_b32 v1, v42
	s_get_pc_i64 s[0:1]
	s_add_nc_u64 s[0:1], s[0:1], _ZN12_GLOBAL__N_111calc_igammaIfEET_S1_S1_@rel64+4
	s_swap_pc_i64 s[30:31], s[0:1]
	s_cbranch_execz .LBB44_1447
	s_branch .LBB44_1448
.LBB44_1443:
	s_or_b32 exec_lo, exec_lo, s58
	s_and_saveexec_b32 s3, s57
	s_cbranch_execnz .LBB44_1525
.LBB44_1444:
	s_or_b32 exec_lo, exec_lo, s3
	s_and_saveexec_b32 s3, s0
	s_delay_alu instid0(SALU_CYCLE_1)
	s_xor_b32 s0, exec_lo, s3
	s_cbranch_execz .LBB44_1526
.LBB44_1445:
	v_cmp_neq_f32_e32 vcc_lo, 0, v0
	v_cndmask_b32_e64 v1, 0, 1, vcc_lo
	global_store_b8 v[2:3], v1, off
	s_wait_xcnt 0x0
	s_or_b32 exec_lo, exec_lo, s0
	s_and_saveexec_b32 s0, s2
	s_delay_alu instid0(SALU_CYCLE_1)
	s_xor_b32 s0, exec_lo, s0
	s_cbranch_execz .LBB44_1564
	s_branch .LBB44_1527
.LBB44_1446:
                                        ; implicit-def: $vgpr0
.LBB44_1447:
	s_wait_loadcnt 0x0
	s_delay_alu instid0(VALU_DEP_1) | instskip(SKIP_2) | instid1(SALU_CYCLE_1)
	v_dual_mov_b32 v0, v40 :: v_dual_mov_b32 v1, v42
	s_get_pc_i64 s[0:1]
	s_add_nc_u64 s[0:1], s[0:1], _ZN12_GLOBAL__N_112calc_igammacIfEET_S1_S1_@rel64+4
	s_swap_pc_i64 s[30:31], s[0:1]
.LBB44_1448:
	v_mul_lo_u32 v2, v60, s48
	s_and_b32 s1, s46, 0xff
	s_delay_alu instid0(SALU_CYCLE_1) | instskip(NEXT) | instid1(VALU_DEP_1)
	s_cmp_lt_i32 s1, 11
	v_ashrrev_i32_e32 v3, 31, v2
	s_delay_alu instid0(VALU_DEP_1)
	v_add_nc_u64_e32 v[2:3], s[36:37], v[2:3]
	s_cbranch_scc1 .LBB44_1455
; %bb.1449:
	s_and_b32 s2, 0xffff, s1
	s_mov_b32 s3, -1
	s_cmp_gt_i32 s2, 25
	s_mov_b32 s0, s57
	s_cbranch_scc0 .LBB44_1483
; %bb.1450:
	s_cmp_gt_i32 s2, 28
	s_mov_b32 s0, s57
	s_cbranch_scc0 .LBB44_1467
; %bb.1451:
	;; [unrolled: 4-line block ×4, first 2 shown]
	s_cmp_eq_u32 s2, 46
	s_mov_b32 s0, -1
	s_cbranch_scc0 .LBB44_1456
; %bb.1454:
	v_bfe_u32 v1, v0, 16, 1
	v_cmp_o_f32_e32 vcc_lo, v0, v0
	s_mov_b32 s0, 0
	s_mov_b32 s3, 0
	s_delay_alu instid0(VALU_DEP_2) | instskip(NEXT) | instid1(VALU_DEP_1)
	v_add3_u32 v1, v0, v1, 0x7fff
	v_lshrrev_b32_e32 v1, 16, v1
	s_delay_alu instid0(VALU_DEP_1)
	v_cndmask_b32_e32 v1, 0x7fc0, v1, vcc_lo
	global_store_b32 v[2:3], v1, off
	s_branch .LBB44_1457
.LBB44_1455:
	s_mov_b32 s4, 0
	s_mov_b32 s3, -1
	s_mov_b32 s0, s57
	s_branch .LBB44_1524
.LBB44_1456:
	s_mov_b32 s3, 0
.LBB44_1457:
	s_delay_alu instid0(SALU_CYCLE_1)
	s_and_b32 vcc_lo, exec_lo, s3
	s_cbranch_vccz .LBB44_1462
; %bb.1458:
	s_cmp_eq_u32 s2, 44
	s_mov_b32 s0, -1
	s_cbranch_scc0 .LBB44_1462
; %bb.1459:
	v_bfe_u32 v4, v0, 23, 8
	s_wait_xcnt 0x0
	v_mov_b32_e32 v1, 0xff
	s_mov_b32 s3, exec_lo
	s_delay_alu instid0(VALU_DEP_2)
	v_cmpx_ne_u32_e32 0xff, v4
	s_cbranch_execz .LBB44_1461
; %bb.1460:
	v_and_b32_e32 v1, 0x400000, v0
	v_and_or_b32 v4, 0x3fffff, v0, v4
	s_delay_alu instid0(VALU_DEP_2) | instskip(NEXT) | instid1(VALU_DEP_2)
	v_cmp_ne_u32_e32 vcc_lo, 0, v1
	v_cmp_ne_u32_e64 s0, 0, v4
	v_lshrrev_b32_e32 v1, 23, v0
	s_and_b32 s0, vcc_lo, s0
	s_delay_alu instid0(SALU_CYCLE_1) | instskip(NEXT) | instid1(VALU_DEP_1)
	v_cndmask_b32_e64 v4, 0, 1, s0
	v_add_nc_u32_e32 v1, v1, v4
.LBB44_1461:
	s_or_b32 exec_lo, exec_lo, s3
	s_mov_b32 s0, 0
	global_store_b8 v[2:3], v1, off
.LBB44_1462:
	s_mov_b32 s3, 0
.LBB44_1463:
	s_delay_alu instid0(SALU_CYCLE_1)
	s_and_b32 vcc_lo, exec_lo, s3
	s_cbranch_vccz .LBB44_1466
; %bb.1464:
	s_cmp_eq_u32 s2, 29
	s_mov_b32 s0, -1
	s_cbranch_scc0 .LBB44_1466
; %bb.1465:
	s_wait_xcnt 0x0
	v_trunc_f32_e32 v1, v0
	s_mov_b32 s0, 0
	s_mov_b32 s3, 0
	s_delay_alu instid0(VALU_DEP_1) | instskip(NEXT) | instid1(VALU_DEP_1)
	v_mul_f32_e32 v4, 0x2f800000, v1
	v_floor_f32_e32 v4, v4
	s_delay_alu instid0(VALU_DEP_1) | instskip(SKIP_1) | instid1(VALU_DEP_2)
	v_fmamk_f32 v1, v4, 0xcf800000, v1
	v_cvt_u32_f32_e32 v5, v4
	v_cvt_u32_f32_e32 v4, v1
	global_store_b64 v[2:3], v[4:5], off
	s_branch .LBB44_1467
.LBB44_1466:
	s_mov_b32 s3, 0
.LBB44_1467:
	s_delay_alu instid0(SALU_CYCLE_1)
	s_and_b32 vcc_lo, exec_lo, s3
	s_cbranch_vccz .LBB44_1482
; %bb.1468:
	s_cmp_lt_i32 s2, 27
	s_mov_b32 s3, -1
	s_cbranch_scc1 .LBB44_1474
; %bb.1469:
	s_wait_xcnt 0x0
	v_cvt_u32_f32_e32 v1, v0
	s_cmp_gt_i32 s2, 27
	s_cbranch_scc0 .LBB44_1471
; %bb.1470:
	s_mov_b32 s3, 0
	global_store_b32 v[2:3], v1, off
.LBB44_1471:
	s_and_not1_b32 vcc_lo, exec_lo, s3
	s_cbranch_vccnz .LBB44_1473
; %bb.1472:
	global_store_b16 v[2:3], v1, off
.LBB44_1473:
	s_mov_b32 s3, 0
.LBB44_1474:
	s_delay_alu instid0(SALU_CYCLE_1)
	s_and_not1_b32 vcc_lo, exec_lo, s3
	s_cbranch_vccnz .LBB44_1482
; %bb.1475:
	s_wait_xcnt 0x0
	v_and_b32_e32 v1, 0x7fffffff, v0
	v_mov_b32_e32 v4, 0x80
	s_mov_b32 s3, exec_lo
	s_delay_alu instid0(VALU_DEP_2)
	v_cmpx_gt_u32_e32 0x43800000, v1
	s_cbranch_execz .LBB44_1481
; %bb.1476:
	v_cmp_lt_u32_e32 vcc_lo, 0x3bffffff, v1
	s_mov_b32 s4, 0
                                        ; implicit-def: $vgpr1
	s_and_saveexec_b32 s5, vcc_lo
	s_delay_alu instid0(SALU_CYCLE_1)
	s_xor_b32 s5, exec_lo, s5
	s_cbranch_execz .LBB44_1579
; %bb.1477:
	v_bfe_u32 v1, v0, 20, 1
	s_mov_b32 s4, exec_lo
	s_delay_alu instid0(VALU_DEP_1) | instskip(NEXT) | instid1(VALU_DEP_1)
	v_add3_u32 v1, v0, v1, 0x487ffff
	v_lshrrev_b32_e32 v1, 20, v1
	s_and_not1_saveexec_b32 s5, s5
	s_cbranch_execnz .LBB44_1580
.LBB44_1478:
	s_or_b32 exec_lo, exec_lo, s5
	v_mov_b32_e32 v4, 0
	s_and_saveexec_b32 s5, s4
.LBB44_1479:
	v_lshrrev_b32_e32 v4, 24, v0
	s_delay_alu instid0(VALU_DEP_1)
	v_and_or_b32 v4, 0x80, v4, v1
.LBB44_1480:
	s_or_b32 exec_lo, exec_lo, s5
.LBB44_1481:
	s_delay_alu instid0(SALU_CYCLE_1)
	s_or_b32 exec_lo, exec_lo, s3
	global_store_b8 v[2:3], v4, off
.LBB44_1482:
	s_mov_b32 s3, 0
.LBB44_1483:
	s_delay_alu instid0(SALU_CYCLE_1)
	s_and_b32 vcc_lo, exec_lo, s3
	s_mov_b32 s3, 0
	s_cbranch_vccz .LBB44_1523
; %bb.1484:
	s_cmp_gt_i32 s2, 22
	s_mov_b32 s4, -1
	s_cbranch_scc0 .LBB44_1516
; %bb.1485:
	s_cmp_lt_i32 s2, 24
	s_cbranch_scc1 .LBB44_1505
; %bb.1486:
	s_cmp_gt_i32 s2, 24
	s_cbranch_scc0 .LBB44_1494
; %bb.1487:
	s_wait_xcnt 0x0
	v_and_b32_e32 v1, 0x7fffffff, v0
	v_mov_b32_e32 v4, 0x80
	s_mov_b32 s4, exec_lo
	s_delay_alu instid0(VALU_DEP_2)
	v_cmpx_gt_u32_e32 0x47800000, v1
	s_cbranch_execz .LBB44_1493
; %bb.1488:
	v_cmp_lt_u32_e32 vcc_lo, 0x37ffffff, v1
	s_mov_b32 s5, 0
                                        ; implicit-def: $vgpr1
	s_and_saveexec_b32 s6, vcc_lo
	s_delay_alu instid0(SALU_CYCLE_1)
	s_xor_b32 s6, exec_lo, s6
	s_cbranch_execz .LBB44_1705
; %bb.1489:
	v_bfe_u32 v1, v0, 21, 1
	s_mov_b32 s5, exec_lo
	s_delay_alu instid0(VALU_DEP_1) | instskip(NEXT) | instid1(VALU_DEP_1)
	v_add3_u32 v1, v0, v1, 0x88fffff
	v_lshrrev_b32_e32 v1, 21, v1
	s_and_not1_saveexec_b32 s6, s6
	s_cbranch_execnz .LBB44_1706
.LBB44_1490:
	s_or_b32 exec_lo, exec_lo, s6
	v_mov_b32_e32 v4, 0
	s_and_saveexec_b32 s6, s5
.LBB44_1491:
	v_lshrrev_b32_e32 v4, 24, v0
	s_delay_alu instid0(VALU_DEP_1)
	v_and_or_b32 v4, 0x80, v4, v1
.LBB44_1492:
	s_or_b32 exec_lo, exec_lo, s6
.LBB44_1493:
	s_delay_alu instid0(SALU_CYCLE_1)
	s_or_b32 exec_lo, exec_lo, s4
	s_mov_b32 s4, 0
	global_store_b8 v[2:3], v4, off
.LBB44_1494:
	s_and_b32 vcc_lo, exec_lo, s4
	s_cbranch_vccz .LBB44_1504
; %bb.1495:
	s_wait_xcnt 0x0
	v_and_b32_e32 v4, 0x7fffffff, v0
	s_mov_b32 s4, exec_lo
                                        ; implicit-def: $vgpr1
	s_delay_alu instid0(VALU_DEP_1)
	v_cmpx_gt_u32_e32 0x43f00000, v4
	s_xor_b32 s4, exec_lo, s4
	s_cbranch_execz .LBB44_1501
; %bb.1496:
	s_mov_b32 s5, exec_lo
                                        ; implicit-def: $vgpr1
	v_cmpx_lt_u32_e32 0x3c7fffff, v4
	s_xor_b32 s5, exec_lo, s5
; %bb.1497:
	v_bfe_u32 v1, v0, 20, 1
	s_delay_alu instid0(VALU_DEP_1) | instskip(NEXT) | instid1(VALU_DEP_1)
	v_add3_u32 v1, v0, v1, 0x407ffff
	v_and_b32_e32 v4, 0xff00000, v1
	v_lshrrev_b32_e32 v1, 20, v1
	s_delay_alu instid0(VALU_DEP_2) | instskip(NEXT) | instid1(VALU_DEP_2)
	v_cmp_ne_u32_e32 vcc_lo, 0x7f00000, v4
	v_cndmask_b32_e32 v1, 0x7e, v1, vcc_lo
; %bb.1498:
	s_and_not1_saveexec_b32 s5, s5
; %bb.1499:
	v_add_f32_e64 v1, 0x46800000, |v0|
; %bb.1500:
	s_or_b32 exec_lo, exec_lo, s5
                                        ; implicit-def: $vgpr4
.LBB44_1501:
	s_and_not1_saveexec_b32 s4, s4
; %bb.1502:
	v_mov_b32_e32 v1, 0x7f
	v_cmp_lt_u32_e32 vcc_lo, 0x7f800000, v4
	s_delay_alu instid0(VALU_DEP_2)
	v_cndmask_b32_e32 v1, 0x7e, v1, vcc_lo
; %bb.1503:
	s_or_b32 exec_lo, exec_lo, s4
	v_lshrrev_b32_e32 v4, 24, v0
	s_delay_alu instid0(VALU_DEP_1)
	v_and_or_b32 v1, 0x80, v4, v1
	global_store_b8 v[2:3], v1, off
.LBB44_1504:
	s_mov_b32 s4, 0
.LBB44_1505:
	s_delay_alu instid0(SALU_CYCLE_1)
	s_and_not1_b32 vcc_lo, exec_lo, s4
	s_cbranch_vccnz .LBB44_1515
; %bb.1506:
	s_wait_xcnt 0x0
	v_and_b32_e32 v4, 0x7fffffff, v0
	s_mov_b32 s4, exec_lo
                                        ; implicit-def: $vgpr1
	s_delay_alu instid0(VALU_DEP_1)
	v_cmpx_gt_u32_e32 0x47800000, v4
	s_xor_b32 s4, exec_lo, s4
	s_cbranch_execz .LBB44_1512
; %bb.1507:
	s_mov_b32 s5, exec_lo
                                        ; implicit-def: $vgpr1
	v_cmpx_lt_u32_e32 0x387fffff, v4
	s_xor_b32 s5, exec_lo, s5
; %bb.1508:
	v_bfe_u32 v1, v0, 21, 1
	s_delay_alu instid0(VALU_DEP_1) | instskip(NEXT) | instid1(VALU_DEP_1)
	v_add3_u32 v1, v0, v1, 0x80fffff
	v_lshrrev_b32_e32 v1, 21, v1
; %bb.1509:
	s_and_not1_saveexec_b32 s5, s5
; %bb.1510:
	v_add_f32_e64 v1, 0x43000000, |v0|
; %bb.1511:
	s_or_b32 exec_lo, exec_lo, s5
                                        ; implicit-def: $vgpr4
.LBB44_1512:
	s_and_not1_saveexec_b32 s4, s4
; %bb.1513:
	v_mov_b32_e32 v1, 0x7f
	v_cmp_lt_u32_e32 vcc_lo, 0x7f800000, v4
	s_delay_alu instid0(VALU_DEP_2)
	v_cndmask_b32_e32 v1, 0x7c, v1, vcc_lo
; %bb.1514:
	s_or_b32 exec_lo, exec_lo, s4
	v_lshrrev_b32_e32 v4, 24, v0
	s_delay_alu instid0(VALU_DEP_1)
	v_and_or_b32 v1, 0x80, v4, v1
	global_store_b8 v[2:3], v1, off
.LBB44_1515:
	s_mov_b32 s4, 0
.LBB44_1516:
	s_delay_alu instid0(SALU_CYCLE_1)
	s_and_not1_b32 vcc_lo, exec_lo, s4
	s_mov_b32 s4, 0
	s_cbranch_vccnz .LBB44_1524
; %bb.1517:
	s_cmp_gt_i32 s2, 14
	s_mov_b32 s4, -1
	s_cbranch_scc0 .LBB44_1521
; %bb.1518:
	s_cmp_eq_u32 s2, 15
	s_mov_b32 s0, -1
	s_cbranch_scc0 .LBB44_1520
; %bb.1519:
	s_wait_xcnt 0x0
	v_bfe_u32 v1, v0, 16, 1
	v_cmp_o_f32_e32 vcc_lo, v0, v0
	s_mov_b32 s0, 0
	s_delay_alu instid0(VALU_DEP_2) | instskip(NEXT) | instid1(VALU_DEP_1)
	v_add3_u32 v1, v0, v1, 0x7fff
	v_lshrrev_b32_e32 v1, 16, v1
	s_delay_alu instid0(VALU_DEP_1)
	v_cndmask_b32_e32 v1, 0x7fc0, v1, vcc_lo
	global_store_b16 v[2:3], v1, off
.LBB44_1520:
	s_mov_b32 s4, 0
.LBB44_1521:
	s_delay_alu instid0(SALU_CYCLE_1)
	s_and_b32 vcc_lo, exec_lo, s4
	s_mov_b32 s4, 0
	s_cbranch_vccz .LBB44_1524
; %bb.1522:
	s_cmp_lg_u32 s2, 11
	s_mov_b32 s4, -1
	s_cselect_b32 s2, -1, 0
	s_and_not1_b32 s0, s0, exec_lo
	s_and_b32 s2, s2, exec_lo
	s_delay_alu instid0(SALU_CYCLE_1)
	s_or_b32 s0, s0, s2
	s_branch .LBB44_1524
.LBB44_1523:
	s_mov_b32 s4, 0
.LBB44_1524:
	s_and_b32 s2, s3, exec_lo
	s_and_not1_b32 s3, s57, exec_lo
	s_and_b32 s5, s0, exec_lo
	s_and_b32 s0, s4, exec_lo
	s_or_b32 s57, s3, s5
	s_wait_xcnt 0x0
	s_or_b32 exec_lo, exec_lo, s58
	s_and_saveexec_b32 s3, s57
	s_cbranch_execz .LBB44_1444
.LBB44_1525:
	s_or_b32 s56, s56, exec_lo
	s_and_not1_b32 s0, s0, exec_lo
	s_trap 2
	s_or_b32 exec_lo, exec_lo, s3
	s_and_saveexec_b32 s3, s0
	s_delay_alu instid0(SALU_CYCLE_1)
	s_xor_b32 s0, exec_lo, s3
	s_cbranch_execnz .LBB44_1445
.LBB44_1526:
	s_or_b32 exec_lo, exec_lo, s0
	s_and_saveexec_b32 s0, s2
	s_delay_alu instid0(SALU_CYCLE_1)
	s_xor_b32 s0, exec_lo, s0
	s_cbranch_execz .LBB44_1564
.LBB44_1527:
	s_sext_i32_i16 s3, s1
	s_mov_b32 s2, -1
	s_cmp_lt_i32 s3, 5
	s_cbranch_scc1 .LBB44_1548
; %bb.1528:
	s_cmp_lt_i32 s3, 8
	s_cbranch_scc1 .LBB44_1538
; %bb.1529:
	;; [unrolled: 3-line block ×3, first 2 shown]
	s_cmp_gt_i32 s3, 9
	s_cbranch_scc0 .LBB44_1532
; %bb.1531:
	v_cvt_f64_f32_e32 v[4:5], v0
	v_mov_b32_e32 v6, 0
	s_mov_b32 s2, 0
	s_delay_alu instid0(VALU_DEP_1)
	v_mov_b32_e32 v7, v6
	global_store_b128 v[2:3], v[4:7], off
.LBB44_1532:
	s_and_not1_b32 vcc_lo, exec_lo, s2
	s_cbranch_vccnz .LBB44_1534
; %bb.1533:
	v_mov_b32_e32 v1, 0
	global_store_b64 v[2:3], v[0:1], off
.LBB44_1534:
	s_mov_b32 s2, 0
.LBB44_1535:
	s_delay_alu instid0(SALU_CYCLE_1)
	s_and_not1_b32 vcc_lo, exec_lo, s2
	s_cbranch_vccnz .LBB44_1537
; %bb.1536:
	s_wait_xcnt 0x0
	v_cvt_f16_f32_e32 v1, v0
	s_delay_alu instid0(VALU_DEP_1)
	v_and_b32_e32 v1, 0xffff, v1
	global_store_b32 v[2:3], v1, off
.LBB44_1537:
	s_mov_b32 s2, 0
.LBB44_1538:
	s_delay_alu instid0(SALU_CYCLE_1)
	s_and_not1_b32 vcc_lo, exec_lo, s2
	s_cbranch_vccnz .LBB44_1547
; %bb.1539:
	s_sext_i32_i16 s3, s1
	s_mov_b32 s2, -1
	s_cmp_lt_i32 s3, 6
	s_cbranch_scc1 .LBB44_1545
; %bb.1540:
	s_cmp_gt_i32 s3, 6
	s_cbranch_scc0 .LBB44_1542
; %bb.1541:
	s_wait_xcnt 0x0
	v_cvt_f64_f32_e32 v[4:5], v0
	s_mov_b32 s2, 0
	global_store_b64 v[2:3], v[4:5], off
.LBB44_1542:
	s_and_not1_b32 vcc_lo, exec_lo, s2
	s_cbranch_vccnz .LBB44_1544
; %bb.1543:
	global_store_b32 v[2:3], v0, off
.LBB44_1544:
	s_mov_b32 s2, 0
.LBB44_1545:
	s_delay_alu instid0(SALU_CYCLE_1)
	s_and_not1_b32 vcc_lo, exec_lo, s2
	s_cbranch_vccnz .LBB44_1547
; %bb.1546:
	s_wait_xcnt 0x0
	v_cvt_f16_f32_e32 v1, v0
	global_store_b16 v[2:3], v1, off
.LBB44_1547:
	s_mov_b32 s2, 0
.LBB44_1548:
	s_delay_alu instid0(SALU_CYCLE_1)
	s_and_not1_b32 vcc_lo, exec_lo, s2
	s_cbranch_vccnz .LBB44_1564
; %bb.1549:
	s_sext_i32_i16 s3, s1
	s_mov_b32 s2, -1
	s_cmp_lt_i32 s3, 2
	s_cbranch_scc1 .LBB44_1559
; %bb.1550:
	s_cmp_lt_i32 s3, 3
	s_cbranch_scc1 .LBB44_1556
; %bb.1551:
	s_cmp_gt_i32 s3, 3
	s_cbranch_scc0 .LBB44_1553
; %bb.1552:
	s_wait_xcnt 0x0
	v_trunc_f32_e32 v1, v0
	s_mov_b32 s2, 0
	s_delay_alu instid0(VALU_DEP_1) | instskip(NEXT) | instid1(VALU_DEP_1)
	v_mul_f32_e64 v4, 0x2f800000, |v1|
	v_floor_f32_e32 v5, v4
	v_ashrrev_i32_e32 v4, 31, v1
	s_delay_alu instid0(VALU_DEP_2) | instskip(SKIP_1) | instid1(VALU_DEP_3)
	v_fma_f32 v6, 0xcf800000, v5, |v1|
	v_cvt_u32_f32_e32 v1, v5
	v_mov_b32_e32 v5, v4
	s_delay_alu instid0(VALU_DEP_3) | instskip(NEXT) | instid1(VALU_DEP_3)
	v_cvt_u32_f32_e32 v6, v6
	v_xor_b32_e32 v7, v1, v4
	s_delay_alu instid0(VALU_DEP_2) | instskip(NEXT) | instid1(VALU_DEP_1)
	v_xor_b32_e32 v6, v6, v4
	v_sub_nc_u64_e32 v[4:5], v[6:7], v[4:5]
	global_store_b64 v[2:3], v[4:5], off
.LBB44_1553:
	s_and_not1_b32 vcc_lo, exec_lo, s2
	s_cbranch_vccnz .LBB44_1555
; %bb.1554:
	s_wait_xcnt 0x0
	v_cvt_i32_f32_e32 v1, v0
	global_store_b32 v[2:3], v1, off
.LBB44_1555:
	s_mov_b32 s2, 0
.LBB44_1556:
	s_delay_alu instid0(SALU_CYCLE_1)
	s_and_not1_b32 vcc_lo, exec_lo, s2
	s_cbranch_vccnz .LBB44_1558
; %bb.1557:
	s_wait_xcnt 0x0
	v_cvt_i32_f32_e32 v1, v0
	global_store_b16 v[2:3], v1, off
.LBB44_1558:
	s_mov_b32 s2, 0
.LBB44_1559:
	s_delay_alu instid0(SALU_CYCLE_1)
	s_and_not1_b32 vcc_lo, exec_lo, s2
	s_cbranch_vccnz .LBB44_1564
; %bb.1560:
	s_sext_i32_i16 s1, s1
	s_delay_alu instid0(SALU_CYCLE_1)
	s_cmp_gt_i32 s1, 0
	s_mov_b32 s1, -1
	s_cbranch_scc0 .LBB44_1562
; %bb.1561:
	s_wait_xcnt 0x0
	v_cvt_i32_f32_e32 v1, v0
	s_mov_b32 s1, 0
	global_store_b8 v[2:3], v1, off
.LBB44_1562:
	s_and_not1_b32 vcc_lo, exec_lo, s1
	s_cbranch_vccnz .LBB44_1564
; %bb.1563:
	s_wait_xcnt 0x0
	v_trunc_f32_e32 v0, v0
	s_delay_alu instid0(VALU_DEP_1) | instskip(NEXT) | instid1(VALU_DEP_1)
	v_mul_f32_e64 v1, 0x2f800000, |v0|
	v_floor_f32_e32 v1, v1
	s_delay_alu instid0(VALU_DEP_1) | instskip(SKIP_1) | instid1(VALU_DEP_2)
	v_fma_f32 v1, 0xcf800000, v1, |v0|
	v_ashrrev_i32_e32 v0, 31, v0
	v_cvt_u32_f32_e32 v1, v1
	s_delay_alu instid0(VALU_DEP_1) | instskip(NEXT) | instid1(VALU_DEP_1)
	v_xor_b32_e32 v1, v1, v0
	v_sub_nc_u32_e32 v0, v1, v0
	global_store_b8 v[2:3], v0, off
.LBB44_1564:
	s_wait_xcnt 0x0
	s_or_b32 exec_lo, exec_lo, s0
	s_delay_alu instid0(SALU_CYCLE_1)
	s_and_b32 s55, s56, exec_lo
                                        ; implicit-def: $vgpr60
.LBB44_1565:
	s_or_saveexec_b32 s54, s54
	s_mov_b32 s0, 0
                                        ; implicit-def: $sgpr1
                                        ; implicit-def: $vgpr2_vgpr3
                                        ; implicit-def: $vgpr0
	s_xor_b32 exec_lo, exec_lo, s54
	s_cbranch_execz .LBB44_2626
; %bb.1566:
	v_mul_lo_u32 v44, s49, v60
	s_and_b32 s53, s53, 0xff
	s_delay_alu instid0(SALU_CYCLE_1) | instskip(NEXT) | instid1(VALU_DEP_1)
	s_cmp_lt_i32 s53, 11
	v_ashrrev_i32_e32 v45, 31, v44
	s_delay_alu instid0(VALU_DEP_1)
	v_add_nc_u64_e32 v[0:1], s[38:39], v[44:45]
	s_cbranch_scc1 .LBB44_1573
; %bb.1567:
	s_and_b32 s0, 0xffff, s53
	s_mov_b32 s2, 0
	s_cmp_gt_i32 s0, 25
	s_cbranch_scc0 .LBB44_1575
; %bb.1568:
	s_cmp_gt_i32 s0, 28
	s_cbranch_scc0 .LBB44_1576
; %bb.1569:
	;; [unrolled: 3-line block ×4, first 2 shown]
	s_cmp_eq_u32 s0, 46
	s_mov_b32 s4, 0
	s_cbranch_scc0 .LBB44_1581
; %bb.1572:
	global_load_b32 v2, v[0:1], off
	s_mov_b32 s1, 0
	s_mov_b32 s3, -1
	s_wait_loadcnt 0x0
	v_lshlrev_b32_e32 v40, 16, v2
	s_branch .LBB44_1583
.LBB44_1573:
	s_mov_b32 s3, 0
	s_mov_b32 s52, s55
                                        ; implicit-def: $vgpr40
	s_cbranch_execnz .LBB44_1646
.LBB44_1574:
	s_and_not1_b32 vcc_lo, exec_lo, s3
	s_cbranch_vccz .LBB44_1691
	s_branch .LBB44_2624
.LBB44_1575:
	s_mov_b32 s3, 0
	s_mov_b32 s1, 0
                                        ; implicit-def: $vgpr40
	s_cbranch_execnz .LBB44_1611
	s_branch .LBB44_1642
.LBB44_1576:
	s_mov_b32 s4, -1
	s_mov_b32 s3, 0
	s_mov_b32 s1, 0
                                        ; implicit-def: $vgpr40
	s_branch .LBB44_1592
.LBB44_1577:
	s_mov_b32 s3, 0
	s_mov_b32 s1, 0
                                        ; implicit-def: $vgpr40
	s_cbranch_execnz .LBB44_1588
	s_branch .LBB44_1591
.LBB44_1578:
	s_mov_b32 s4, -1
	s_mov_b32 s3, 0
	s_mov_b32 s1, 0
	s_branch .LBB44_1582
.LBB44_1579:
	s_and_not1_saveexec_b32 s5, s5
	s_cbranch_execz .LBB44_1478
.LBB44_1580:
	v_add_f32_e64 v1, 0x46000000, |v0|
	s_and_not1_b32 s4, s4, exec_lo
	s_delay_alu instid0(VALU_DEP_1) | instskip(NEXT) | instid1(VALU_DEP_1)
	v_and_b32_e32 v1, 0xff, v1
	v_cmp_ne_u32_e32 vcc_lo, 0, v1
	s_and_b32 s6, vcc_lo, exec_lo
	s_delay_alu instid0(SALU_CYCLE_1)
	s_or_b32 s4, s4, s6
	s_or_b32 exec_lo, exec_lo, s5
	v_mov_b32_e32 v4, 0
	s_and_saveexec_b32 s5, s4
	s_cbranch_execnz .LBB44_1479
	s_branch .LBB44_1480
.LBB44_1581:
	s_mov_b32 s1, -1
	s_mov_b32 s3, 0
.LBB44_1582:
                                        ; implicit-def: $vgpr40
.LBB44_1583:
	s_and_b32 vcc_lo, exec_lo, s4
	s_cbranch_vccz .LBB44_1586
; %bb.1584:
	s_cmp_eq_u32 s0, 44
	s_cbranch_scc0 .LBB44_1587
; %bb.1585:
	global_load_u8 v2, v[0:1], off
	s_mov_b32 s1, 0
	s_mov_b32 s3, -1
	s_wait_loadcnt 0x0
	v_lshlrev_b32_e32 v3, 23, v2
	v_cmp_ne_u32_e32 vcc_lo, 0xff, v2
	s_delay_alu instid0(VALU_DEP_2) | instskip(SKIP_1) | instid1(VALU_DEP_2)
	v_cndmask_b32_e32 v3, 0x7f800001, v3, vcc_lo
	v_cmp_ne_u32_e32 vcc_lo, 0, v2
	v_cndmask_b32_e32 v40, 0x400000, v3, vcc_lo
.LBB44_1586:
	s_branch .LBB44_1591
.LBB44_1587:
	s_mov_b32 s1, -1
                                        ; implicit-def: $vgpr40
	s_branch .LBB44_1591
.LBB44_1588:
	s_cmp_eq_u32 s0, 29
	s_cbranch_scc0 .LBB44_1590
; %bb.1589:
	global_load_b64 v[2:3], v[0:1], off
	s_mov_b32 s1, 0
	s_mov_b32 s3, -1
	s_mov_b32 s4, 0
	s_wait_loadcnt 0x0
	v_clz_i32_u32_e32 v4, v3
	s_delay_alu instid0(VALU_DEP_1) | instskip(NEXT) | instid1(VALU_DEP_1)
	v_min_u32_e32 v4, 32, v4
	v_lshlrev_b64_e32 v[2:3], v4, v[2:3]
	s_delay_alu instid0(VALU_DEP_1) | instskip(NEXT) | instid1(VALU_DEP_1)
	v_min_u32_e32 v2, 1, v2
	v_dual_sub_nc_u32 v3, 32, v4 :: v_dual_bitop2_b32 v2, v3, v2 bitop3:0x54
	s_delay_alu instid0(VALU_DEP_1) | instskip(NEXT) | instid1(VALU_DEP_1)
	v_cvt_f32_u32_e32 v2, v2
	v_ldexp_f32 v40, v2, v3
	s_branch .LBB44_1592
.LBB44_1590:
	s_mov_b32 s1, -1
                                        ; implicit-def: $vgpr40
.LBB44_1591:
	s_mov_b32 s4, 0
.LBB44_1592:
	s_delay_alu instid0(SALU_CYCLE_1)
	s_and_b32 vcc_lo, exec_lo, s4
	s_cbranch_vccz .LBB44_1610
; %bb.1593:
	s_cmp_lt_i32 s0, 27
	s_cbranch_scc1 .LBB44_1596
; %bb.1594:
	s_cmp_gt_i32 s0, 27
	s_cbranch_scc0 .LBB44_1597
; %bb.1595:
	global_load_b32 v2, v[0:1], off
	s_mov_b32 s3, 0
	s_wait_loadcnt 0x0
	v_cvt_f32_u32_e32 v40, v2
	s_branch .LBB44_1598
.LBB44_1596:
	s_mov_b32 s3, -1
                                        ; implicit-def: $vgpr40
	s_branch .LBB44_1601
.LBB44_1597:
	s_mov_b32 s3, -1
                                        ; implicit-def: $vgpr40
.LBB44_1598:
	s_delay_alu instid0(SALU_CYCLE_1)
	s_and_not1_b32 vcc_lo, exec_lo, s3
	s_cbranch_vccnz .LBB44_1600
; %bb.1599:
	global_load_u16 v2, v[0:1], off
	s_wait_loadcnt 0x0
	v_cvt_f32_u32_e32 v40, v2
.LBB44_1600:
	s_mov_b32 s3, 0
.LBB44_1601:
	s_delay_alu instid0(SALU_CYCLE_1)
	s_and_not1_b32 vcc_lo, exec_lo, s3
	s_cbranch_vccnz .LBB44_1609
; %bb.1602:
	global_load_u8 v2, v[0:1], off
	s_mov_b32 s3, 0
	s_mov_b32 s4, exec_lo
	s_wait_loadcnt 0x0
	v_cmpx_lt_i16_e32 0x7f, v2
	s_xor_b32 s4, exec_lo, s4
	s_cbranch_execz .LBB44_1622
; %bb.1603:
	s_mov_b32 s3, -1
	s_mov_b32 s5, exec_lo
	v_cmpx_eq_u16_e32 0x80, v2
; %bb.1604:
	s_xor_b32 s3, exec_lo, -1
; %bb.1605:
	s_or_b32 exec_lo, exec_lo, s5
	s_delay_alu instid0(SALU_CYCLE_1)
	s_and_b32 s3, s3, exec_lo
	s_or_saveexec_b32 s4, s4
	v_mov_b32_e32 v40, 0x7f800001
	s_xor_b32 exec_lo, exec_lo, s4
	s_cbranch_execnz .LBB44_1623
.LBB44_1606:
	s_or_b32 exec_lo, exec_lo, s4
	s_and_saveexec_b32 s4, s3
	s_cbranch_execz .LBB44_1608
.LBB44_1607:
	v_and_b32_e32 v3, 0xffff, v2
	s_delay_alu instid0(VALU_DEP_1) | instskip(SKIP_1) | instid1(VALU_DEP_2)
	v_and_b32_e32 v4, 7, v3
	v_bfe_u32 v7, v3, 3, 4
	v_clz_i32_u32_e32 v5, v4
	s_delay_alu instid0(VALU_DEP_2) | instskip(NEXT) | instid1(VALU_DEP_2)
	v_cmp_eq_u32_e32 vcc_lo, 0, v7
	v_min_u32_e32 v5, 32, v5
	s_delay_alu instid0(VALU_DEP_1) | instskip(NEXT) | instid1(VALU_DEP_1)
	v_subrev_nc_u32_e32 v6, 28, v5
	v_dual_lshlrev_b32 v3, v6, v3 :: v_dual_sub_nc_u32 v5, 29, v5
	s_delay_alu instid0(VALU_DEP_1) | instskip(NEXT) | instid1(VALU_DEP_1)
	v_dual_lshlrev_b32 v2, 24, v2 :: v_dual_bitop2_b32 v3, 7, v3 bitop3:0x40
	v_dual_cndmask_b32 v5, v7, v5, vcc_lo :: v_dual_cndmask_b32 v3, v4, v3, vcc_lo
	s_delay_alu instid0(VALU_DEP_2) | instskip(NEXT) | instid1(VALU_DEP_2)
	v_and_b32_e32 v2, 0x80000000, v2
	v_lshl_add_u32 v4, v5, 23, 0x3b800000
	s_delay_alu instid0(VALU_DEP_3) | instskip(NEXT) | instid1(VALU_DEP_1)
	v_lshlrev_b32_e32 v3, 20, v3
	v_or3_b32 v40, v2, v4, v3
.LBB44_1608:
	s_or_b32 exec_lo, exec_lo, s4
.LBB44_1609:
	s_mov_b32 s3, -1
.LBB44_1610:
	s_branch .LBB44_1642
.LBB44_1611:
	s_cmp_gt_i32 s0, 22
	s_cbranch_scc0 .LBB44_1621
; %bb.1612:
	s_cmp_lt_i32 s0, 24
	s_cbranch_scc1 .LBB44_1624
; %bb.1613:
	s_cmp_gt_i32 s0, 24
	s_cbranch_scc0 .LBB44_1625
; %bb.1614:
	global_load_u8 v2, v[0:1], off
	s_mov_b32 s3, exec_lo
	s_wait_loadcnt 0x0
	v_cmpx_lt_i16_e32 0x7f, v2
	s_xor_b32 s3, exec_lo, s3
	s_cbranch_execz .LBB44_1636
; %bb.1615:
	s_mov_b32 s2, -1
	s_mov_b32 s4, exec_lo
	v_cmpx_eq_u16_e32 0x80, v2
; %bb.1616:
	s_xor_b32 s2, exec_lo, -1
; %bb.1617:
	s_or_b32 exec_lo, exec_lo, s4
	s_delay_alu instid0(SALU_CYCLE_1)
	s_and_b32 s2, s2, exec_lo
	s_or_saveexec_b32 s3, s3
	v_mov_b32_e32 v40, 0x7f800001
	s_xor_b32 exec_lo, exec_lo, s3
	s_cbranch_execnz .LBB44_1637
.LBB44_1618:
	s_or_b32 exec_lo, exec_lo, s3
	s_and_saveexec_b32 s3, s2
	s_cbranch_execz .LBB44_1620
.LBB44_1619:
	v_and_b32_e32 v3, 0xffff, v2
	s_delay_alu instid0(VALU_DEP_1) | instskip(SKIP_1) | instid1(VALU_DEP_2)
	v_and_b32_e32 v4, 3, v3
	v_bfe_u32 v7, v3, 2, 5
	v_clz_i32_u32_e32 v5, v4
	s_delay_alu instid0(VALU_DEP_2) | instskip(NEXT) | instid1(VALU_DEP_2)
	v_cmp_eq_u32_e32 vcc_lo, 0, v7
	v_min_u32_e32 v5, 32, v5
	s_delay_alu instid0(VALU_DEP_1) | instskip(NEXT) | instid1(VALU_DEP_1)
	v_subrev_nc_u32_e32 v6, 29, v5
	v_dual_lshlrev_b32 v3, v6, v3 :: v_dual_sub_nc_u32 v5, 30, v5
	s_delay_alu instid0(VALU_DEP_1) | instskip(NEXT) | instid1(VALU_DEP_1)
	v_dual_lshlrev_b32 v2, 24, v2 :: v_dual_bitop2_b32 v3, 3, v3 bitop3:0x40
	v_dual_cndmask_b32 v5, v7, v5, vcc_lo :: v_dual_cndmask_b32 v3, v4, v3, vcc_lo
	s_delay_alu instid0(VALU_DEP_2) | instskip(NEXT) | instid1(VALU_DEP_2)
	v_and_b32_e32 v2, 0x80000000, v2
	v_lshl_add_u32 v4, v5, 23, 0x37800000
	s_delay_alu instid0(VALU_DEP_3) | instskip(NEXT) | instid1(VALU_DEP_1)
	v_lshlrev_b32_e32 v3, 21, v3
	v_or3_b32 v40, v2, v4, v3
.LBB44_1620:
	s_or_b32 exec_lo, exec_lo, s3
	s_mov_b32 s2, 0
	s_branch .LBB44_1626
.LBB44_1621:
                                        ; implicit-def: $vgpr40
	s_mov_b32 s2, 0
	s_branch .LBB44_1632
.LBB44_1622:
	s_or_saveexec_b32 s4, s4
	v_mov_b32_e32 v40, 0x7f800001
	s_xor_b32 exec_lo, exec_lo, s4
	s_cbranch_execz .LBB44_1606
.LBB44_1623:
	v_cmp_ne_u16_e32 vcc_lo, 0, v2
	v_mov_b32_e32 v40, 0
	s_and_not1_b32 s3, s3, exec_lo
	s_and_b32 s5, vcc_lo, exec_lo
	s_delay_alu instid0(SALU_CYCLE_1)
	s_or_b32 s3, s3, s5
	s_or_b32 exec_lo, exec_lo, s4
	s_and_saveexec_b32 s4, s3
	s_cbranch_execnz .LBB44_1607
	s_branch .LBB44_1608
.LBB44_1624:
	s_mov_b32 s2, -1
                                        ; implicit-def: $vgpr40
	s_branch .LBB44_1629
.LBB44_1625:
	s_mov_b32 s2, -1
                                        ; implicit-def: $vgpr40
.LBB44_1626:
	s_delay_alu instid0(SALU_CYCLE_1)
	s_and_b32 vcc_lo, exec_lo, s2
	s_cbranch_vccz .LBB44_1628
; %bb.1627:
	global_load_u8 v2, v[0:1], off
	s_wait_loadcnt 0x0
	v_lshlrev_b32_e32 v2, 24, v2
	s_delay_alu instid0(VALU_DEP_1) | instskip(NEXT) | instid1(VALU_DEP_1)
	v_and_b32_e32 v3, 0x7f000000, v2
	v_clz_i32_u32_e32 v4, v3
	v_cmp_ne_u32_e32 vcc_lo, 0, v3
	v_add_nc_u32_e32 v6, 0x1000000, v3
	s_delay_alu instid0(VALU_DEP_3) | instskip(NEXT) | instid1(VALU_DEP_1)
	v_min_u32_e32 v4, 32, v4
	v_sub_nc_u32_e64 v4, v4, 4 clamp
	s_delay_alu instid0(VALU_DEP_1) | instskip(NEXT) | instid1(VALU_DEP_1)
	v_dual_lshlrev_b32 v5, v4, v3 :: v_dual_lshlrev_b32 v4, 23, v4
	v_lshrrev_b32_e32 v5, 4, v5
	s_delay_alu instid0(VALU_DEP_1) | instskip(NEXT) | instid1(VALU_DEP_1)
	v_dual_sub_nc_u32 v4, v5, v4 :: v_dual_ashrrev_i32 v5, 8, v6
	v_add_nc_u32_e32 v4, 0x3c000000, v4
	s_delay_alu instid0(VALU_DEP_1) | instskip(NEXT) | instid1(VALU_DEP_1)
	v_and_or_b32 v4, 0x7f800000, v5, v4
	v_cndmask_b32_e32 v3, 0, v4, vcc_lo
	s_delay_alu instid0(VALU_DEP_1)
	v_and_or_b32 v40, 0x80000000, v2, v3
.LBB44_1628:
	s_mov_b32 s2, 0
.LBB44_1629:
	s_delay_alu instid0(SALU_CYCLE_1)
	s_and_not1_b32 vcc_lo, exec_lo, s2
	s_cbranch_vccnz .LBB44_1631
; %bb.1630:
	global_load_u8 v2, v[0:1], off
	s_wait_loadcnt 0x0
	v_lshlrev_b32_e32 v3, 25, v2
	v_lshlrev_b16 v2, 8, v2
	s_delay_alu instid0(VALU_DEP_1) | instskip(SKIP_1) | instid1(VALU_DEP_2)
	v_and_or_b32 v5, 0x7f00, v2, 0.5
	v_bfe_i32 v2, v2, 0, 16
	v_dual_add_f32 v5, -0.5, v5 :: v_dual_lshrrev_b32 v4, 4, v3
	v_cmp_gt_u32_e32 vcc_lo, 0x8000000, v3
	s_delay_alu instid0(VALU_DEP_2) | instskip(NEXT) | instid1(VALU_DEP_1)
	v_or_b32_e32 v4, 0x70000000, v4
	v_mul_f32_e32 v4, 0x7800000, v4
	s_delay_alu instid0(VALU_DEP_1) | instskip(NEXT) | instid1(VALU_DEP_1)
	v_cndmask_b32_e32 v3, v4, v5, vcc_lo
	v_and_or_b32 v40, 0x80000000, v2, v3
.LBB44_1631:
	s_mov_b32 s3, -1
	s_mov_b32 s2, 0
	s_cbranch_execnz .LBB44_1642
.LBB44_1632:
	s_cmp_gt_i32 s0, 14
	s_cbranch_scc0 .LBB44_1635
; %bb.1633:
	s_cmp_eq_u32 s0, 15
	s_cbranch_scc0 .LBB44_1638
; %bb.1634:
	global_load_u16 v2, v[0:1], off
	s_mov_b32 s1, 0
	s_mov_b32 s3, -1
	s_wait_loadcnt 0x0
	v_lshlrev_b32_e32 v40, 16, v2
	s_branch .LBB44_1640
.LBB44_1635:
	s_mov_b32 s2, -1
	s_branch .LBB44_1639
.LBB44_1636:
	s_or_saveexec_b32 s3, s3
	v_mov_b32_e32 v40, 0x7f800001
	s_xor_b32 exec_lo, exec_lo, s3
	s_cbranch_execz .LBB44_1618
.LBB44_1637:
	v_cmp_ne_u16_e32 vcc_lo, 0, v2
	v_mov_b32_e32 v40, 0
	s_and_not1_b32 s2, s2, exec_lo
	s_and_b32 s4, vcc_lo, exec_lo
	s_delay_alu instid0(SALU_CYCLE_1)
	s_or_b32 s2, s2, s4
	s_or_b32 exec_lo, exec_lo, s3
	s_and_saveexec_b32 s3, s2
	s_cbranch_execnz .LBB44_1619
	s_branch .LBB44_1620
.LBB44_1638:
	s_mov_b32 s1, -1
.LBB44_1639:
                                        ; implicit-def: $vgpr40
.LBB44_1640:
	s_and_b32 vcc_lo, exec_lo, s2
	s_mov_b32 s2, 0
	s_cbranch_vccz .LBB44_1642
; %bb.1641:
	s_cmp_lg_u32 s0, 11
	s_mov_b32 s2, -1
	s_cselect_b32 s1, -1, 0
.LBB44_1642:
	s_delay_alu instid0(SALU_CYCLE_1)
	s_and_b32 vcc_lo, exec_lo, s1
	s_mov_b32 s52, s55
	s_cbranch_vccnz .LBB44_1703
; %bb.1643:
	s_and_not1_b32 vcc_lo, exec_lo, s2
	s_cbranch_vccnz .LBB44_1645
.LBB44_1644:
	global_load_u8 v2, v[0:1], off
	s_mov_b32 s3, -1
	s_wait_loadcnt 0x0
	v_cmp_ne_u16_e32 vcc_lo, 0, v2
	v_cndmask_b32_e64 v40, 0, 1.0, vcc_lo
.LBB44_1645:
	s_branch .LBB44_1574
.LBB44_1646:
	s_and_b32 s0, 0xffff, s53
	s_delay_alu instid0(SALU_CYCLE_1)
	s_cmp_lt_i32 s0, 5
	s_cbranch_scc1 .LBB44_1651
; %bb.1647:
	s_cmp_lt_i32 s0, 8
	s_cbranch_scc1 .LBB44_1652
; %bb.1648:
	;; [unrolled: 3-line block ×3, first 2 shown]
	s_cmp_gt_i32 s0, 9
	s_cbranch_scc0 .LBB44_1654
; %bb.1650:
	global_load_b64 v[2:3], v[0:1], off
	s_mov_b32 s1, 0
	s_wait_loadcnt 0x0
	v_cvt_f32_f64_e32 v40, v[2:3]
	s_branch .LBB44_1655
.LBB44_1651:
                                        ; implicit-def: $vgpr40
	s_branch .LBB44_1672
.LBB44_1652:
                                        ; implicit-def: $vgpr40
	s_branch .LBB44_1661
.LBB44_1653:
	s_mov_b32 s1, -1
                                        ; implicit-def: $vgpr40
	s_branch .LBB44_1658
.LBB44_1654:
	s_mov_b32 s1, -1
                                        ; implicit-def: $vgpr40
.LBB44_1655:
	s_delay_alu instid0(SALU_CYCLE_1)
	s_and_not1_b32 vcc_lo, exec_lo, s1
	s_cbranch_vccnz .LBB44_1657
; %bb.1656:
	s_wait_loadcnt 0x0
	global_load_b32 v40, v[0:1], off
.LBB44_1657:
	s_mov_b32 s1, 0
.LBB44_1658:
	s_delay_alu instid0(SALU_CYCLE_1)
	s_and_not1_b32 vcc_lo, exec_lo, s1
	s_cbranch_vccnz .LBB44_1660
; %bb.1659:
	global_load_b32 v2, v[0:1], off
	s_wait_loadcnt 0x0
	v_cvt_f32_f16_e32 v40, v2
.LBB44_1660:
	s_cbranch_execnz .LBB44_1671
.LBB44_1661:
	s_cmp_lt_i32 s0, 6
	s_cbranch_scc1 .LBB44_1664
; %bb.1662:
	s_cmp_gt_i32 s0, 6
	s_cbranch_scc0 .LBB44_1665
; %bb.1663:
	global_load_b64 v[2:3], v[0:1], off
	s_mov_b32 s1, 0
	s_wait_loadcnt 0x0
	v_cvt_f32_f64_e32 v40, v[2:3]
	s_branch .LBB44_1666
.LBB44_1664:
	s_mov_b32 s1, -1
                                        ; implicit-def: $vgpr40
	s_branch .LBB44_1669
.LBB44_1665:
	s_mov_b32 s1, -1
                                        ; implicit-def: $vgpr40
.LBB44_1666:
	s_delay_alu instid0(SALU_CYCLE_1)
	s_and_not1_b32 vcc_lo, exec_lo, s1
	s_cbranch_vccnz .LBB44_1668
; %bb.1667:
	s_wait_loadcnt 0x0
	global_load_b32 v40, v[0:1], off
.LBB44_1668:
	s_mov_b32 s1, 0
.LBB44_1669:
	s_delay_alu instid0(SALU_CYCLE_1)
	s_and_not1_b32 vcc_lo, exec_lo, s1
	s_cbranch_vccnz .LBB44_1671
; %bb.1670:
	global_load_u16 v2, v[0:1], off
	s_wait_loadcnt 0x0
	v_cvt_f32_f16_e32 v40, v2
.LBB44_1671:
	s_cbranch_execnz .LBB44_1690
.LBB44_1672:
	s_cmp_lt_i32 s0, 2
	s_cbranch_scc1 .LBB44_1676
; %bb.1673:
	s_cmp_lt_i32 s0, 3
	s_cbranch_scc1 .LBB44_1677
; %bb.1674:
	s_cmp_gt_i32 s0, 3
	s_cbranch_scc0 .LBB44_1678
; %bb.1675:
	global_load_b64 v[2:3], v[0:1], off
	s_mov_b32 s1, 0
	s_wait_loadcnt 0x0
	v_xor_b32_e32 v4, v2, v3
	v_cls_i32_e32 v5, v3
	s_delay_alu instid0(VALU_DEP_2) | instskip(NEXT) | instid1(VALU_DEP_1)
	v_ashrrev_i32_e32 v4, 31, v4
	v_add_nc_u32_e32 v4, 32, v4
	s_delay_alu instid0(VALU_DEP_1) | instskip(NEXT) | instid1(VALU_DEP_1)
	v_add_min_u32_e64 v4, v5, -1, v4
	v_lshlrev_b64_e32 v[2:3], v4, v[2:3]
	s_delay_alu instid0(VALU_DEP_1) | instskip(NEXT) | instid1(VALU_DEP_1)
	v_min_u32_e32 v2, 1, v2
	v_dual_sub_nc_u32 v3, 32, v4 :: v_dual_bitop2_b32 v2, v3, v2 bitop3:0x54
	s_delay_alu instid0(VALU_DEP_1) | instskip(NEXT) | instid1(VALU_DEP_1)
	v_cvt_f32_i32_e32 v2, v2
	v_ldexp_f32 v40, v2, v3
	s_branch .LBB44_1679
.LBB44_1676:
                                        ; implicit-def: $vgpr40
	s_branch .LBB44_1685
.LBB44_1677:
	s_mov_b32 s1, -1
                                        ; implicit-def: $vgpr40
	s_branch .LBB44_1682
.LBB44_1678:
	s_mov_b32 s1, -1
                                        ; implicit-def: $vgpr40
.LBB44_1679:
	s_delay_alu instid0(SALU_CYCLE_1)
	s_and_not1_b32 vcc_lo, exec_lo, s1
	s_cbranch_vccnz .LBB44_1681
; %bb.1680:
	global_load_b32 v2, v[0:1], off
	s_wait_loadcnt 0x0
	v_cvt_f32_i32_e32 v40, v2
.LBB44_1681:
	s_mov_b32 s1, 0
.LBB44_1682:
	s_delay_alu instid0(SALU_CYCLE_1)
	s_and_not1_b32 vcc_lo, exec_lo, s1
	s_cbranch_vccnz .LBB44_1684
; %bb.1683:
	global_load_i16 v2, v[0:1], off
	s_wait_loadcnt 0x0
	v_cvt_f32_i32_e32 v40, v2
.LBB44_1684:
	s_cbranch_execnz .LBB44_1690
.LBB44_1685:
	s_cmp_gt_i32 s0, 0
	s_mov_b32 s0, 0
	s_cbranch_scc0 .LBB44_1687
; %bb.1686:
	global_load_i8 v2, v[0:1], off
	s_wait_loadcnt 0x0
	v_cvt_f32_i32_e32 v40, v2
	s_branch .LBB44_1688
.LBB44_1687:
	s_mov_b32 s0, -1
                                        ; implicit-def: $vgpr40
.LBB44_1688:
	s_delay_alu instid0(SALU_CYCLE_1)
	s_and_not1_b32 vcc_lo, exec_lo, s0
	s_cbranch_vccnz .LBB44_1690
; %bb.1689:
	global_load_u8 v0, v[0:1], off
	s_wait_loadcnt 0x0
	v_cvt_f32_ubyte0_e32 v40, v0
.LBB44_1690:
.LBB44_1691:
	v_mul_lo_u32 v46, s50, v60
	s_and_b32 s47, 0xffff, s47
	s_delay_alu instid0(SALU_CYCLE_1) | instskip(NEXT) | instid1(VALU_DEP_1)
	s_cmp_lt_i32 s47, 11
	v_ashrrev_i32_e32 v47, 31, v46
	s_wait_xcnt 0x0
	s_delay_alu instid0(VALU_DEP_1)
	v_add_nc_u64_e32 v[0:1], s[34:35], v[46:47]
	s_cbranch_scc1 .LBB44_1698
; %bb.1692:
	s_cmp_gt_i32 s47, 25
	s_mov_b32 s1, 0
	s_cbranch_scc0 .LBB44_1700
; %bb.1693:
	s_cmp_gt_i32 s47, 28
	s_cbranch_scc0 .LBB44_1701
; %bb.1694:
	s_cmp_gt_i32 s47, 43
	;; [unrolled: 3-line block ×3, first 2 shown]
	s_cbranch_scc0 .LBB44_1704
; %bb.1696:
	s_cmp_eq_u32 s47, 46
	s_mov_b32 s3, 0
	s_cbranch_scc0 .LBB44_1707
; %bb.1697:
	global_load_b32 v2, v[0:1], off
	s_mov_b32 s0, 0
	s_mov_b32 s2, -1
	s_wait_loadcnt 0x0
	v_lshlrev_b32_e32 v43, 16, v2
	s_branch .LBB44_1709
.LBB44_1698:
	s_mov_b32 s2, 0
                                        ; implicit-def: $vgpr43
	s_cbranch_execnz .LBB44_1774
.LBB44_1699:
	s_and_not1_b32 vcc_lo, exec_lo, s2
	s_cbranch_vccnz .LBB44_2624
	s_branch .LBB44_1821
.LBB44_1700:
	s_mov_b32 s2, 0
	s_mov_b32 s0, 0
                                        ; implicit-def: $vgpr43
	s_cbranch_execnz .LBB44_1738
	s_branch .LBB44_1770
.LBB44_1701:
	s_mov_b32 s3, -1
	s_mov_b32 s2, 0
	s_mov_b32 s0, 0
                                        ; implicit-def: $vgpr43
	s_branch .LBB44_1719
.LBB44_1702:
	s_mov_b32 s3, -1
	s_mov_b32 s2, 0
	s_mov_b32 s0, 0
                                        ; implicit-def: $vgpr43
	s_branch .LBB44_1714
.LBB44_1703:
	s_or_b32 s52, s55, exec_lo
	s_trap 2
	s_cbranch_execz .LBB44_1644
	s_branch .LBB44_1645
.LBB44_1704:
	s_mov_b32 s3, -1
	s_mov_b32 s2, 0
	s_mov_b32 s0, 0
	s_branch .LBB44_1708
.LBB44_1705:
	s_and_not1_saveexec_b32 s6, s6
	s_cbranch_execz .LBB44_1490
.LBB44_1706:
	v_add_f32_e64 v1, 0x42800000, |v0|
	s_and_not1_b32 s5, s5, exec_lo
	s_delay_alu instid0(VALU_DEP_1) | instskip(NEXT) | instid1(VALU_DEP_1)
	v_and_b32_e32 v1, 0xff, v1
	v_cmp_ne_u32_e32 vcc_lo, 0, v1
	s_and_b32 s7, vcc_lo, exec_lo
	s_delay_alu instid0(SALU_CYCLE_1)
	s_or_b32 s5, s5, s7
	s_or_b32 exec_lo, exec_lo, s6
	v_mov_b32_e32 v4, 0
	s_and_saveexec_b32 s6, s5
	s_cbranch_execnz .LBB44_1491
	s_branch .LBB44_1492
.LBB44_1707:
	s_mov_b32 s0, -1
	s_mov_b32 s2, 0
.LBB44_1708:
                                        ; implicit-def: $vgpr43
.LBB44_1709:
	s_and_b32 vcc_lo, exec_lo, s3
	s_cbranch_vccz .LBB44_1713
; %bb.1710:
	s_cmp_eq_u32 s47, 44
	s_cbranch_scc0 .LBB44_1712
; %bb.1711:
	global_load_u8 v2, v[0:1], off
	s_mov_b32 s0, 0
	s_mov_b32 s2, -1
	s_wait_loadcnt 0x0
	v_lshlrev_b32_e32 v3, 23, v2
	v_cmp_ne_u32_e32 vcc_lo, 0xff, v2
	s_delay_alu instid0(VALU_DEP_2) | instskip(SKIP_1) | instid1(VALU_DEP_2)
	v_cndmask_b32_e32 v3, 0x7f800001, v3, vcc_lo
	v_cmp_ne_u32_e32 vcc_lo, 0, v2
	v_cndmask_b32_e32 v43, 0x400000, v3, vcc_lo
	s_branch .LBB44_1713
.LBB44_1712:
	s_mov_b32 s0, -1
                                        ; implicit-def: $vgpr43
.LBB44_1713:
	s_mov_b32 s3, 0
.LBB44_1714:
	s_delay_alu instid0(SALU_CYCLE_1)
	s_and_b32 vcc_lo, exec_lo, s3
	s_cbranch_vccz .LBB44_1718
; %bb.1715:
	s_cmp_eq_u32 s47, 29
	s_cbranch_scc0 .LBB44_1717
; %bb.1716:
	global_load_b64 v[2:3], v[0:1], off
	s_mov_b32 s0, 0
	s_mov_b32 s2, -1
	s_mov_b32 s3, 0
	s_wait_loadcnt 0x0
	v_clz_i32_u32_e32 v4, v3
	s_delay_alu instid0(VALU_DEP_1) | instskip(NEXT) | instid1(VALU_DEP_1)
	v_min_u32_e32 v4, 32, v4
	v_lshlrev_b64_e32 v[2:3], v4, v[2:3]
	s_delay_alu instid0(VALU_DEP_1) | instskip(NEXT) | instid1(VALU_DEP_1)
	v_min_u32_e32 v2, 1, v2
	v_dual_sub_nc_u32 v3, 32, v4 :: v_dual_bitop2_b32 v2, v3, v2 bitop3:0x54
	s_delay_alu instid0(VALU_DEP_1) | instskip(NEXT) | instid1(VALU_DEP_1)
	v_cvt_f32_u32_e32 v2, v2
	v_ldexp_f32 v43, v2, v3
	s_branch .LBB44_1719
.LBB44_1717:
	s_mov_b32 s0, -1
                                        ; implicit-def: $vgpr43
.LBB44_1718:
	s_mov_b32 s3, 0
.LBB44_1719:
	s_delay_alu instid0(SALU_CYCLE_1)
	s_and_b32 vcc_lo, exec_lo, s3
	s_cbranch_vccz .LBB44_1737
; %bb.1720:
	s_cmp_lt_i32 s47, 27
	s_cbranch_scc1 .LBB44_1723
; %bb.1721:
	s_cmp_gt_i32 s47, 27
	s_cbranch_scc0 .LBB44_1724
; %bb.1722:
	global_load_b32 v2, v[0:1], off
	s_mov_b32 s2, 0
	s_wait_loadcnt 0x0
	v_cvt_f32_u32_e32 v43, v2
	s_branch .LBB44_1725
.LBB44_1723:
	s_mov_b32 s2, -1
                                        ; implicit-def: $vgpr43
	s_branch .LBB44_1728
.LBB44_1724:
	s_mov_b32 s2, -1
                                        ; implicit-def: $vgpr43
.LBB44_1725:
	s_delay_alu instid0(SALU_CYCLE_1)
	s_and_not1_b32 vcc_lo, exec_lo, s2
	s_cbranch_vccnz .LBB44_1727
; %bb.1726:
	global_load_u16 v2, v[0:1], off
	s_wait_loadcnt 0x0
	v_cvt_f32_u32_e32 v43, v2
.LBB44_1727:
	s_mov_b32 s2, 0
.LBB44_1728:
	s_delay_alu instid0(SALU_CYCLE_1)
	s_and_not1_b32 vcc_lo, exec_lo, s2
	s_cbranch_vccnz .LBB44_1736
; %bb.1729:
	global_load_u8 v2, v[0:1], off
	s_mov_b32 s2, 0
	s_mov_b32 s3, exec_lo
	s_wait_loadcnt 0x0
	v_cmpx_lt_i16_e32 0x7f, v2
	s_xor_b32 s3, exec_lo, s3
	s_cbranch_execz .LBB44_1749
; %bb.1730:
	s_mov_b32 s2, -1
	s_mov_b32 s4, exec_lo
	v_cmpx_eq_u16_e32 0x80, v2
; %bb.1731:
	s_xor_b32 s2, exec_lo, -1
; %bb.1732:
	s_or_b32 exec_lo, exec_lo, s4
	s_delay_alu instid0(SALU_CYCLE_1)
	s_and_b32 s2, s2, exec_lo
	s_or_saveexec_b32 s3, s3
	v_mov_b32_e32 v43, 0x7f800001
	s_xor_b32 exec_lo, exec_lo, s3
	s_cbranch_execnz .LBB44_1750
.LBB44_1733:
	s_or_b32 exec_lo, exec_lo, s3
	s_and_saveexec_b32 s3, s2
	s_cbranch_execz .LBB44_1735
.LBB44_1734:
	v_and_b32_e32 v3, 0xffff, v2
	s_delay_alu instid0(VALU_DEP_1) | instskip(SKIP_1) | instid1(VALU_DEP_2)
	v_and_b32_e32 v4, 7, v3
	v_bfe_u32 v7, v3, 3, 4
	v_clz_i32_u32_e32 v5, v4
	s_delay_alu instid0(VALU_DEP_2) | instskip(NEXT) | instid1(VALU_DEP_2)
	v_cmp_eq_u32_e32 vcc_lo, 0, v7
	v_min_u32_e32 v5, 32, v5
	s_delay_alu instid0(VALU_DEP_1) | instskip(NEXT) | instid1(VALU_DEP_1)
	v_subrev_nc_u32_e32 v6, 28, v5
	v_dual_lshlrev_b32 v3, v6, v3 :: v_dual_sub_nc_u32 v5, 29, v5
	s_delay_alu instid0(VALU_DEP_1) | instskip(NEXT) | instid1(VALU_DEP_1)
	v_dual_lshlrev_b32 v2, 24, v2 :: v_dual_bitop2_b32 v3, 7, v3 bitop3:0x40
	v_dual_cndmask_b32 v5, v7, v5, vcc_lo :: v_dual_cndmask_b32 v3, v4, v3, vcc_lo
	s_delay_alu instid0(VALU_DEP_2) | instskip(NEXT) | instid1(VALU_DEP_2)
	v_and_b32_e32 v2, 0x80000000, v2
	v_lshl_add_u32 v4, v5, 23, 0x3b800000
	s_delay_alu instid0(VALU_DEP_3) | instskip(NEXT) | instid1(VALU_DEP_1)
	v_lshlrev_b32_e32 v3, 20, v3
	v_or3_b32 v43, v2, v4, v3
.LBB44_1735:
	s_or_b32 exec_lo, exec_lo, s3
.LBB44_1736:
	s_mov_b32 s2, -1
.LBB44_1737:
	s_branch .LBB44_1770
.LBB44_1738:
	s_cmp_gt_i32 s47, 22
	s_cbranch_scc0 .LBB44_1748
; %bb.1739:
	s_cmp_lt_i32 s47, 24
	s_cbranch_scc1 .LBB44_1751
; %bb.1740:
	s_cmp_gt_i32 s47, 24
	s_cbranch_scc0 .LBB44_1752
; %bb.1741:
	global_load_u8 v2, v[0:1], off
	s_mov_b32 s2, exec_lo
	s_wait_loadcnt 0x0
	v_cmpx_lt_i16_e32 0x7f, v2
	s_xor_b32 s2, exec_lo, s2
	s_cbranch_execz .LBB44_1764
; %bb.1742:
	s_mov_b32 s1, -1
	s_mov_b32 s3, exec_lo
	v_cmpx_eq_u16_e32 0x80, v2
; %bb.1743:
	s_xor_b32 s1, exec_lo, -1
; %bb.1744:
	s_or_b32 exec_lo, exec_lo, s3
	s_delay_alu instid0(SALU_CYCLE_1)
	s_and_b32 s1, s1, exec_lo
	s_or_saveexec_b32 s2, s2
	v_mov_b32_e32 v43, 0x7f800001
	s_xor_b32 exec_lo, exec_lo, s2
	s_cbranch_execnz .LBB44_1765
.LBB44_1745:
	s_or_b32 exec_lo, exec_lo, s2
	s_and_saveexec_b32 s2, s1
	s_cbranch_execz .LBB44_1747
.LBB44_1746:
	v_and_b32_e32 v3, 0xffff, v2
	s_delay_alu instid0(VALU_DEP_1) | instskip(SKIP_1) | instid1(VALU_DEP_2)
	v_and_b32_e32 v4, 3, v3
	v_bfe_u32 v7, v3, 2, 5
	v_clz_i32_u32_e32 v5, v4
	s_delay_alu instid0(VALU_DEP_2) | instskip(NEXT) | instid1(VALU_DEP_2)
	v_cmp_eq_u32_e32 vcc_lo, 0, v7
	v_min_u32_e32 v5, 32, v5
	s_delay_alu instid0(VALU_DEP_1) | instskip(NEXT) | instid1(VALU_DEP_1)
	v_subrev_nc_u32_e32 v6, 29, v5
	v_dual_lshlrev_b32 v3, v6, v3 :: v_dual_sub_nc_u32 v5, 30, v5
	s_delay_alu instid0(VALU_DEP_1) | instskip(NEXT) | instid1(VALU_DEP_1)
	v_dual_lshlrev_b32 v2, 24, v2 :: v_dual_bitop2_b32 v3, 3, v3 bitop3:0x40
	v_dual_cndmask_b32 v5, v7, v5, vcc_lo :: v_dual_cndmask_b32 v3, v4, v3, vcc_lo
	s_delay_alu instid0(VALU_DEP_2) | instskip(NEXT) | instid1(VALU_DEP_2)
	v_and_b32_e32 v2, 0x80000000, v2
	v_lshl_add_u32 v4, v5, 23, 0x37800000
	s_delay_alu instid0(VALU_DEP_3) | instskip(NEXT) | instid1(VALU_DEP_1)
	v_lshlrev_b32_e32 v3, 21, v3
	v_or3_b32 v43, v2, v4, v3
.LBB44_1747:
	s_or_b32 exec_lo, exec_lo, s2
	s_mov_b32 s1, 0
	s_branch .LBB44_1753
.LBB44_1748:
	s_mov_b32 s1, -1
                                        ; implicit-def: $vgpr43
	s_branch .LBB44_1759
.LBB44_1749:
	s_or_saveexec_b32 s3, s3
	v_mov_b32_e32 v43, 0x7f800001
	s_xor_b32 exec_lo, exec_lo, s3
	s_cbranch_execz .LBB44_1733
.LBB44_1750:
	v_cmp_ne_u16_e32 vcc_lo, 0, v2
	v_mov_b32_e32 v43, 0
	s_and_not1_b32 s2, s2, exec_lo
	s_and_b32 s4, vcc_lo, exec_lo
	s_delay_alu instid0(SALU_CYCLE_1)
	s_or_b32 s2, s2, s4
	s_or_b32 exec_lo, exec_lo, s3
	s_and_saveexec_b32 s3, s2
	s_cbranch_execnz .LBB44_1734
	s_branch .LBB44_1735
.LBB44_1751:
	s_mov_b32 s1, -1
                                        ; implicit-def: $vgpr43
	s_branch .LBB44_1756
.LBB44_1752:
	s_mov_b32 s1, -1
                                        ; implicit-def: $vgpr43
.LBB44_1753:
	s_delay_alu instid0(SALU_CYCLE_1)
	s_and_b32 vcc_lo, exec_lo, s1
	s_cbranch_vccz .LBB44_1755
; %bb.1754:
	global_load_u8 v2, v[0:1], off
	s_wait_loadcnt 0x0
	v_lshlrev_b32_e32 v2, 24, v2
	s_delay_alu instid0(VALU_DEP_1) | instskip(NEXT) | instid1(VALU_DEP_1)
	v_and_b32_e32 v3, 0x7f000000, v2
	v_clz_i32_u32_e32 v4, v3
	v_cmp_ne_u32_e32 vcc_lo, 0, v3
	v_add_nc_u32_e32 v6, 0x1000000, v3
	s_delay_alu instid0(VALU_DEP_3) | instskip(NEXT) | instid1(VALU_DEP_1)
	v_min_u32_e32 v4, 32, v4
	v_sub_nc_u32_e64 v4, v4, 4 clamp
	s_delay_alu instid0(VALU_DEP_1) | instskip(NEXT) | instid1(VALU_DEP_1)
	v_dual_lshlrev_b32 v5, v4, v3 :: v_dual_lshlrev_b32 v4, 23, v4
	v_lshrrev_b32_e32 v5, 4, v5
	s_delay_alu instid0(VALU_DEP_1) | instskip(NEXT) | instid1(VALU_DEP_1)
	v_dual_sub_nc_u32 v4, v5, v4 :: v_dual_ashrrev_i32 v5, 8, v6
	v_add_nc_u32_e32 v4, 0x3c000000, v4
	s_delay_alu instid0(VALU_DEP_1) | instskip(NEXT) | instid1(VALU_DEP_1)
	v_and_or_b32 v4, 0x7f800000, v5, v4
	v_cndmask_b32_e32 v3, 0, v4, vcc_lo
	s_delay_alu instid0(VALU_DEP_1)
	v_and_or_b32 v43, 0x80000000, v2, v3
.LBB44_1755:
	s_mov_b32 s1, 0
.LBB44_1756:
	s_delay_alu instid0(SALU_CYCLE_1)
	s_and_not1_b32 vcc_lo, exec_lo, s1
	s_cbranch_vccnz .LBB44_1758
; %bb.1757:
	global_load_u8 v2, v[0:1], off
	s_wait_loadcnt 0x0
	v_lshlrev_b32_e32 v3, 25, v2
	v_lshlrev_b16 v2, 8, v2
	s_delay_alu instid0(VALU_DEP_1) | instskip(SKIP_1) | instid1(VALU_DEP_2)
	v_and_or_b32 v5, 0x7f00, v2, 0.5
	v_bfe_i32 v2, v2, 0, 16
	v_dual_add_f32 v5, -0.5, v5 :: v_dual_lshrrev_b32 v4, 4, v3
	v_cmp_gt_u32_e32 vcc_lo, 0x8000000, v3
	s_delay_alu instid0(VALU_DEP_2) | instskip(NEXT) | instid1(VALU_DEP_1)
	v_or_b32_e32 v4, 0x70000000, v4
	v_mul_f32_e32 v4, 0x7800000, v4
	s_delay_alu instid0(VALU_DEP_1) | instskip(NEXT) | instid1(VALU_DEP_1)
	v_cndmask_b32_e32 v3, v4, v5, vcc_lo
	v_and_or_b32 v43, 0x80000000, v2, v3
.LBB44_1758:
	s_mov_b32 s1, 0
	s_mov_b32 s2, -1
.LBB44_1759:
	s_and_not1_b32 vcc_lo, exec_lo, s1
	s_mov_b32 s1, 0
	s_cbranch_vccnz .LBB44_1770
; %bb.1760:
	s_cmp_gt_i32 s47, 14
	s_cbranch_scc0 .LBB44_1763
; %bb.1761:
	s_cmp_eq_u32 s47, 15
	s_cbranch_scc0 .LBB44_1766
; %bb.1762:
	global_load_u16 v2, v[0:1], off
	s_mov_b32 s0, 0
	s_mov_b32 s2, -1
	s_wait_loadcnt 0x0
	v_lshlrev_b32_e32 v43, 16, v2
	s_branch .LBB44_1768
.LBB44_1763:
	s_mov_b32 s1, -1
	s_branch .LBB44_1767
.LBB44_1764:
	s_or_saveexec_b32 s2, s2
	v_mov_b32_e32 v43, 0x7f800001
	s_xor_b32 exec_lo, exec_lo, s2
	s_cbranch_execz .LBB44_1745
.LBB44_1765:
	v_cmp_ne_u16_e32 vcc_lo, 0, v2
	v_mov_b32_e32 v43, 0
	s_and_not1_b32 s1, s1, exec_lo
	s_and_b32 s3, vcc_lo, exec_lo
	s_delay_alu instid0(SALU_CYCLE_1)
	s_or_b32 s1, s1, s3
	s_or_b32 exec_lo, exec_lo, s2
	s_and_saveexec_b32 s2, s1
	s_cbranch_execnz .LBB44_1746
	s_branch .LBB44_1747
.LBB44_1766:
	s_mov_b32 s0, -1
.LBB44_1767:
                                        ; implicit-def: $vgpr43
.LBB44_1768:
	s_and_b32 vcc_lo, exec_lo, s1
	s_mov_b32 s1, 0
	s_cbranch_vccz .LBB44_1770
; %bb.1769:
	s_cmp_lg_u32 s47, 11
	s_mov_b32 s1, -1
	s_cselect_b32 s0, -1, 0
.LBB44_1770:
	s_delay_alu instid0(SALU_CYCLE_1)
	s_and_b32 vcc_lo, exec_lo, s0
	s_cbranch_vccnz .LBB44_1837
; %bb.1771:
	s_and_not1_b32 vcc_lo, exec_lo, s1
	s_cbranch_vccnz .LBB44_1773
.LBB44_1772:
	global_load_u8 v2, v[0:1], off
	s_mov_b32 s2, -1
	s_wait_loadcnt 0x0
	v_cmp_ne_u16_e32 vcc_lo, 0, v2
	v_cndmask_b32_e64 v43, 0, 1.0, vcc_lo
.LBB44_1773:
	s_branch .LBB44_1699
.LBB44_1774:
	s_cmp_lt_i32 s47, 5
	s_cbranch_scc1 .LBB44_1779
; %bb.1775:
	s_cmp_lt_i32 s47, 8
	s_cbranch_scc1 .LBB44_1780
; %bb.1776:
	;; [unrolled: 3-line block ×3, first 2 shown]
	s_cmp_gt_i32 s47, 9
	s_cbranch_scc0 .LBB44_1782
; %bb.1778:
	global_load_b64 v[2:3], v[0:1], off
	s_mov_b32 s0, 0
	s_wait_loadcnt 0x0
	v_cvt_f32_f64_e32 v43, v[2:3]
	s_branch .LBB44_1783
.LBB44_1779:
                                        ; implicit-def: $vgpr43
	s_branch .LBB44_1801
.LBB44_1780:
	s_mov_b32 s0, -1
                                        ; implicit-def: $vgpr43
	s_branch .LBB44_1789
.LBB44_1781:
	s_mov_b32 s0, -1
                                        ; implicit-def: $vgpr43
	s_branch .LBB44_1786
.LBB44_1782:
	s_mov_b32 s0, -1
                                        ; implicit-def: $vgpr43
.LBB44_1783:
	s_delay_alu instid0(SALU_CYCLE_1)
	s_and_not1_b32 vcc_lo, exec_lo, s0
	s_cbranch_vccnz .LBB44_1785
; %bb.1784:
	global_load_b32 v43, v[0:1], off
.LBB44_1785:
	s_mov_b32 s0, 0
.LBB44_1786:
	s_delay_alu instid0(SALU_CYCLE_1)
	s_and_not1_b32 vcc_lo, exec_lo, s0
	s_cbranch_vccnz .LBB44_1788
; %bb.1787:
	global_load_b32 v2, v[0:1], off
	s_wait_loadcnt 0x0
	v_cvt_f32_f16_e32 v43, v2
.LBB44_1788:
	s_mov_b32 s0, 0
.LBB44_1789:
	s_delay_alu instid0(SALU_CYCLE_1)
	s_and_not1_b32 vcc_lo, exec_lo, s0
	s_cbranch_vccnz .LBB44_1800
; %bb.1790:
	s_cmp_lt_i32 s47, 6
	s_cbranch_scc1 .LBB44_1793
; %bb.1791:
	s_cmp_gt_i32 s47, 6
	s_cbranch_scc0 .LBB44_1794
; %bb.1792:
	global_load_b64 v[2:3], v[0:1], off
	s_mov_b32 s0, 0
	s_wait_loadcnt 0x0
	v_cvt_f32_f64_e32 v43, v[2:3]
	s_branch .LBB44_1795
.LBB44_1793:
	s_mov_b32 s0, -1
                                        ; implicit-def: $vgpr43
	s_branch .LBB44_1798
.LBB44_1794:
	s_mov_b32 s0, -1
                                        ; implicit-def: $vgpr43
.LBB44_1795:
	s_delay_alu instid0(SALU_CYCLE_1)
	s_and_not1_b32 vcc_lo, exec_lo, s0
	s_cbranch_vccnz .LBB44_1797
; %bb.1796:
	s_wait_loadcnt 0x0
	global_load_b32 v43, v[0:1], off
.LBB44_1797:
	s_mov_b32 s0, 0
.LBB44_1798:
	s_delay_alu instid0(SALU_CYCLE_1)
	s_and_not1_b32 vcc_lo, exec_lo, s0
	s_cbranch_vccnz .LBB44_1800
; %bb.1799:
	global_load_u16 v2, v[0:1], off
	s_wait_loadcnt 0x0
	v_cvt_f32_f16_e32 v43, v2
.LBB44_1800:
	s_cbranch_execnz .LBB44_1820
.LBB44_1801:
	s_cmp_lt_i32 s47, 2
	s_cbranch_scc1 .LBB44_1805
; %bb.1802:
	s_cmp_lt_i32 s47, 3
	s_cbranch_scc1 .LBB44_1806
; %bb.1803:
	s_cmp_gt_i32 s47, 3
	s_cbranch_scc0 .LBB44_1807
; %bb.1804:
	global_load_b64 v[2:3], v[0:1], off
	s_mov_b32 s0, 0
	s_wait_loadcnt 0x0
	v_xor_b32_e32 v4, v2, v3
	v_cls_i32_e32 v5, v3
	s_delay_alu instid0(VALU_DEP_2) | instskip(NEXT) | instid1(VALU_DEP_1)
	v_ashrrev_i32_e32 v4, 31, v4
	v_add_nc_u32_e32 v4, 32, v4
	s_delay_alu instid0(VALU_DEP_1) | instskip(NEXT) | instid1(VALU_DEP_1)
	v_add_min_u32_e64 v4, v5, -1, v4
	v_lshlrev_b64_e32 v[2:3], v4, v[2:3]
	s_delay_alu instid0(VALU_DEP_1) | instskip(NEXT) | instid1(VALU_DEP_1)
	v_min_u32_e32 v2, 1, v2
	v_dual_sub_nc_u32 v3, 32, v4 :: v_dual_bitop2_b32 v2, v3, v2 bitop3:0x54
	s_delay_alu instid0(VALU_DEP_1) | instskip(NEXT) | instid1(VALU_DEP_1)
	v_cvt_f32_i32_e32 v2, v2
	v_ldexp_f32 v43, v2, v3
	s_branch .LBB44_1808
.LBB44_1805:
	s_mov_b32 s0, -1
                                        ; implicit-def: $vgpr43
	s_branch .LBB44_1814
.LBB44_1806:
	s_mov_b32 s0, -1
                                        ; implicit-def: $vgpr43
	s_branch .LBB44_1811
.LBB44_1807:
	s_mov_b32 s0, -1
                                        ; implicit-def: $vgpr43
.LBB44_1808:
	s_delay_alu instid0(SALU_CYCLE_1)
	s_and_not1_b32 vcc_lo, exec_lo, s0
	s_cbranch_vccnz .LBB44_1810
; %bb.1809:
	global_load_b32 v2, v[0:1], off
	s_wait_loadcnt 0x0
	v_cvt_f32_i32_e32 v43, v2
.LBB44_1810:
	s_mov_b32 s0, 0
.LBB44_1811:
	s_delay_alu instid0(SALU_CYCLE_1)
	s_and_not1_b32 vcc_lo, exec_lo, s0
	s_cbranch_vccnz .LBB44_1813
; %bb.1812:
	global_load_i16 v2, v[0:1], off
	s_wait_loadcnt 0x0
	v_cvt_f32_i32_e32 v43, v2
.LBB44_1813:
	s_mov_b32 s0, 0
.LBB44_1814:
	s_delay_alu instid0(SALU_CYCLE_1)
	s_and_not1_b32 vcc_lo, exec_lo, s0
	s_cbranch_vccnz .LBB44_1820
; %bb.1815:
	s_cmp_gt_i32 s47, 0
	s_mov_b32 s0, 0
	s_cbranch_scc0 .LBB44_1817
; %bb.1816:
	global_load_i8 v2, v[0:1], off
	s_wait_loadcnt 0x0
	v_cvt_f32_i32_e32 v43, v2
	s_branch .LBB44_1818
.LBB44_1817:
	s_mov_b32 s0, -1
                                        ; implicit-def: $vgpr43
.LBB44_1818:
	s_delay_alu instid0(SALU_CYCLE_1)
	s_and_not1_b32 vcc_lo, exec_lo, s0
	s_cbranch_vccnz .LBB44_1820
; %bb.1819:
	global_load_u8 v0, v[0:1], off
	s_wait_loadcnt 0x0
	v_cvt_f32_ubyte0_e32 v43, v0
.LBB44_1820:
.LBB44_1821:
	s_bitcmp1_b32 s51, 0
                                        ; implicit-def: $vgpr42
	s_cselect_b32 s0, -1, 0
	s_delay_alu instid0(SALU_CYCLE_1)
	s_xor_b32 s51, s0, -1
	s_mov_b32 s0, -1
	s_and_b32 vcc_lo, exec_lo, s51
	s_cbranch_vccz .LBB44_1823
; %bb.1822:
	s_wait_loadcnt 0x0
	s_delay_alu instid0(VALU_DEP_1) | instskip(SKIP_2) | instid1(SALU_CYCLE_1)
	v_dual_mov_b32 v0, v40 :: v_dual_mov_b32 v1, v43
	s_get_pc_i64 s[0:1]
	s_add_nc_u64 s[0:1], s[0:1], _ZN12_GLOBAL__N_111calc_igammaIfEET_S1_S1_@rel64+4
	s_swap_pc_i64 s[30:31], s[0:1]
	s_delay_alu instid0(VALU_DEP_1)
	v_mov_b32_e32 v42, v0
	s_mov_b32 s0, 0
.LBB44_1823:
	s_delay_alu instid0(SALU_CYCLE_1)
	s_and_not1_b32 vcc_lo, exec_lo, s0
	s_cbranch_vccnz .LBB44_1825
; %bb.1824:
	s_wait_loadcnt 0x0
	s_delay_alu instid0(VALU_DEP_1) | instskip(SKIP_2) | instid1(SALU_CYCLE_1)
	v_dual_mov_b32 v0, v40 :: v_dual_mov_b32 v1, v43
	s_get_pc_i64 s[0:1]
	s_add_nc_u64 s[0:1], s[0:1], _ZN12_GLOBAL__N_112calc_igammacIfEET_S1_S1_@rel64+4
	s_swap_pc_i64 s[30:31], s[0:1]
	s_delay_alu instid0(VALU_DEP_1)
	v_mov_b32_e32 v42, v0
.LBB44_1825:
	s_lshl_b32 s49, s49, 7
	s_cmp_lt_i32 s53, 11
	v_add_nc_u32_e32 v56, s49, v44
	s_delay_alu instid0(VALU_DEP_1) | instskip(SKIP_1) | instid1(VALU_DEP_1)
	v_ashrrev_i32_e32 v57, 31, v56
	s_wait_xcnt 0x0
	v_add_nc_u64_e32 v[0:1], s[38:39], v[56:57]
	s_cbranch_scc1 .LBB44_1832
; %bb.1826:
	s_and_b32 s0, 0xffff, s53
	s_mov_b32 s2, 0
	s_cmp_gt_i32 s0, 25
	s_cbranch_scc0 .LBB44_1834
; %bb.1827:
	s_cmp_gt_i32 s0, 28
	s_cbranch_scc0 .LBB44_1835
; %bb.1828:
	;; [unrolled: 3-line block ×4, first 2 shown]
	s_cmp_eq_u32 s0, 46
	s_mov_b32 s4, 0
	s_cbranch_scc0 .LBB44_1839
; %bb.1831:
	global_load_b32 v2, v[0:1], off
	s_mov_b32 s1, 0
	s_mov_b32 s3, -1
	s_wait_loadcnt 0x0
	v_lshlrev_b32_e32 v40, 16, v2
	s_branch .LBB44_1841
.LBB44_1832:
	s_mov_b32 s3, 0
                                        ; implicit-def: $vgpr40
	s_cbranch_execnz .LBB44_1907
.LBB44_1833:
	s_and_not1_b32 vcc_lo, exec_lo, s3
	s_cbranch_vccnz .LBB44_2624
	s_branch .LBB44_1955
.LBB44_1834:
	s_mov_b32 s4, -1
	s_mov_b32 s3, 0
	s_mov_b32 s1, 0
                                        ; implicit-def: $vgpr40
	s_branch .LBB44_1870
.LBB44_1835:
	s_mov_b32 s4, -1
	s_mov_b32 s3, 0
	s_mov_b32 s1, 0
                                        ; implicit-def: $vgpr40
	s_branch .LBB44_1851
.LBB44_1836:
	s_mov_b32 s4, -1
	s_mov_b32 s3, 0
	s_mov_b32 s1, 0
                                        ; implicit-def: $vgpr40
	s_branch .LBB44_1846
.LBB44_1837:
	s_or_b32 s52, s52, exec_lo
	s_trap 2
	s_cbranch_execz .LBB44_1772
	s_branch .LBB44_1773
.LBB44_1838:
	s_mov_b32 s4, -1
	s_mov_b32 s3, 0
	s_mov_b32 s1, 0
	s_branch .LBB44_1840
.LBB44_1839:
	s_mov_b32 s1, -1
	s_mov_b32 s3, 0
.LBB44_1840:
                                        ; implicit-def: $vgpr40
.LBB44_1841:
	s_and_b32 vcc_lo, exec_lo, s4
	s_cbranch_vccz .LBB44_1845
; %bb.1842:
	s_cmp_eq_u32 s0, 44
	s_cbranch_scc0 .LBB44_1844
; %bb.1843:
	global_load_u8 v2, v[0:1], off
	s_mov_b32 s1, 0
	s_mov_b32 s3, -1
	s_wait_loadcnt 0x0
	v_lshlrev_b32_e32 v3, 23, v2
	v_cmp_ne_u32_e32 vcc_lo, 0xff, v2
	s_delay_alu instid0(VALU_DEP_2) | instskip(SKIP_1) | instid1(VALU_DEP_2)
	v_cndmask_b32_e32 v3, 0x7f800001, v3, vcc_lo
	v_cmp_ne_u32_e32 vcc_lo, 0, v2
	v_cndmask_b32_e32 v40, 0x400000, v3, vcc_lo
	s_branch .LBB44_1845
.LBB44_1844:
	s_mov_b32 s1, -1
                                        ; implicit-def: $vgpr40
.LBB44_1845:
	s_mov_b32 s4, 0
.LBB44_1846:
	s_delay_alu instid0(SALU_CYCLE_1)
	s_and_b32 vcc_lo, exec_lo, s4
	s_cbranch_vccz .LBB44_1850
; %bb.1847:
	s_cmp_eq_u32 s0, 29
	s_cbranch_scc0 .LBB44_1849
; %bb.1848:
	global_load_b64 v[2:3], v[0:1], off
	s_mov_b32 s1, 0
	s_mov_b32 s3, -1
	s_mov_b32 s4, 0
	s_wait_loadcnt 0x0
	v_clz_i32_u32_e32 v4, v3
	s_delay_alu instid0(VALU_DEP_1) | instskip(NEXT) | instid1(VALU_DEP_1)
	v_min_u32_e32 v4, 32, v4
	v_lshlrev_b64_e32 v[2:3], v4, v[2:3]
	s_delay_alu instid0(VALU_DEP_1) | instskip(NEXT) | instid1(VALU_DEP_1)
	v_min_u32_e32 v2, 1, v2
	v_dual_sub_nc_u32 v3, 32, v4 :: v_dual_bitop2_b32 v2, v3, v2 bitop3:0x54
	s_delay_alu instid0(VALU_DEP_1) | instskip(NEXT) | instid1(VALU_DEP_1)
	v_cvt_f32_u32_e32 v2, v2
	v_ldexp_f32 v40, v2, v3
	s_branch .LBB44_1851
.LBB44_1849:
	s_mov_b32 s1, -1
                                        ; implicit-def: $vgpr40
.LBB44_1850:
	s_mov_b32 s4, 0
.LBB44_1851:
	s_delay_alu instid0(SALU_CYCLE_1)
	s_and_b32 vcc_lo, exec_lo, s4
	s_cbranch_vccz .LBB44_1869
; %bb.1852:
	s_cmp_lt_i32 s0, 27
	s_cbranch_scc1 .LBB44_1855
; %bb.1853:
	s_cmp_gt_i32 s0, 27
	s_cbranch_scc0 .LBB44_1856
; %bb.1854:
	global_load_b32 v2, v[0:1], off
	s_mov_b32 s3, 0
	s_wait_loadcnt 0x0
	v_cvt_f32_u32_e32 v40, v2
	s_branch .LBB44_1857
.LBB44_1855:
	s_mov_b32 s3, -1
                                        ; implicit-def: $vgpr40
	s_branch .LBB44_1860
.LBB44_1856:
	s_mov_b32 s3, -1
                                        ; implicit-def: $vgpr40
.LBB44_1857:
	s_delay_alu instid0(SALU_CYCLE_1)
	s_and_not1_b32 vcc_lo, exec_lo, s3
	s_cbranch_vccnz .LBB44_1859
; %bb.1858:
	global_load_u16 v2, v[0:1], off
	s_wait_loadcnt 0x0
	v_cvt_f32_u32_e32 v40, v2
.LBB44_1859:
	s_mov_b32 s3, 0
.LBB44_1860:
	s_delay_alu instid0(SALU_CYCLE_1)
	s_and_not1_b32 vcc_lo, exec_lo, s3
	s_cbranch_vccnz .LBB44_1868
; %bb.1861:
	global_load_u8 v2, v[0:1], off
	s_mov_b32 s3, 0
	s_mov_b32 s4, exec_lo
	s_wait_loadcnt 0x0
	v_cmpx_lt_i16_e32 0x7f, v2
	s_xor_b32 s4, exec_lo, s4
	s_cbranch_execz .LBB44_1882
; %bb.1862:
	s_mov_b32 s3, -1
	s_mov_b32 s5, exec_lo
	v_cmpx_eq_u16_e32 0x80, v2
; %bb.1863:
	s_xor_b32 s3, exec_lo, -1
; %bb.1864:
	s_or_b32 exec_lo, exec_lo, s5
	s_delay_alu instid0(SALU_CYCLE_1)
	s_and_b32 s3, s3, exec_lo
	s_or_saveexec_b32 s4, s4
	v_mov_b32_e32 v40, 0x7f800001
	s_xor_b32 exec_lo, exec_lo, s4
	s_cbranch_execnz .LBB44_1883
.LBB44_1865:
	s_or_b32 exec_lo, exec_lo, s4
	s_and_saveexec_b32 s4, s3
	s_cbranch_execz .LBB44_1867
.LBB44_1866:
	v_and_b32_e32 v3, 0xffff, v2
	s_delay_alu instid0(VALU_DEP_1) | instskip(SKIP_1) | instid1(VALU_DEP_2)
	v_and_b32_e32 v4, 7, v3
	v_bfe_u32 v7, v3, 3, 4
	v_clz_i32_u32_e32 v5, v4
	s_delay_alu instid0(VALU_DEP_2) | instskip(NEXT) | instid1(VALU_DEP_2)
	v_cmp_eq_u32_e32 vcc_lo, 0, v7
	v_min_u32_e32 v5, 32, v5
	s_delay_alu instid0(VALU_DEP_1) | instskip(NEXT) | instid1(VALU_DEP_1)
	v_subrev_nc_u32_e32 v6, 28, v5
	v_dual_lshlrev_b32 v3, v6, v3 :: v_dual_sub_nc_u32 v5, 29, v5
	s_delay_alu instid0(VALU_DEP_1) | instskip(NEXT) | instid1(VALU_DEP_1)
	v_dual_lshlrev_b32 v2, 24, v2 :: v_dual_bitop2_b32 v3, 7, v3 bitop3:0x40
	v_dual_cndmask_b32 v5, v7, v5, vcc_lo :: v_dual_cndmask_b32 v3, v4, v3, vcc_lo
	s_delay_alu instid0(VALU_DEP_2) | instskip(NEXT) | instid1(VALU_DEP_2)
	v_and_b32_e32 v2, 0x80000000, v2
	v_lshl_add_u32 v4, v5, 23, 0x3b800000
	s_delay_alu instid0(VALU_DEP_3) | instskip(NEXT) | instid1(VALU_DEP_1)
	v_lshlrev_b32_e32 v3, 20, v3
	v_or3_b32 v40, v2, v4, v3
.LBB44_1867:
	s_or_b32 exec_lo, exec_lo, s4
.LBB44_1868:
	s_mov_b32 s3, -1
.LBB44_1869:
	s_mov_b32 s4, 0
.LBB44_1870:
	s_delay_alu instid0(SALU_CYCLE_1)
	s_and_b32 vcc_lo, exec_lo, s4
	s_cbranch_vccz .LBB44_1903
; %bb.1871:
	s_cmp_gt_i32 s0, 22
	s_cbranch_scc0 .LBB44_1881
; %bb.1872:
	s_cmp_lt_i32 s0, 24
	s_cbranch_scc1 .LBB44_1884
; %bb.1873:
	s_cmp_gt_i32 s0, 24
	s_cbranch_scc0 .LBB44_1885
; %bb.1874:
	global_load_u8 v2, v[0:1], off
	s_mov_b32 s3, exec_lo
	s_wait_loadcnt 0x0
	v_cmpx_lt_i16_e32 0x7f, v2
	s_xor_b32 s3, exec_lo, s3
	s_cbranch_execz .LBB44_1897
; %bb.1875:
	s_mov_b32 s2, -1
	s_mov_b32 s4, exec_lo
	v_cmpx_eq_u16_e32 0x80, v2
; %bb.1876:
	s_xor_b32 s2, exec_lo, -1
; %bb.1877:
	s_or_b32 exec_lo, exec_lo, s4
	s_delay_alu instid0(SALU_CYCLE_1)
	s_and_b32 s2, s2, exec_lo
	s_or_saveexec_b32 s3, s3
	v_mov_b32_e32 v40, 0x7f800001
	s_xor_b32 exec_lo, exec_lo, s3
	s_cbranch_execnz .LBB44_1898
.LBB44_1878:
	s_or_b32 exec_lo, exec_lo, s3
	s_and_saveexec_b32 s3, s2
	s_cbranch_execz .LBB44_1880
.LBB44_1879:
	v_and_b32_e32 v3, 0xffff, v2
	s_delay_alu instid0(VALU_DEP_1) | instskip(SKIP_1) | instid1(VALU_DEP_2)
	v_and_b32_e32 v4, 3, v3
	v_bfe_u32 v7, v3, 2, 5
	v_clz_i32_u32_e32 v5, v4
	s_delay_alu instid0(VALU_DEP_2) | instskip(NEXT) | instid1(VALU_DEP_2)
	v_cmp_eq_u32_e32 vcc_lo, 0, v7
	v_min_u32_e32 v5, 32, v5
	s_delay_alu instid0(VALU_DEP_1) | instskip(NEXT) | instid1(VALU_DEP_1)
	v_subrev_nc_u32_e32 v6, 29, v5
	v_dual_lshlrev_b32 v3, v6, v3 :: v_dual_sub_nc_u32 v5, 30, v5
	s_delay_alu instid0(VALU_DEP_1) | instskip(NEXT) | instid1(VALU_DEP_1)
	v_dual_lshlrev_b32 v2, 24, v2 :: v_dual_bitop2_b32 v3, 3, v3 bitop3:0x40
	v_dual_cndmask_b32 v5, v7, v5, vcc_lo :: v_dual_cndmask_b32 v3, v4, v3, vcc_lo
	s_delay_alu instid0(VALU_DEP_2) | instskip(NEXT) | instid1(VALU_DEP_2)
	v_and_b32_e32 v2, 0x80000000, v2
	v_lshl_add_u32 v4, v5, 23, 0x37800000
	s_delay_alu instid0(VALU_DEP_3) | instskip(NEXT) | instid1(VALU_DEP_1)
	v_lshlrev_b32_e32 v3, 21, v3
	v_or3_b32 v40, v2, v4, v3
.LBB44_1880:
	s_or_b32 exec_lo, exec_lo, s3
	s_mov_b32 s2, 0
	s_branch .LBB44_1886
.LBB44_1881:
	s_mov_b32 s2, -1
                                        ; implicit-def: $vgpr40
	s_branch .LBB44_1892
.LBB44_1882:
	s_or_saveexec_b32 s4, s4
	v_mov_b32_e32 v40, 0x7f800001
	s_xor_b32 exec_lo, exec_lo, s4
	s_cbranch_execz .LBB44_1865
.LBB44_1883:
	v_cmp_ne_u16_e32 vcc_lo, 0, v2
	v_mov_b32_e32 v40, 0
	s_and_not1_b32 s3, s3, exec_lo
	s_and_b32 s5, vcc_lo, exec_lo
	s_delay_alu instid0(SALU_CYCLE_1)
	s_or_b32 s3, s3, s5
	s_or_b32 exec_lo, exec_lo, s4
	s_and_saveexec_b32 s4, s3
	s_cbranch_execnz .LBB44_1866
	s_branch .LBB44_1867
.LBB44_1884:
	s_mov_b32 s2, -1
                                        ; implicit-def: $vgpr40
	s_branch .LBB44_1889
.LBB44_1885:
	s_mov_b32 s2, -1
                                        ; implicit-def: $vgpr40
.LBB44_1886:
	s_delay_alu instid0(SALU_CYCLE_1)
	s_and_b32 vcc_lo, exec_lo, s2
	s_cbranch_vccz .LBB44_1888
; %bb.1887:
	global_load_u8 v2, v[0:1], off
	s_wait_loadcnt 0x0
	v_lshlrev_b32_e32 v2, 24, v2
	s_delay_alu instid0(VALU_DEP_1) | instskip(NEXT) | instid1(VALU_DEP_1)
	v_and_b32_e32 v3, 0x7f000000, v2
	v_clz_i32_u32_e32 v4, v3
	v_cmp_ne_u32_e32 vcc_lo, 0, v3
	v_add_nc_u32_e32 v6, 0x1000000, v3
	s_delay_alu instid0(VALU_DEP_3) | instskip(NEXT) | instid1(VALU_DEP_1)
	v_min_u32_e32 v4, 32, v4
	v_sub_nc_u32_e64 v4, v4, 4 clamp
	s_delay_alu instid0(VALU_DEP_1) | instskip(NEXT) | instid1(VALU_DEP_1)
	v_dual_lshlrev_b32 v5, v4, v3 :: v_dual_lshlrev_b32 v4, 23, v4
	v_lshrrev_b32_e32 v5, 4, v5
	s_delay_alu instid0(VALU_DEP_1) | instskip(NEXT) | instid1(VALU_DEP_1)
	v_dual_sub_nc_u32 v4, v5, v4 :: v_dual_ashrrev_i32 v5, 8, v6
	v_add_nc_u32_e32 v4, 0x3c000000, v4
	s_delay_alu instid0(VALU_DEP_1) | instskip(NEXT) | instid1(VALU_DEP_1)
	v_and_or_b32 v4, 0x7f800000, v5, v4
	v_cndmask_b32_e32 v3, 0, v4, vcc_lo
	s_delay_alu instid0(VALU_DEP_1)
	v_and_or_b32 v40, 0x80000000, v2, v3
.LBB44_1888:
	s_mov_b32 s2, 0
.LBB44_1889:
	s_delay_alu instid0(SALU_CYCLE_1)
	s_and_not1_b32 vcc_lo, exec_lo, s2
	s_cbranch_vccnz .LBB44_1891
; %bb.1890:
	global_load_u8 v2, v[0:1], off
	s_wait_loadcnt 0x0
	v_lshlrev_b32_e32 v3, 25, v2
	v_lshlrev_b16 v2, 8, v2
	s_delay_alu instid0(VALU_DEP_1) | instskip(SKIP_1) | instid1(VALU_DEP_2)
	v_and_or_b32 v5, 0x7f00, v2, 0.5
	v_bfe_i32 v2, v2, 0, 16
	v_dual_add_f32 v5, -0.5, v5 :: v_dual_lshrrev_b32 v4, 4, v3
	v_cmp_gt_u32_e32 vcc_lo, 0x8000000, v3
	s_delay_alu instid0(VALU_DEP_2) | instskip(NEXT) | instid1(VALU_DEP_1)
	v_or_b32_e32 v4, 0x70000000, v4
	v_mul_f32_e32 v4, 0x7800000, v4
	s_delay_alu instid0(VALU_DEP_1) | instskip(NEXT) | instid1(VALU_DEP_1)
	v_cndmask_b32_e32 v3, v4, v5, vcc_lo
	v_and_or_b32 v40, 0x80000000, v2, v3
.LBB44_1891:
	s_mov_b32 s2, 0
	s_mov_b32 s3, -1
.LBB44_1892:
	s_and_not1_b32 vcc_lo, exec_lo, s2
	s_mov_b32 s2, 0
	s_cbranch_vccnz .LBB44_1903
; %bb.1893:
	s_cmp_gt_i32 s0, 14
	s_cbranch_scc0 .LBB44_1896
; %bb.1894:
	s_cmp_eq_u32 s0, 15
	s_cbranch_scc0 .LBB44_1899
; %bb.1895:
	global_load_u16 v2, v[0:1], off
	s_mov_b32 s1, 0
	s_mov_b32 s3, -1
	s_wait_loadcnt 0x0
	v_lshlrev_b32_e32 v40, 16, v2
	s_branch .LBB44_1901
.LBB44_1896:
	s_mov_b32 s2, -1
	s_branch .LBB44_1900
.LBB44_1897:
	s_or_saveexec_b32 s3, s3
	v_mov_b32_e32 v40, 0x7f800001
	s_xor_b32 exec_lo, exec_lo, s3
	s_cbranch_execz .LBB44_1878
.LBB44_1898:
	v_cmp_ne_u16_e32 vcc_lo, 0, v2
	v_mov_b32_e32 v40, 0
	s_and_not1_b32 s2, s2, exec_lo
	s_and_b32 s4, vcc_lo, exec_lo
	s_delay_alu instid0(SALU_CYCLE_1)
	s_or_b32 s2, s2, s4
	s_or_b32 exec_lo, exec_lo, s3
	s_and_saveexec_b32 s3, s2
	s_cbranch_execnz .LBB44_1879
	s_branch .LBB44_1880
.LBB44_1899:
	s_mov_b32 s1, -1
.LBB44_1900:
                                        ; implicit-def: $vgpr40
.LBB44_1901:
	s_and_b32 vcc_lo, exec_lo, s2
	s_mov_b32 s2, 0
	s_cbranch_vccz .LBB44_1903
; %bb.1902:
	s_cmp_lg_u32 s0, 11
	s_mov_b32 s2, -1
	s_cselect_b32 s1, -1, 0
.LBB44_1903:
	s_delay_alu instid0(SALU_CYCLE_1)
	s_and_b32 vcc_lo, exec_lo, s1
	s_cbranch_vccnz .LBB44_1966
; %bb.1904:
	s_and_not1_b32 vcc_lo, exec_lo, s2
	s_cbranch_vccnz .LBB44_1906
.LBB44_1905:
	global_load_u8 v2, v[0:1], off
	s_mov_b32 s3, -1
	s_wait_loadcnt 0x0
	v_cmp_ne_u16_e32 vcc_lo, 0, v2
	v_cndmask_b32_e64 v40, 0, 1.0, vcc_lo
.LBB44_1906:
	s_branch .LBB44_1833
.LBB44_1907:
	s_and_b32 s0, 0xffff, s53
	s_delay_alu instid0(SALU_CYCLE_1)
	s_cmp_lt_i32 s0, 5
	s_cbranch_scc1 .LBB44_1912
; %bb.1908:
	s_cmp_lt_i32 s0, 8
	s_cbranch_scc1 .LBB44_1913
; %bb.1909:
	s_cmp_lt_i32 s0, 9
	s_cbranch_scc1 .LBB44_1914
; %bb.1910:
	s_cmp_gt_i32 s0, 9
	s_cbranch_scc0 .LBB44_1915
; %bb.1911:
	global_load_b64 v[2:3], v[0:1], off
	s_mov_b32 s1, 0
	s_wait_loadcnt 0x0
	v_cvt_f32_f64_e32 v40, v[2:3]
	s_branch .LBB44_1916
.LBB44_1912:
	s_mov_b32 s1, -1
                                        ; implicit-def: $vgpr40
	s_branch .LBB44_1934
.LBB44_1913:
	s_mov_b32 s1, -1
                                        ; implicit-def: $vgpr40
	s_branch .LBB44_1922
.LBB44_1914:
	s_mov_b32 s1, -1
                                        ; implicit-def: $vgpr40
	s_branch .LBB44_1919
.LBB44_1915:
	s_mov_b32 s1, -1
                                        ; implicit-def: $vgpr40
.LBB44_1916:
	s_delay_alu instid0(SALU_CYCLE_1)
	s_and_not1_b32 vcc_lo, exec_lo, s1
	s_cbranch_vccnz .LBB44_1918
; %bb.1917:
	s_wait_loadcnt 0x0
	global_load_b32 v40, v[0:1], off
.LBB44_1918:
	s_mov_b32 s1, 0
.LBB44_1919:
	s_delay_alu instid0(SALU_CYCLE_1)
	s_and_not1_b32 vcc_lo, exec_lo, s1
	s_cbranch_vccnz .LBB44_1921
; %bb.1920:
	global_load_b32 v2, v[0:1], off
	s_wait_loadcnt 0x0
	v_cvt_f32_f16_e32 v40, v2
.LBB44_1921:
	s_mov_b32 s1, 0
.LBB44_1922:
	s_delay_alu instid0(SALU_CYCLE_1)
	s_and_not1_b32 vcc_lo, exec_lo, s1
	s_cbranch_vccnz .LBB44_1933
; %bb.1923:
	s_cmp_lt_i32 s0, 6
	s_cbranch_scc1 .LBB44_1926
; %bb.1924:
	s_cmp_gt_i32 s0, 6
	s_cbranch_scc0 .LBB44_1927
; %bb.1925:
	global_load_b64 v[2:3], v[0:1], off
	s_mov_b32 s1, 0
	s_wait_loadcnt 0x0
	v_cvt_f32_f64_e32 v40, v[2:3]
	s_branch .LBB44_1928
.LBB44_1926:
	s_mov_b32 s1, -1
                                        ; implicit-def: $vgpr40
	s_branch .LBB44_1931
.LBB44_1927:
	s_mov_b32 s1, -1
                                        ; implicit-def: $vgpr40
.LBB44_1928:
	s_delay_alu instid0(SALU_CYCLE_1)
	s_and_not1_b32 vcc_lo, exec_lo, s1
	s_cbranch_vccnz .LBB44_1930
; %bb.1929:
	s_wait_loadcnt 0x0
	global_load_b32 v40, v[0:1], off
.LBB44_1930:
	s_mov_b32 s1, 0
.LBB44_1931:
	s_delay_alu instid0(SALU_CYCLE_1)
	s_and_not1_b32 vcc_lo, exec_lo, s1
	s_cbranch_vccnz .LBB44_1933
; %bb.1932:
	global_load_u16 v2, v[0:1], off
	s_wait_loadcnt 0x0
	v_cvt_f32_f16_e32 v40, v2
.LBB44_1933:
	s_mov_b32 s1, 0
.LBB44_1934:
	s_delay_alu instid0(SALU_CYCLE_1)
	s_and_not1_b32 vcc_lo, exec_lo, s1
	s_cbranch_vccnz .LBB44_1954
; %bb.1935:
	s_cmp_lt_i32 s0, 2
	s_cbranch_scc1 .LBB44_1939
; %bb.1936:
	s_cmp_lt_i32 s0, 3
	s_cbranch_scc1 .LBB44_1940
; %bb.1937:
	s_cmp_gt_i32 s0, 3
	s_cbranch_scc0 .LBB44_1941
; %bb.1938:
	global_load_b64 v[2:3], v[0:1], off
	s_mov_b32 s1, 0
	s_wait_loadcnt 0x0
	v_xor_b32_e32 v4, v2, v3
	v_cls_i32_e32 v5, v3
	s_delay_alu instid0(VALU_DEP_2) | instskip(NEXT) | instid1(VALU_DEP_1)
	v_ashrrev_i32_e32 v4, 31, v4
	v_add_nc_u32_e32 v4, 32, v4
	s_delay_alu instid0(VALU_DEP_1) | instskip(NEXT) | instid1(VALU_DEP_1)
	v_add_min_u32_e64 v4, v5, -1, v4
	v_lshlrev_b64_e32 v[2:3], v4, v[2:3]
	s_delay_alu instid0(VALU_DEP_1) | instskip(NEXT) | instid1(VALU_DEP_1)
	v_min_u32_e32 v2, 1, v2
	v_dual_sub_nc_u32 v3, 32, v4 :: v_dual_bitop2_b32 v2, v3, v2 bitop3:0x54
	s_delay_alu instid0(VALU_DEP_1) | instskip(NEXT) | instid1(VALU_DEP_1)
	v_cvt_f32_i32_e32 v2, v2
	v_ldexp_f32 v40, v2, v3
	s_branch .LBB44_1942
.LBB44_1939:
	s_mov_b32 s1, -1
                                        ; implicit-def: $vgpr40
	s_branch .LBB44_1948
.LBB44_1940:
	s_mov_b32 s1, -1
                                        ; implicit-def: $vgpr40
	s_branch .LBB44_1945
.LBB44_1941:
	s_mov_b32 s1, -1
                                        ; implicit-def: $vgpr40
.LBB44_1942:
	s_delay_alu instid0(SALU_CYCLE_1)
	s_and_not1_b32 vcc_lo, exec_lo, s1
	s_cbranch_vccnz .LBB44_1944
; %bb.1943:
	global_load_b32 v2, v[0:1], off
	s_wait_loadcnt 0x0
	v_cvt_f32_i32_e32 v40, v2
.LBB44_1944:
	s_mov_b32 s1, 0
.LBB44_1945:
	s_delay_alu instid0(SALU_CYCLE_1)
	s_and_not1_b32 vcc_lo, exec_lo, s1
	s_cbranch_vccnz .LBB44_1947
; %bb.1946:
	global_load_i16 v2, v[0:1], off
	s_wait_loadcnt 0x0
	v_cvt_f32_i32_e32 v40, v2
.LBB44_1947:
	s_mov_b32 s1, 0
.LBB44_1948:
	s_delay_alu instid0(SALU_CYCLE_1)
	s_and_not1_b32 vcc_lo, exec_lo, s1
	s_cbranch_vccnz .LBB44_1954
; %bb.1949:
	s_cmp_gt_i32 s0, 0
	s_mov_b32 s0, 0
	s_cbranch_scc0 .LBB44_1951
; %bb.1950:
	global_load_i8 v2, v[0:1], off
	s_wait_loadcnt 0x0
	v_cvt_f32_i32_e32 v40, v2
	s_branch .LBB44_1952
.LBB44_1951:
	s_mov_b32 s0, -1
                                        ; implicit-def: $vgpr40
.LBB44_1952:
	s_delay_alu instid0(SALU_CYCLE_1)
	s_and_not1_b32 vcc_lo, exec_lo, s0
	s_cbranch_vccnz .LBB44_1954
; %bb.1953:
	global_load_u8 v0, v[0:1], off
	s_wait_loadcnt 0x0
	v_cvt_f32_ubyte0_e32 v40, v0
.LBB44_1954:
.LBB44_1955:
	s_lshl_b32 s50, s50, 7
	s_cmp_lt_i32 s47, 11
	v_add_nc_u32_e32 v46, s50, v46
	s_delay_alu instid0(VALU_DEP_1) | instskip(SKIP_1) | instid1(VALU_DEP_1)
	v_ashrrev_i32_e32 v47, 31, v46
	s_wait_xcnt 0x0
	v_add_nc_u64_e32 v[0:1], s[34:35], v[46:47]
	s_cbranch_scc1 .LBB44_1962
; %bb.1956:
	s_cmp_gt_i32 s47, 25
	s_mov_b32 s1, 0
	s_cbranch_scc0 .LBB44_1963
; %bb.1957:
	s_cmp_gt_i32 s47, 28
	s_cbranch_scc0 .LBB44_1964
; %bb.1958:
	s_cmp_gt_i32 s47, 43
	;; [unrolled: 3-line block ×3, first 2 shown]
	s_cbranch_scc0 .LBB44_1967
; %bb.1960:
	s_cmp_eq_u32 s47, 46
	s_mov_b32 s3, 0
	s_cbranch_scc0 .LBB44_1968
; %bb.1961:
	global_load_b32 v2, v[0:1], off
	s_mov_b32 s0, 0
	s_mov_b32 s2, -1
	s_wait_loadcnt 0x0
	v_lshlrev_b32_e32 v43, 16, v2
	s_branch .LBB44_1970
.LBB44_1962:
	s_mov_b32 s0, -1
	s_mov_b32 s2, 0
                                        ; implicit-def: $vgpr43
	s_branch .LBB44_2036
.LBB44_1963:
	s_mov_b32 s3, -1
	s_mov_b32 s2, 0
	s_mov_b32 s0, 0
                                        ; implicit-def: $vgpr43
	s_branch .LBB44_1999
.LBB44_1964:
	s_mov_b32 s3, -1
	s_mov_b32 s2, 0
	s_mov_b32 s0, 0
                                        ; implicit-def: $vgpr43
	s_branch .LBB44_1980
.LBB44_1965:
	s_mov_b32 s3, -1
	s_mov_b32 s2, 0
	s_mov_b32 s0, 0
                                        ; implicit-def: $vgpr43
	s_branch .LBB44_1975
.LBB44_1966:
	s_or_b32 s52, s52, exec_lo
	s_trap 2
	s_cbranch_execz .LBB44_1905
	s_branch .LBB44_1906
.LBB44_1967:
	s_mov_b32 s3, -1
	s_mov_b32 s2, 0
	s_mov_b32 s0, 0
	s_branch .LBB44_1969
.LBB44_1968:
	s_mov_b32 s0, -1
	s_mov_b32 s2, 0
.LBB44_1969:
                                        ; implicit-def: $vgpr43
.LBB44_1970:
	s_and_b32 vcc_lo, exec_lo, s3
	s_cbranch_vccz .LBB44_1974
; %bb.1971:
	s_cmp_eq_u32 s47, 44
	s_cbranch_scc0 .LBB44_1973
; %bb.1972:
	global_load_u8 v2, v[0:1], off
	s_mov_b32 s0, 0
	s_mov_b32 s2, -1
	s_wait_loadcnt 0x0
	v_lshlrev_b32_e32 v3, 23, v2
	v_cmp_ne_u32_e32 vcc_lo, 0xff, v2
	s_delay_alu instid0(VALU_DEP_2) | instskip(SKIP_1) | instid1(VALU_DEP_2)
	v_cndmask_b32_e32 v3, 0x7f800001, v3, vcc_lo
	v_cmp_ne_u32_e32 vcc_lo, 0, v2
	v_cndmask_b32_e32 v43, 0x400000, v3, vcc_lo
	s_branch .LBB44_1974
.LBB44_1973:
	s_mov_b32 s0, -1
                                        ; implicit-def: $vgpr43
.LBB44_1974:
	s_mov_b32 s3, 0
.LBB44_1975:
	s_delay_alu instid0(SALU_CYCLE_1)
	s_and_b32 vcc_lo, exec_lo, s3
	s_cbranch_vccz .LBB44_1979
; %bb.1976:
	s_cmp_eq_u32 s47, 29
	s_cbranch_scc0 .LBB44_1978
; %bb.1977:
	global_load_b64 v[2:3], v[0:1], off
	s_mov_b32 s0, 0
	s_mov_b32 s2, -1
	s_mov_b32 s3, 0
	s_wait_loadcnt 0x0
	v_clz_i32_u32_e32 v4, v3
	s_delay_alu instid0(VALU_DEP_1) | instskip(NEXT) | instid1(VALU_DEP_1)
	v_min_u32_e32 v4, 32, v4
	v_lshlrev_b64_e32 v[2:3], v4, v[2:3]
	s_delay_alu instid0(VALU_DEP_1) | instskip(NEXT) | instid1(VALU_DEP_1)
	v_min_u32_e32 v2, 1, v2
	v_dual_sub_nc_u32 v3, 32, v4 :: v_dual_bitop2_b32 v2, v3, v2 bitop3:0x54
	s_delay_alu instid0(VALU_DEP_1) | instskip(NEXT) | instid1(VALU_DEP_1)
	v_cvt_f32_u32_e32 v2, v2
	v_ldexp_f32 v43, v2, v3
	s_branch .LBB44_1980
.LBB44_1978:
	s_mov_b32 s0, -1
                                        ; implicit-def: $vgpr43
.LBB44_1979:
	s_mov_b32 s3, 0
.LBB44_1980:
	s_delay_alu instid0(SALU_CYCLE_1)
	s_and_b32 vcc_lo, exec_lo, s3
	s_cbranch_vccz .LBB44_1998
; %bb.1981:
	s_cmp_lt_i32 s47, 27
	s_cbranch_scc1 .LBB44_1984
; %bb.1982:
	s_cmp_gt_i32 s47, 27
	s_cbranch_scc0 .LBB44_1985
; %bb.1983:
	global_load_b32 v2, v[0:1], off
	s_mov_b32 s2, 0
	s_wait_loadcnt 0x0
	v_cvt_f32_u32_e32 v43, v2
	s_branch .LBB44_1986
.LBB44_1984:
	s_mov_b32 s2, -1
                                        ; implicit-def: $vgpr43
	s_branch .LBB44_1989
.LBB44_1985:
	s_mov_b32 s2, -1
                                        ; implicit-def: $vgpr43
.LBB44_1986:
	s_delay_alu instid0(SALU_CYCLE_1)
	s_and_not1_b32 vcc_lo, exec_lo, s2
	s_cbranch_vccnz .LBB44_1988
; %bb.1987:
	global_load_u16 v2, v[0:1], off
	s_wait_loadcnt 0x0
	v_cvt_f32_u32_e32 v43, v2
.LBB44_1988:
	s_mov_b32 s2, 0
.LBB44_1989:
	s_delay_alu instid0(SALU_CYCLE_1)
	s_and_not1_b32 vcc_lo, exec_lo, s2
	s_cbranch_vccnz .LBB44_1997
; %bb.1990:
	global_load_u8 v2, v[0:1], off
	s_mov_b32 s2, 0
	s_mov_b32 s3, exec_lo
	s_wait_loadcnt 0x0
	v_cmpx_lt_i16_e32 0x7f, v2
	s_xor_b32 s3, exec_lo, s3
	s_cbranch_execz .LBB44_2011
; %bb.1991:
	s_mov_b32 s2, -1
	s_mov_b32 s4, exec_lo
	v_cmpx_eq_u16_e32 0x80, v2
; %bb.1992:
	s_xor_b32 s2, exec_lo, -1
; %bb.1993:
	s_or_b32 exec_lo, exec_lo, s4
	s_delay_alu instid0(SALU_CYCLE_1)
	s_and_b32 s2, s2, exec_lo
	s_or_saveexec_b32 s3, s3
	v_mov_b32_e32 v43, 0x7f800001
	s_xor_b32 exec_lo, exec_lo, s3
	s_cbranch_execnz .LBB44_2012
.LBB44_1994:
	s_or_b32 exec_lo, exec_lo, s3
	s_and_saveexec_b32 s3, s2
	s_cbranch_execz .LBB44_1996
.LBB44_1995:
	v_and_b32_e32 v3, 0xffff, v2
	s_delay_alu instid0(VALU_DEP_1) | instskip(SKIP_1) | instid1(VALU_DEP_2)
	v_and_b32_e32 v4, 7, v3
	v_bfe_u32 v7, v3, 3, 4
	v_clz_i32_u32_e32 v5, v4
	s_delay_alu instid0(VALU_DEP_2) | instskip(NEXT) | instid1(VALU_DEP_2)
	v_cmp_eq_u32_e32 vcc_lo, 0, v7
	v_min_u32_e32 v5, 32, v5
	s_delay_alu instid0(VALU_DEP_1) | instskip(NEXT) | instid1(VALU_DEP_1)
	v_subrev_nc_u32_e32 v6, 28, v5
	v_dual_lshlrev_b32 v3, v6, v3 :: v_dual_sub_nc_u32 v5, 29, v5
	s_delay_alu instid0(VALU_DEP_1) | instskip(NEXT) | instid1(VALU_DEP_1)
	v_dual_lshlrev_b32 v2, 24, v2 :: v_dual_bitop2_b32 v3, 7, v3 bitop3:0x40
	v_dual_cndmask_b32 v5, v7, v5, vcc_lo :: v_dual_cndmask_b32 v3, v4, v3, vcc_lo
	s_delay_alu instid0(VALU_DEP_2) | instskip(NEXT) | instid1(VALU_DEP_2)
	v_and_b32_e32 v2, 0x80000000, v2
	v_lshl_add_u32 v4, v5, 23, 0x3b800000
	s_delay_alu instid0(VALU_DEP_3) | instskip(NEXT) | instid1(VALU_DEP_1)
	v_lshlrev_b32_e32 v3, 20, v3
	v_or3_b32 v43, v2, v4, v3
.LBB44_1996:
	s_or_b32 exec_lo, exec_lo, s3
.LBB44_1997:
	s_mov_b32 s2, -1
.LBB44_1998:
	s_mov_b32 s3, 0
.LBB44_1999:
	s_delay_alu instid0(SALU_CYCLE_1)
	s_and_b32 vcc_lo, exec_lo, s3
	s_cbranch_vccz .LBB44_2032
; %bb.2000:
	s_cmp_gt_i32 s47, 22
	s_cbranch_scc0 .LBB44_2010
; %bb.2001:
	s_cmp_lt_i32 s47, 24
	s_cbranch_scc1 .LBB44_2013
; %bb.2002:
	s_cmp_gt_i32 s47, 24
	s_cbranch_scc0 .LBB44_2014
; %bb.2003:
	global_load_u8 v2, v[0:1], off
	s_mov_b32 s2, exec_lo
	s_wait_loadcnt 0x0
	v_cmpx_lt_i16_e32 0x7f, v2
	s_xor_b32 s2, exec_lo, s2
	s_cbranch_execz .LBB44_2026
; %bb.2004:
	s_mov_b32 s1, -1
	s_mov_b32 s3, exec_lo
	v_cmpx_eq_u16_e32 0x80, v2
; %bb.2005:
	s_xor_b32 s1, exec_lo, -1
; %bb.2006:
	s_or_b32 exec_lo, exec_lo, s3
	s_delay_alu instid0(SALU_CYCLE_1)
	s_and_b32 s1, s1, exec_lo
	s_or_saveexec_b32 s2, s2
	v_mov_b32_e32 v43, 0x7f800001
	s_xor_b32 exec_lo, exec_lo, s2
	s_cbranch_execnz .LBB44_2027
.LBB44_2007:
	s_or_b32 exec_lo, exec_lo, s2
	s_and_saveexec_b32 s2, s1
	s_cbranch_execz .LBB44_2009
.LBB44_2008:
	v_and_b32_e32 v3, 0xffff, v2
	s_delay_alu instid0(VALU_DEP_1) | instskip(SKIP_1) | instid1(VALU_DEP_2)
	v_and_b32_e32 v4, 3, v3
	v_bfe_u32 v7, v3, 2, 5
	v_clz_i32_u32_e32 v5, v4
	s_delay_alu instid0(VALU_DEP_2) | instskip(NEXT) | instid1(VALU_DEP_2)
	v_cmp_eq_u32_e32 vcc_lo, 0, v7
	v_min_u32_e32 v5, 32, v5
	s_delay_alu instid0(VALU_DEP_1) | instskip(NEXT) | instid1(VALU_DEP_1)
	v_subrev_nc_u32_e32 v6, 29, v5
	v_dual_lshlrev_b32 v3, v6, v3 :: v_dual_sub_nc_u32 v5, 30, v5
	s_delay_alu instid0(VALU_DEP_1) | instskip(NEXT) | instid1(VALU_DEP_1)
	v_dual_lshlrev_b32 v2, 24, v2 :: v_dual_bitop2_b32 v3, 3, v3 bitop3:0x40
	v_dual_cndmask_b32 v5, v7, v5, vcc_lo :: v_dual_cndmask_b32 v3, v4, v3, vcc_lo
	s_delay_alu instid0(VALU_DEP_2) | instskip(NEXT) | instid1(VALU_DEP_2)
	v_and_b32_e32 v2, 0x80000000, v2
	v_lshl_add_u32 v4, v5, 23, 0x37800000
	s_delay_alu instid0(VALU_DEP_3) | instskip(NEXT) | instid1(VALU_DEP_1)
	v_lshlrev_b32_e32 v3, 21, v3
	v_or3_b32 v43, v2, v4, v3
.LBB44_2009:
	s_or_b32 exec_lo, exec_lo, s2
	s_mov_b32 s1, 0
	s_branch .LBB44_2015
.LBB44_2010:
	s_mov_b32 s1, -1
                                        ; implicit-def: $vgpr43
	s_branch .LBB44_2021
.LBB44_2011:
	s_or_saveexec_b32 s3, s3
	v_mov_b32_e32 v43, 0x7f800001
	s_xor_b32 exec_lo, exec_lo, s3
	s_cbranch_execz .LBB44_1994
.LBB44_2012:
	v_cmp_ne_u16_e32 vcc_lo, 0, v2
	v_mov_b32_e32 v43, 0
	s_and_not1_b32 s2, s2, exec_lo
	s_and_b32 s4, vcc_lo, exec_lo
	s_delay_alu instid0(SALU_CYCLE_1)
	s_or_b32 s2, s2, s4
	s_or_b32 exec_lo, exec_lo, s3
	s_and_saveexec_b32 s3, s2
	s_cbranch_execnz .LBB44_1995
	s_branch .LBB44_1996
.LBB44_2013:
	s_mov_b32 s1, -1
                                        ; implicit-def: $vgpr43
	s_branch .LBB44_2018
.LBB44_2014:
	s_mov_b32 s1, -1
                                        ; implicit-def: $vgpr43
.LBB44_2015:
	s_delay_alu instid0(SALU_CYCLE_1)
	s_and_b32 vcc_lo, exec_lo, s1
	s_cbranch_vccz .LBB44_2017
; %bb.2016:
	global_load_u8 v2, v[0:1], off
	s_wait_loadcnt 0x0
	v_lshlrev_b32_e32 v2, 24, v2
	s_delay_alu instid0(VALU_DEP_1) | instskip(NEXT) | instid1(VALU_DEP_1)
	v_and_b32_e32 v3, 0x7f000000, v2
	v_clz_i32_u32_e32 v4, v3
	v_cmp_ne_u32_e32 vcc_lo, 0, v3
	v_add_nc_u32_e32 v6, 0x1000000, v3
	s_delay_alu instid0(VALU_DEP_3) | instskip(NEXT) | instid1(VALU_DEP_1)
	v_min_u32_e32 v4, 32, v4
	v_sub_nc_u32_e64 v4, v4, 4 clamp
	s_delay_alu instid0(VALU_DEP_1) | instskip(NEXT) | instid1(VALU_DEP_1)
	v_dual_lshlrev_b32 v5, v4, v3 :: v_dual_lshlrev_b32 v4, 23, v4
	v_lshrrev_b32_e32 v5, 4, v5
	s_delay_alu instid0(VALU_DEP_1) | instskip(NEXT) | instid1(VALU_DEP_1)
	v_dual_sub_nc_u32 v4, v5, v4 :: v_dual_ashrrev_i32 v5, 8, v6
	v_add_nc_u32_e32 v4, 0x3c000000, v4
	s_delay_alu instid0(VALU_DEP_1) | instskip(NEXT) | instid1(VALU_DEP_1)
	v_and_or_b32 v4, 0x7f800000, v5, v4
	v_cndmask_b32_e32 v3, 0, v4, vcc_lo
	s_delay_alu instid0(VALU_DEP_1)
	v_and_or_b32 v43, 0x80000000, v2, v3
.LBB44_2017:
	s_mov_b32 s1, 0
.LBB44_2018:
	s_delay_alu instid0(SALU_CYCLE_1)
	s_and_not1_b32 vcc_lo, exec_lo, s1
	s_cbranch_vccnz .LBB44_2020
; %bb.2019:
	global_load_u8 v2, v[0:1], off
	s_wait_loadcnt 0x0
	v_lshlrev_b32_e32 v3, 25, v2
	v_lshlrev_b16 v2, 8, v2
	s_delay_alu instid0(VALU_DEP_1) | instskip(SKIP_1) | instid1(VALU_DEP_2)
	v_and_or_b32 v5, 0x7f00, v2, 0.5
	v_bfe_i32 v2, v2, 0, 16
	v_dual_add_f32 v5, -0.5, v5 :: v_dual_lshrrev_b32 v4, 4, v3
	v_cmp_gt_u32_e32 vcc_lo, 0x8000000, v3
	s_delay_alu instid0(VALU_DEP_2) | instskip(NEXT) | instid1(VALU_DEP_1)
	v_or_b32_e32 v4, 0x70000000, v4
	v_mul_f32_e32 v4, 0x7800000, v4
	s_delay_alu instid0(VALU_DEP_1) | instskip(NEXT) | instid1(VALU_DEP_1)
	v_cndmask_b32_e32 v3, v4, v5, vcc_lo
	v_and_or_b32 v43, 0x80000000, v2, v3
.LBB44_2020:
	s_mov_b32 s1, 0
	s_mov_b32 s2, -1
.LBB44_2021:
	s_and_not1_b32 vcc_lo, exec_lo, s1
	s_mov_b32 s1, 0
	s_cbranch_vccnz .LBB44_2032
; %bb.2022:
	s_cmp_gt_i32 s47, 14
	s_cbranch_scc0 .LBB44_2025
; %bb.2023:
	s_cmp_eq_u32 s47, 15
	s_cbranch_scc0 .LBB44_2028
; %bb.2024:
	global_load_u16 v2, v[0:1], off
	s_mov_b32 s0, 0
	s_mov_b32 s2, -1
	s_wait_loadcnt 0x0
	v_lshlrev_b32_e32 v43, 16, v2
	s_branch .LBB44_2030
.LBB44_2025:
	s_mov_b32 s1, -1
	s_branch .LBB44_2029
.LBB44_2026:
	s_or_saveexec_b32 s2, s2
	v_mov_b32_e32 v43, 0x7f800001
	s_xor_b32 exec_lo, exec_lo, s2
	s_cbranch_execz .LBB44_2007
.LBB44_2027:
	v_cmp_ne_u16_e32 vcc_lo, 0, v2
	v_mov_b32_e32 v43, 0
	s_and_not1_b32 s1, s1, exec_lo
	s_and_b32 s3, vcc_lo, exec_lo
	s_delay_alu instid0(SALU_CYCLE_1)
	s_or_b32 s1, s1, s3
	s_or_b32 exec_lo, exec_lo, s2
	s_and_saveexec_b32 s2, s1
	s_cbranch_execnz .LBB44_2008
	s_branch .LBB44_2009
.LBB44_2028:
	s_mov_b32 s0, -1
.LBB44_2029:
                                        ; implicit-def: $vgpr43
.LBB44_2030:
	s_and_b32 vcc_lo, exec_lo, s1
	s_mov_b32 s1, 0
	s_cbranch_vccz .LBB44_2032
; %bb.2031:
	s_cmp_lg_u32 s47, 11
	s_mov_b32 s1, -1
	s_cselect_b32 s0, -1, 0
.LBB44_2032:
	s_delay_alu instid0(SALU_CYCLE_1)
	s_and_b32 vcc_lo, exec_lo, s0
	s_cbranch_vccnz .LBB44_2102
; %bb.2033:
	s_and_not1_b32 vcc_lo, exec_lo, s1
	s_cbranch_vccnz .LBB44_2035
.LBB44_2034:
	global_load_u8 v2, v[0:1], off
	s_mov_b32 s2, -1
	s_wait_loadcnt 0x0
	v_cmp_ne_u16_e32 vcc_lo, 0, v2
	v_cndmask_b32_e64 v43, 0, 1.0, vcc_lo
.LBB44_2035:
	s_mov_b32 s0, 0
.LBB44_2036:
	s_delay_alu instid0(SALU_CYCLE_1)
	s_and_b32 vcc_lo, exec_lo, s0
	s_cbranch_vccz .LBB44_2085
; %bb.2037:
	s_cmp_lt_i32 s47, 5
	s_cbranch_scc1 .LBB44_2042
; %bb.2038:
	s_cmp_lt_i32 s47, 8
	s_cbranch_scc1 .LBB44_2043
; %bb.2039:
	s_cmp_lt_i32 s47, 9
	s_cbranch_scc1 .LBB44_2044
; %bb.2040:
	s_cmp_gt_i32 s47, 9
	s_cbranch_scc0 .LBB44_2045
; %bb.2041:
	global_load_b64 v[2:3], v[0:1], off
	s_mov_b32 s0, 0
	s_wait_loadcnt 0x0
	v_cvt_f32_f64_e32 v43, v[2:3]
	s_branch .LBB44_2046
.LBB44_2042:
	s_mov_b32 s0, -1
                                        ; implicit-def: $vgpr43
	s_branch .LBB44_2064
.LBB44_2043:
	s_mov_b32 s0, -1
                                        ; implicit-def: $vgpr43
	s_branch .LBB44_2052
.LBB44_2044:
	s_mov_b32 s0, -1
                                        ; implicit-def: $vgpr43
	s_branch .LBB44_2049
.LBB44_2045:
	s_mov_b32 s0, -1
                                        ; implicit-def: $vgpr43
.LBB44_2046:
	s_delay_alu instid0(SALU_CYCLE_1)
	s_and_not1_b32 vcc_lo, exec_lo, s0
	s_cbranch_vccnz .LBB44_2048
; %bb.2047:
	s_wait_loadcnt 0x0
	global_load_b32 v43, v[0:1], off
.LBB44_2048:
	s_mov_b32 s0, 0
.LBB44_2049:
	s_delay_alu instid0(SALU_CYCLE_1)
	s_and_not1_b32 vcc_lo, exec_lo, s0
	s_cbranch_vccnz .LBB44_2051
; %bb.2050:
	global_load_b32 v2, v[0:1], off
	s_wait_loadcnt 0x0
	v_cvt_f32_f16_e32 v43, v2
.LBB44_2051:
	s_mov_b32 s0, 0
.LBB44_2052:
	s_delay_alu instid0(SALU_CYCLE_1)
	s_and_not1_b32 vcc_lo, exec_lo, s0
	s_cbranch_vccnz .LBB44_2063
; %bb.2053:
	s_cmp_lt_i32 s47, 6
	s_cbranch_scc1 .LBB44_2056
; %bb.2054:
	s_cmp_gt_i32 s47, 6
	s_cbranch_scc0 .LBB44_2057
; %bb.2055:
	global_load_b64 v[2:3], v[0:1], off
	s_mov_b32 s0, 0
	s_wait_loadcnt 0x0
	v_cvt_f32_f64_e32 v43, v[2:3]
	s_branch .LBB44_2058
.LBB44_2056:
	s_mov_b32 s0, -1
                                        ; implicit-def: $vgpr43
	s_branch .LBB44_2061
.LBB44_2057:
	s_mov_b32 s0, -1
                                        ; implicit-def: $vgpr43
.LBB44_2058:
	s_delay_alu instid0(SALU_CYCLE_1)
	s_and_not1_b32 vcc_lo, exec_lo, s0
	s_cbranch_vccnz .LBB44_2060
; %bb.2059:
	s_wait_loadcnt 0x0
	global_load_b32 v43, v[0:1], off
.LBB44_2060:
	s_mov_b32 s0, 0
.LBB44_2061:
	s_delay_alu instid0(SALU_CYCLE_1)
	s_and_not1_b32 vcc_lo, exec_lo, s0
	s_cbranch_vccnz .LBB44_2063
; %bb.2062:
	global_load_u16 v2, v[0:1], off
	s_wait_loadcnt 0x0
	v_cvt_f32_f16_e32 v43, v2
.LBB44_2063:
	s_mov_b32 s0, 0
.LBB44_2064:
	s_delay_alu instid0(SALU_CYCLE_1)
	s_and_not1_b32 vcc_lo, exec_lo, s0
	s_cbranch_vccnz .LBB44_2084
; %bb.2065:
	s_cmp_lt_i32 s47, 2
	s_cbranch_scc1 .LBB44_2069
; %bb.2066:
	s_cmp_lt_i32 s47, 3
	s_cbranch_scc1 .LBB44_2070
; %bb.2067:
	s_cmp_gt_i32 s47, 3
	s_cbranch_scc0 .LBB44_2071
; %bb.2068:
	global_load_b64 v[2:3], v[0:1], off
	s_mov_b32 s0, 0
	s_wait_loadcnt 0x0
	v_xor_b32_e32 v4, v2, v3
	v_cls_i32_e32 v5, v3
	s_delay_alu instid0(VALU_DEP_2) | instskip(NEXT) | instid1(VALU_DEP_1)
	v_ashrrev_i32_e32 v4, 31, v4
	v_add_nc_u32_e32 v4, 32, v4
	s_delay_alu instid0(VALU_DEP_1) | instskip(NEXT) | instid1(VALU_DEP_1)
	v_add_min_u32_e64 v4, v5, -1, v4
	v_lshlrev_b64_e32 v[2:3], v4, v[2:3]
	s_delay_alu instid0(VALU_DEP_1) | instskip(NEXT) | instid1(VALU_DEP_1)
	v_min_u32_e32 v2, 1, v2
	v_dual_sub_nc_u32 v3, 32, v4 :: v_dual_bitop2_b32 v2, v3, v2 bitop3:0x54
	s_delay_alu instid0(VALU_DEP_1) | instskip(NEXT) | instid1(VALU_DEP_1)
	v_cvt_f32_i32_e32 v2, v2
	v_ldexp_f32 v43, v2, v3
	s_branch .LBB44_2072
.LBB44_2069:
	s_mov_b32 s0, -1
                                        ; implicit-def: $vgpr43
	s_branch .LBB44_2078
.LBB44_2070:
	s_mov_b32 s0, -1
                                        ; implicit-def: $vgpr43
	s_branch .LBB44_2075
.LBB44_2071:
	s_mov_b32 s0, -1
                                        ; implicit-def: $vgpr43
.LBB44_2072:
	s_delay_alu instid0(SALU_CYCLE_1)
	s_and_not1_b32 vcc_lo, exec_lo, s0
	s_cbranch_vccnz .LBB44_2074
; %bb.2073:
	global_load_b32 v2, v[0:1], off
	s_wait_loadcnt 0x0
	v_cvt_f32_i32_e32 v43, v2
.LBB44_2074:
	s_mov_b32 s0, 0
.LBB44_2075:
	s_delay_alu instid0(SALU_CYCLE_1)
	s_and_not1_b32 vcc_lo, exec_lo, s0
	s_cbranch_vccnz .LBB44_2077
; %bb.2076:
	global_load_i16 v2, v[0:1], off
	s_wait_loadcnt 0x0
	v_cvt_f32_i32_e32 v43, v2
.LBB44_2077:
	s_mov_b32 s0, 0
.LBB44_2078:
	s_delay_alu instid0(SALU_CYCLE_1)
	s_and_not1_b32 vcc_lo, exec_lo, s0
	s_cbranch_vccnz .LBB44_2084
; %bb.2079:
	s_cmp_gt_i32 s47, 0
	s_mov_b32 s0, 0
	s_cbranch_scc0 .LBB44_2081
; %bb.2080:
	global_load_i8 v2, v[0:1], off
	s_wait_loadcnt 0x0
	v_cvt_f32_i32_e32 v43, v2
	s_branch .LBB44_2082
.LBB44_2081:
	s_mov_b32 s0, -1
                                        ; implicit-def: $vgpr43
.LBB44_2082:
	s_delay_alu instid0(SALU_CYCLE_1)
	s_and_not1_b32 vcc_lo, exec_lo, s0
	s_cbranch_vccnz .LBB44_2084
; %bb.2083:
	global_load_u8 v0, v[0:1], off
	s_wait_loadcnt 0x0
	v_cvt_f32_ubyte0_e32 v43, v0
.LBB44_2084:
	s_mov_b32 s2, -1
.LBB44_2085:
	s_delay_alu instid0(SALU_CYCLE_1)
	s_and_not1_b32 vcc_lo, exec_lo, s2
	s_cbranch_vccnz .LBB44_2624
; %bb.2086:
	s_and_b32 vcc_lo, exec_lo, s51
	s_cbranch_vccz .LBB44_2088
; %bb.2087:
	s_wait_loadcnt 0x0
	s_delay_alu instid0(VALU_DEP_1) | instskip(SKIP_2) | instid1(SALU_CYCLE_1)
	v_dual_mov_b32 v0, v40 :: v_dual_mov_b32 v1, v43
	s_get_pc_i64 s[0:1]
	s_add_nc_u64 s[0:1], s[0:1], _ZN12_GLOBAL__N_111calc_igammaIfEET_S1_S1_@rel64+4
	s_swap_pc_i64 s[30:31], s[0:1]
	s_delay_alu instid0(VALU_DEP_1)
	v_mov_b32_e32 v44, v0
	s_mov_b32 s0, 0
	s_branch .LBB44_2089
.LBB44_2088:
	s_mov_b32 s0, -1
                                        ; implicit-def: $vgpr44
.LBB44_2089:
	s_delay_alu instid0(SALU_CYCLE_1)
	s_and_not1_b32 vcc_lo, exec_lo, s0
	s_cbranch_vccnz .LBB44_2091
; %bb.2090:
	s_wait_loadcnt 0x0
	s_delay_alu instid0(VALU_DEP_1) | instskip(SKIP_2) | instid1(SALU_CYCLE_1)
	v_dual_mov_b32 v0, v40 :: v_dual_mov_b32 v1, v43
	s_get_pc_i64 s[0:1]
	s_add_nc_u64 s[0:1], s[0:1], _ZN12_GLOBAL__N_112calc_igammacIfEET_S1_S1_@rel64+4
	s_swap_pc_i64 s[30:31], s[0:1]
	s_delay_alu instid0(VALU_DEP_1)
	v_mov_b32_e32 v44, v0
.LBB44_2091:
	v_add_nc_u32_e32 v56, s49, v56
	s_cmp_lt_i32 s53, 11
	s_delay_alu instid0(VALU_DEP_1) | instskip(SKIP_1) | instid1(VALU_DEP_1)
	v_ashrrev_i32_e32 v57, 31, v56
	s_wait_xcnt 0x0
	v_add_nc_u64_e32 v[0:1], s[38:39], v[56:57]
	s_cbranch_scc1 .LBB44_2098
; %bb.2092:
	s_and_b32 s0, 0xffff, s53
	s_mov_b32 s2, 0
	s_cmp_gt_i32 s0, 25
	s_cbranch_scc0 .LBB44_2099
; %bb.2093:
	s_cmp_gt_i32 s0, 28
	s_cbranch_scc0 .LBB44_2100
; %bb.2094:
	;; [unrolled: 3-line block ×4, first 2 shown]
	s_cmp_eq_u32 s0, 46
	s_mov_b32 s4, 0
	s_cbranch_scc0 .LBB44_2104
; %bb.2097:
	global_load_b32 v2, v[0:1], off
	s_mov_b32 s1, 0
	s_mov_b32 s3, -1
	s_wait_loadcnt 0x0
	v_lshlrev_b32_e32 v40, 16, v2
	s_branch .LBB44_2106
.LBB44_2098:
	s_mov_b32 s0, -1
	s_mov_b32 s3, 0
                                        ; implicit-def: $vgpr40
	s_branch .LBB44_2172
.LBB44_2099:
	s_mov_b32 s4, -1
	s_mov_b32 s3, 0
	s_mov_b32 s1, 0
                                        ; implicit-def: $vgpr40
	s_branch .LBB44_2135
.LBB44_2100:
	s_mov_b32 s4, -1
	s_mov_b32 s3, 0
	s_mov_b32 s1, 0
                                        ; implicit-def: $vgpr40
	s_branch .LBB44_2116
.LBB44_2101:
	s_mov_b32 s4, -1
	s_mov_b32 s3, 0
	s_mov_b32 s1, 0
                                        ; implicit-def: $vgpr40
	s_branch .LBB44_2111
.LBB44_2102:
	s_or_b32 s52, s52, exec_lo
	s_trap 2
	s_cbranch_execz .LBB44_2034
	s_branch .LBB44_2035
.LBB44_2103:
	s_mov_b32 s4, -1
	s_mov_b32 s3, 0
	s_mov_b32 s1, 0
	s_branch .LBB44_2105
.LBB44_2104:
	s_mov_b32 s1, -1
	s_mov_b32 s3, 0
.LBB44_2105:
                                        ; implicit-def: $vgpr40
.LBB44_2106:
	s_and_b32 vcc_lo, exec_lo, s4
	s_cbranch_vccz .LBB44_2110
; %bb.2107:
	s_cmp_eq_u32 s0, 44
	s_cbranch_scc0 .LBB44_2109
; %bb.2108:
	global_load_u8 v2, v[0:1], off
	s_mov_b32 s1, 0
	s_mov_b32 s3, -1
	s_wait_loadcnt 0x0
	v_lshlrev_b32_e32 v3, 23, v2
	v_cmp_ne_u32_e32 vcc_lo, 0xff, v2
	s_delay_alu instid0(VALU_DEP_2) | instskip(SKIP_1) | instid1(VALU_DEP_2)
	v_cndmask_b32_e32 v3, 0x7f800001, v3, vcc_lo
	v_cmp_ne_u32_e32 vcc_lo, 0, v2
	v_cndmask_b32_e32 v40, 0x400000, v3, vcc_lo
	s_branch .LBB44_2110
.LBB44_2109:
	s_mov_b32 s1, -1
                                        ; implicit-def: $vgpr40
.LBB44_2110:
	s_mov_b32 s4, 0
.LBB44_2111:
	s_delay_alu instid0(SALU_CYCLE_1)
	s_and_b32 vcc_lo, exec_lo, s4
	s_cbranch_vccz .LBB44_2115
; %bb.2112:
	s_cmp_eq_u32 s0, 29
	s_cbranch_scc0 .LBB44_2114
; %bb.2113:
	global_load_b64 v[2:3], v[0:1], off
	s_mov_b32 s1, 0
	s_mov_b32 s3, -1
	s_mov_b32 s4, 0
	s_wait_loadcnt 0x0
	v_clz_i32_u32_e32 v4, v3
	s_delay_alu instid0(VALU_DEP_1) | instskip(NEXT) | instid1(VALU_DEP_1)
	v_min_u32_e32 v4, 32, v4
	v_lshlrev_b64_e32 v[2:3], v4, v[2:3]
	s_delay_alu instid0(VALU_DEP_1) | instskip(NEXT) | instid1(VALU_DEP_1)
	v_min_u32_e32 v2, 1, v2
	v_dual_sub_nc_u32 v3, 32, v4 :: v_dual_bitop2_b32 v2, v3, v2 bitop3:0x54
	s_delay_alu instid0(VALU_DEP_1) | instskip(NEXT) | instid1(VALU_DEP_1)
	v_cvt_f32_u32_e32 v2, v2
	v_ldexp_f32 v40, v2, v3
	s_branch .LBB44_2116
.LBB44_2114:
	s_mov_b32 s1, -1
                                        ; implicit-def: $vgpr40
.LBB44_2115:
	s_mov_b32 s4, 0
.LBB44_2116:
	s_delay_alu instid0(SALU_CYCLE_1)
	s_and_b32 vcc_lo, exec_lo, s4
	s_cbranch_vccz .LBB44_2134
; %bb.2117:
	s_cmp_lt_i32 s0, 27
	s_cbranch_scc1 .LBB44_2120
; %bb.2118:
	s_cmp_gt_i32 s0, 27
	s_cbranch_scc0 .LBB44_2121
; %bb.2119:
	global_load_b32 v2, v[0:1], off
	s_mov_b32 s3, 0
	s_wait_loadcnt 0x0
	v_cvt_f32_u32_e32 v40, v2
	s_branch .LBB44_2122
.LBB44_2120:
	s_mov_b32 s3, -1
                                        ; implicit-def: $vgpr40
	s_branch .LBB44_2125
.LBB44_2121:
	s_mov_b32 s3, -1
                                        ; implicit-def: $vgpr40
.LBB44_2122:
	s_delay_alu instid0(SALU_CYCLE_1)
	s_and_not1_b32 vcc_lo, exec_lo, s3
	s_cbranch_vccnz .LBB44_2124
; %bb.2123:
	global_load_u16 v2, v[0:1], off
	s_wait_loadcnt 0x0
	v_cvt_f32_u32_e32 v40, v2
.LBB44_2124:
	s_mov_b32 s3, 0
.LBB44_2125:
	s_delay_alu instid0(SALU_CYCLE_1)
	s_and_not1_b32 vcc_lo, exec_lo, s3
	s_cbranch_vccnz .LBB44_2133
; %bb.2126:
	global_load_u8 v2, v[0:1], off
	s_mov_b32 s3, 0
	s_mov_b32 s4, exec_lo
	s_wait_loadcnt 0x0
	v_cmpx_lt_i16_e32 0x7f, v2
	s_xor_b32 s4, exec_lo, s4
	s_cbranch_execz .LBB44_2147
; %bb.2127:
	s_mov_b32 s3, -1
	s_mov_b32 s5, exec_lo
	v_cmpx_eq_u16_e32 0x80, v2
; %bb.2128:
	s_xor_b32 s3, exec_lo, -1
; %bb.2129:
	s_or_b32 exec_lo, exec_lo, s5
	s_delay_alu instid0(SALU_CYCLE_1)
	s_and_b32 s3, s3, exec_lo
	s_or_saveexec_b32 s4, s4
	v_mov_b32_e32 v40, 0x7f800001
	s_xor_b32 exec_lo, exec_lo, s4
	s_cbranch_execnz .LBB44_2148
.LBB44_2130:
	s_or_b32 exec_lo, exec_lo, s4
	s_and_saveexec_b32 s4, s3
	s_cbranch_execz .LBB44_2132
.LBB44_2131:
	v_and_b32_e32 v3, 0xffff, v2
	s_delay_alu instid0(VALU_DEP_1) | instskip(SKIP_1) | instid1(VALU_DEP_2)
	v_and_b32_e32 v4, 7, v3
	v_bfe_u32 v7, v3, 3, 4
	v_clz_i32_u32_e32 v5, v4
	s_delay_alu instid0(VALU_DEP_2) | instskip(NEXT) | instid1(VALU_DEP_2)
	v_cmp_eq_u32_e32 vcc_lo, 0, v7
	v_min_u32_e32 v5, 32, v5
	s_delay_alu instid0(VALU_DEP_1) | instskip(NEXT) | instid1(VALU_DEP_1)
	v_subrev_nc_u32_e32 v6, 28, v5
	v_dual_lshlrev_b32 v3, v6, v3 :: v_dual_sub_nc_u32 v5, 29, v5
	s_delay_alu instid0(VALU_DEP_1) | instskip(NEXT) | instid1(VALU_DEP_1)
	v_dual_lshlrev_b32 v2, 24, v2 :: v_dual_bitop2_b32 v3, 7, v3 bitop3:0x40
	v_dual_cndmask_b32 v5, v7, v5, vcc_lo :: v_dual_cndmask_b32 v3, v4, v3, vcc_lo
	s_delay_alu instid0(VALU_DEP_2) | instskip(NEXT) | instid1(VALU_DEP_2)
	v_and_b32_e32 v2, 0x80000000, v2
	v_lshl_add_u32 v4, v5, 23, 0x3b800000
	s_delay_alu instid0(VALU_DEP_3) | instskip(NEXT) | instid1(VALU_DEP_1)
	v_lshlrev_b32_e32 v3, 20, v3
	v_or3_b32 v40, v2, v4, v3
.LBB44_2132:
	s_or_b32 exec_lo, exec_lo, s4
.LBB44_2133:
	s_mov_b32 s3, -1
.LBB44_2134:
	s_mov_b32 s4, 0
.LBB44_2135:
	s_delay_alu instid0(SALU_CYCLE_1)
	s_and_b32 vcc_lo, exec_lo, s4
	s_cbranch_vccz .LBB44_2168
; %bb.2136:
	s_cmp_gt_i32 s0, 22
	s_cbranch_scc0 .LBB44_2146
; %bb.2137:
	s_cmp_lt_i32 s0, 24
	s_cbranch_scc1 .LBB44_2149
; %bb.2138:
	s_cmp_gt_i32 s0, 24
	s_cbranch_scc0 .LBB44_2150
; %bb.2139:
	global_load_u8 v2, v[0:1], off
	s_mov_b32 s3, exec_lo
	s_wait_loadcnt 0x0
	v_cmpx_lt_i16_e32 0x7f, v2
	s_xor_b32 s3, exec_lo, s3
	s_cbranch_execz .LBB44_2162
; %bb.2140:
	s_mov_b32 s2, -1
	s_mov_b32 s4, exec_lo
	v_cmpx_eq_u16_e32 0x80, v2
; %bb.2141:
	s_xor_b32 s2, exec_lo, -1
; %bb.2142:
	s_or_b32 exec_lo, exec_lo, s4
	s_delay_alu instid0(SALU_CYCLE_1)
	s_and_b32 s2, s2, exec_lo
	s_or_saveexec_b32 s3, s3
	v_mov_b32_e32 v40, 0x7f800001
	s_xor_b32 exec_lo, exec_lo, s3
	s_cbranch_execnz .LBB44_2163
.LBB44_2143:
	s_or_b32 exec_lo, exec_lo, s3
	s_and_saveexec_b32 s3, s2
	s_cbranch_execz .LBB44_2145
.LBB44_2144:
	v_and_b32_e32 v3, 0xffff, v2
	s_delay_alu instid0(VALU_DEP_1) | instskip(SKIP_1) | instid1(VALU_DEP_2)
	v_and_b32_e32 v4, 3, v3
	v_bfe_u32 v7, v3, 2, 5
	v_clz_i32_u32_e32 v5, v4
	s_delay_alu instid0(VALU_DEP_2) | instskip(NEXT) | instid1(VALU_DEP_2)
	v_cmp_eq_u32_e32 vcc_lo, 0, v7
	v_min_u32_e32 v5, 32, v5
	s_delay_alu instid0(VALU_DEP_1) | instskip(NEXT) | instid1(VALU_DEP_1)
	v_subrev_nc_u32_e32 v6, 29, v5
	v_dual_lshlrev_b32 v3, v6, v3 :: v_dual_sub_nc_u32 v5, 30, v5
	s_delay_alu instid0(VALU_DEP_1) | instskip(NEXT) | instid1(VALU_DEP_1)
	v_dual_lshlrev_b32 v2, 24, v2 :: v_dual_bitop2_b32 v3, 3, v3 bitop3:0x40
	v_dual_cndmask_b32 v5, v7, v5, vcc_lo :: v_dual_cndmask_b32 v3, v4, v3, vcc_lo
	s_delay_alu instid0(VALU_DEP_2) | instskip(NEXT) | instid1(VALU_DEP_2)
	v_and_b32_e32 v2, 0x80000000, v2
	v_lshl_add_u32 v4, v5, 23, 0x37800000
	s_delay_alu instid0(VALU_DEP_3) | instskip(NEXT) | instid1(VALU_DEP_1)
	v_lshlrev_b32_e32 v3, 21, v3
	v_or3_b32 v40, v2, v4, v3
.LBB44_2145:
	s_or_b32 exec_lo, exec_lo, s3
	s_mov_b32 s2, 0
	s_branch .LBB44_2151
.LBB44_2146:
	s_mov_b32 s2, -1
                                        ; implicit-def: $vgpr40
	s_branch .LBB44_2157
.LBB44_2147:
	s_or_saveexec_b32 s4, s4
	v_mov_b32_e32 v40, 0x7f800001
	s_xor_b32 exec_lo, exec_lo, s4
	s_cbranch_execz .LBB44_2130
.LBB44_2148:
	v_cmp_ne_u16_e32 vcc_lo, 0, v2
	v_mov_b32_e32 v40, 0
	s_and_not1_b32 s3, s3, exec_lo
	s_and_b32 s5, vcc_lo, exec_lo
	s_delay_alu instid0(SALU_CYCLE_1)
	s_or_b32 s3, s3, s5
	s_or_b32 exec_lo, exec_lo, s4
	s_and_saveexec_b32 s4, s3
	s_cbranch_execnz .LBB44_2131
	s_branch .LBB44_2132
.LBB44_2149:
	s_mov_b32 s2, -1
                                        ; implicit-def: $vgpr40
	s_branch .LBB44_2154
.LBB44_2150:
	s_mov_b32 s2, -1
                                        ; implicit-def: $vgpr40
.LBB44_2151:
	s_delay_alu instid0(SALU_CYCLE_1)
	s_and_b32 vcc_lo, exec_lo, s2
	s_cbranch_vccz .LBB44_2153
; %bb.2152:
	global_load_u8 v2, v[0:1], off
	s_wait_loadcnt 0x0
	v_lshlrev_b32_e32 v2, 24, v2
	s_delay_alu instid0(VALU_DEP_1) | instskip(NEXT) | instid1(VALU_DEP_1)
	v_and_b32_e32 v3, 0x7f000000, v2
	v_clz_i32_u32_e32 v4, v3
	v_cmp_ne_u32_e32 vcc_lo, 0, v3
	v_add_nc_u32_e32 v6, 0x1000000, v3
	s_delay_alu instid0(VALU_DEP_3) | instskip(NEXT) | instid1(VALU_DEP_1)
	v_min_u32_e32 v4, 32, v4
	v_sub_nc_u32_e64 v4, v4, 4 clamp
	s_delay_alu instid0(VALU_DEP_1) | instskip(NEXT) | instid1(VALU_DEP_1)
	v_dual_lshlrev_b32 v5, v4, v3 :: v_dual_lshlrev_b32 v4, 23, v4
	v_lshrrev_b32_e32 v5, 4, v5
	s_delay_alu instid0(VALU_DEP_1) | instskip(NEXT) | instid1(VALU_DEP_1)
	v_dual_sub_nc_u32 v4, v5, v4 :: v_dual_ashrrev_i32 v5, 8, v6
	v_add_nc_u32_e32 v4, 0x3c000000, v4
	s_delay_alu instid0(VALU_DEP_1) | instskip(NEXT) | instid1(VALU_DEP_1)
	v_and_or_b32 v4, 0x7f800000, v5, v4
	v_cndmask_b32_e32 v3, 0, v4, vcc_lo
	s_delay_alu instid0(VALU_DEP_1)
	v_and_or_b32 v40, 0x80000000, v2, v3
.LBB44_2153:
	s_mov_b32 s2, 0
.LBB44_2154:
	s_delay_alu instid0(SALU_CYCLE_1)
	s_and_not1_b32 vcc_lo, exec_lo, s2
	s_cbranch_vccnz .LBB44_2156
; %bb.2155:
	global_load_u8 v2, v[0:1], off
	s_wait_loadcnt 0x0
	v_lshlrev_b32_e32 v3, 25, v2
	v_lshlrev_b16 v2, 8, v2
	s_delay_alu instid0(VALU_DEP_1) | instskip(SKIP_1) | instid1(VALU_DEP_2)
	v_and_or_b32 v5, 0x7f00, v2, 0.5
	v_bfe_i32 v2, v2, 0, 16
	v_dual_add_f32 v5, -0.5, v5 :: v_dual_lshrrev_b32 v4, 4, v3
	v_cmp_gt_u32_e32 vcc_lo, 0x8000000, v3
	s_delay_alu instid0(VALU_DEP_2) | instskip(NEXT) | instid1(VALU_DEP_1)
	v_or_b32_e32 v4, 0x70000000, v4
	v_mul_f32_e32 v4, 0x7800000, v4
	s_delay_alu instid0(VALU_DEP_1) | instskip(NEXT) | instid1(VALU_DEP_1)
	v_cndmask_b32_e32 v3, v4, v5, vcc_lo
	v_and_or_b32 v40, 0x80000000, v2, v3
.LBB44_2156:
	s_mov_b32 s2, 0
	s_mov_b32 s3, -1
.LBB44_2157:
	s_and_not1_b32 vcc_lo, exec_lo, s2
	s_mov_b32 s2, 0
	s_cbranch_vccnz .LBB44_2168
; %bb.2158:
	s_cmp_gt_i32 s0, 14
	s_cbranch_scc0 .LBB44_2161
; %bb.2159:
	s_cmp_eq_u32 s0, 15
	s_cbranch_scc0 .LBB44_2164
; %bb.2160:
	global_load_u16 v2, v[0:1], off
	s_mov_b32 s1, 0
	s_mov_b32 s3, -1
	s_wait_loadcnt 0x0
	v_lshlrev_b32_e32 v40, 16, v2
	s_branch .LBB44_2166
.LBB44_2161:
	s_mov_b32 s2, -1
	s_branch .LBB44_2165
.LBB44_2162:
	s_or_saveexec_b32 s3, s3
	v_mov_b32_e32 v40, 0x7f800001
	s_xor_b32 exec_lo, exec_lo, s3
	s_cbranch_execz .LBB44_2143
.LBB44_2163:
	v_cmp_ne_u16_e32 vcc_lo, 0, v2
	v_mov_b32_e32 v40, 0
	s_and_not1_b32 s2, s2, exec_lo
	s_and_b32 s4, vcc_lo, exec_lo
	s_delay_alu instid0(SALU_CYCLE_1)
	s_or_b32 s2, s2, s4
	s_or_b32 exec_lo, exec_lo, s3
	s_and_saveexec_b32 s3, s2
	s_cbranch_execnz .LBB44_2144
	s_branch .LBB44_2145
.LBB44_2164:
	s_mov_b32 s1, -1
.LBB44_2165:
                                        ; implicit-def: $vgpr40
.LBB44_2166:
	s_and_b32 vcc_lo, exec_lo, s2
	s_mov_b32 s2, 0
	s_cbranch_vccz .LBB44_2168
; %bb.2167:
	s_cmp_lg_u32 s0, 11
	s_mov_b32 s2, -1
	s_cselect_b32 s1, -1, 0
.LBB44_2168:
	s_delay_alu instid0(SALU_CYCLE_1)
	s_and_b32 vcc_lo, exec_lo, s1
	s_cbranch_vccnz .LBB44_2233
; %bb.2169:
	s_and_not1_b32 vcc_lo, exec_lo, s2
	s_cbranch_vccnz .LBB44_2171
.LBB44_2170:
	global_load_u8 v2, v[0:1], off
	s_mov_b32 s3, -1
	s_wait_loadcnt 0x0
	v_cmp_ne_u16_e32 vcc_lo, 0, v2
	v_cndmask_b32_e64 v40, 0, 1.0, vcc_lo
.LBB44_2171:
	s_mov_b32 s0, 0
.LBB44_2172:
	s_delay_alu instid0(SALU_CYCLE_1)
	s_and_b32 vcc_lo, exec_lo, s0
	s_cbranch_vccz .LBB44_2221
; %bb.2173:
	s_and_b32 s0, 0xffff, s53
	s_delay_alu instid0(SALU_CYCLE_1)
	s_cmp_lt_i32 s0, 5
	s_cbranch_scc1 .LBB44_2178
; %bb.2174:
	s_cmp_lt_i32 s0, 8
	s_cbranch_scc1 .LBB44_2179
; %bb.2175:
	;; [unrolled: 3-line block ×3, first 2 shown]
	s_cmp_gt_i32 s0, 9
	s_cbranch_scc0 .LBB44_2181
; %bb.2177:
	global_load_b64 v[2:3], v[0:1], off
	s_mov_b32 s1, 0
	s_wait_loadcnt 0x0
	v_cvt_f32_f64_e32 v40, v[2:3]
	s_branch .LBB44_2182
.LBB44_2178:
	s_mov_b32 s1, -1
                                        ; implicit-def: $vgpr40
	s_branch .LBB44_2200
.LBB44_2179:
	s_mov_b32 s1, -1
                                        ; implicit-def: $vgpr40
	s_branch .LBB44_2188
.LBB44_2180:
	s_mov_b32 s1, -1
                                        ; implicit-def: $vgpr40
	s_branch .LBB44_2185
.LBB44_2181:
	s_mov_b32 s1, -1
                                        ; implicit-def: $vgpr40
.LBB44_2182:
	s_delay_alu instid0(SALU_CYCLE_1)
	s_and_not1_b32 vcc_lo, exec_lo, s1
	s_cbranch_vccnz .LBB44_2184
; %bb.2183:
	s_wait_loadcnt 0x0
	global_load_b32 v40, v[0:1], off
.LBB44_2184:
	s_mov_b32 s1, 0
.LBB44_2185:
	s_delay_alu instid0(SALU_CYCLE_1)
	s_and_not1_b32 vcc_lo, exec_lo, s1
	s_cbranch_vccnz .LBB44_2187
; %bb.2186:
	global_load_b32 v2, v[0:1], off
	s_wait_loadcnt 0x0
	v_cvt_f32_f16_e32 v40, v2
.LBB44_2187:
	s_mov_b32 s1, 0
.LBB44_2188:
	s_delay_alu instid0(SALU_CYCLE_1)
	s_and_not1_b32 vcc_lo, exec_lo, s1
	s_cbranch_vccnz .LBB44_2199
; %bb.2189:
	s_cmp_lt_i32 s0, 6
	s_cbranch_scc1 .LBB44_2192
; %bb.2190:
	s_cmp_gt_i32 s0, 6
	s_cbranch_scc0 .LBB44_2193
; %bb.2191:
	global_load_b64 v[2:3], v[0:1], off
	s_mov_b32 s1, 0
	s_wait_loadcnt 0x0
	v_cvt_f32_f64_e32 v40, v[2:3]
	s_branch .LBB44_2194
.LBB44_2192:
	s_mov_b32 s1, -1
                                        ; implicit-def: $vgpr40
	s_branch .LBB44_2197
.LBB44_2193:
	s_mov_b32 s1, -1
                                        ; implicit-def: $vgpr40
.LBB44_2194:
	s_delay_alu instid0(SALU_CYCLE_1)
	s_and_not1_b32 vcc_lo, exec_lo, s1
	s_cbranch_vccnz .LBB44_2196
; %bb.2195:
	s_wait_loadcnt 0x0
	global_load_b32 v40, v[0:1], off
.LBB44_2196:
	s_mov_b32 s1, 0
.LBB44_2197:
	s_delay_alu instid0(SALU_CYCLE_1)
	s_and_not1_b32 vcc_lo, exec_lo, s1
	s_cbranch_vccnz .LBB44_2199
; %bb.2198:
	global_load_u16 v2, v[0:1], off
	s_wait_loadcnt 0x0
	v_cvt_f32_f16_e32 v40, v2
.LBB44_2199:
	s_mov_b32 s1, 0
.LBB44_2200:
	s_delay_alu instid0(SALU_CYCLE_1)
	s_and_not1_b32 vcc_lo, exec_lo, s1
	s_cbranch_vccnz .LBB44_2220
; %bb.2201:
	s_cmp_lt_i32 s0, 2
	s_cbranch_scc1 .LBB44_2205
; %bb.2202:
	s_cmp_lt_i32 s0, 3
	s_cbranch_scc1 .LBB44_2206
; %bb.2203:
	s_cmp_gt_i32 s0, 3
	s_cbranch_scc0 .LBB44_2207
; %bb.2204:
	global_load_b64 v[2:3], v[0:1], off
	s_mov_b32 s1, 0
	s_wait_loadcnt 0x0
	v_xor_b32_e32 v4, v2, v3
	v_cls_i32_e32 v5, v3
	s_delay_alu instid0(VALU_DEP_2) | instskip(NEXT) | instid1(VALU_DEP_1)
	v_ashrrev_i32_e32 v4, 31, v4
	v_add_nc_u32_e32 v4, 32, v4
	s_delay_alu instid0(VALU_DEP_1) | instskip(NEXT) | instid1(VALU_DEP_1)
	v_add_min_u32_e64 v4, v5, -1, v4
	v_lshlrev_b64_e32 v[2:3], v4, v[2:3]
	s_delay_alu instid0(VALU_DEP_1) | instskip(NEXT) | instid1(VALU_DEP_1)
	v_min_u32_e32 v2, 1, v2
	v_dual_sub_nc_u32 v3, 32, v4 :: v_dual_bitop2_b32 v2, v3, v2 bitop3:0x54
	s_delay_alu instid0(VALU_DEP_1) | instskip(NEXT) | instid1(VALU_DEP_1)
	v_cvt_f32_i32_e32 v2, v2
	v_ldexp_f32 v40, v2, v3
	s_branch .LBB44_2208
.LBB44_2205:
	s_mov_b32 s1, -1
                                        ; implicit-def: $vgpr40
	s_branch .LBB44_2214
.LBB44_2206:
	s_mov_b32 s1, -1
                                        ; implicit-def: $vgpr40
	s_branch .LBB44_2211
.LBB44_2207:
	s_mov_b32 s1, -1
                                        ; implicit-def: $vgpr40
.LBB44_2208:
	s_delay_alu instid0(SALU_CYCLE_1)
	s_and_not1_b32 vcc_lo, exec_lo, s1
	s_cbranch_vccnz .LBB44_2210
; %bb.2209:
	global_load_b32 v2, v[0:1], off
	s_wait_loadcnt 0x0
	v_cvt_f32_i32_e32 v40, v2
.LBB44_2210:
	s_mov_b32 s1, 0
.LBB44_2211:
	s_delay_alu instid0(SALU_CYCLE_1)
	s_and_not1_b32 vcc_lo, exec_lo, s1
	s_cbranch_vccnz .LBB44_2213
; %bb.2212:
	global_load_i16 v2, v[0:1], off
	s_wait_loadcnt 0x0
	v_cvt_f32_i32_e32 v40, v2
.LBB44_2213:
	s_mov_b32 s1, 0
.LBB44_2214:
	s_delay_alu instid0(SALU_CYCLE_1)
	s_and_not1_b32 vcc_lo, exec_lo, s1
	s_cbranch_vccnz .LBB44_2220
; %bb.2215:
	s_cmp_gt_i32 s0, 0
	s_mov_b32 s0, 0
	s_cbranch_scc0 .LBB44_2217
; %bb.2216:
	global_load_i8 v2, v[0:1], off
	s_wait_loadcnt 0x0
	v_cvt_f32_i32_e32 v40, v2
	s_branch .LBB44_2218
.LBB44_2217:
	s_mov_b32 s0, -1
                                        ; implicit-def: $vgpr40
.LBB44_2218:
	s_delay_alu instid0(SALU_CYCLE_1)
	s_and_not1_b32 vcc_lo, exec_lo, s0
	s_cbranch_vccnz .LBB44_2220
; %bb.2219:
	global_load_u8 v0, v[0:1], off
	s_wait_loadcnt 0x0
	v_cvt_f32_ubyte0_e32 v40, v0
.LBB44_2220:
	s_mov_b32 s3, -1
.LBB44_2221:
	s_delay_alu instid0(SALU_CYCLE_1)
	s_and_not1_b32 vcc_lo, exec_lo, s3
	s_cbranch_vccnz .LBB44_2624
; %bb.2222:
	v_add_nc_u32_e32 v58, s50, v46
	s_cmp_lt_i32 s47, 11
	s_delay_alu instid0(VALU_DEP_1) | instskip(SKIP_1) | instid1(VALU_DEP_1)
	v_ashrrev_i32_e32 v59, 31, v58
	s_wait_xcnt 0x0
	v_add_nc_u64_e32 v[0:1], s[34:35], v[58:59]
	s_cbranch_scc1 .LBB44_2229
; %bb.2223:
	s_cmp_gt_i32 s47, 25
	s_mov_b32 s1, 0
	s_cbranch_scc0 .LBB44_2230
; %bb.2224:
	s_cmp_gt_i32 s47, 28
	s_cbranch_scc0 .LBB44_2231
; %bb.2225:
	s_cmp_gt_i32 s47, 43
	;; [unrolled: 3-line block ×3, first 2 shown]
	s_cbranch_scc0 .LBB44_2234
; %bb.2227:
	s_cmp_eq_u32 s47, 46
	s_mov_b32 s3, 0
	s_cbranch_scc0 .LBB44_2237
; %bb.2228:
	global_load_b32 v2, v[0:1], off
	s_mov_b32 s0, 0
	s_mov_b32 s2, -1
	s_wait_loadcnt 0x0
	v_lshlrev_b32_e32 v43, 16, v2
	s_branch .LBB44_2239
.LBB44_2229:
	s_mov_b32 s0, -1
	s_mov_b32 s2, 0
                                        ; implicit-def: $vgpr43
	s_branch .LBB44_2305
.LBB44_2230:
	s_mov_b32 s3, -1
	s_mov_b32 s2, 0
	s_mov_b32 s0, 0
                                        ; implicit-def: $vgpr43
	s_branch .LBB44_2268
.LBB44_2231:
	s_mov_b32 s3, -1
	s_mov_b32 s2, 0
	s_mov_b32 s0, 0
                                        ; implicit-def: $vgpr43
	s_branch .LBB44_2249
.LBB44_2232:
	s_mov_b32 s3, -1
	s_mov_b32 s2, 0
	s_mov_b32 s0, 0
                                        ; implicit-def: $vgpr43
	s_branch .LBB44_2244
.LBB44_2233:
	s_or_b32 s52, s52, exec_lo
	s_trap 2
	s_cbranch_execz .LBB44_2170
	s_branch .LBB44_2171
.LBB44_2234:
	s_mov_b32 s3, -1
	s_mov_b32 s2, 0
	s_mov_b32 s0, 0
	s_branch .LBB44_2238
.LBB44_2235:
	s_and_not1_saveexec_b32 s5, s5
	s_cbranch_execz .LBB44_1101
.LBB44_2236:
	v_add_f32_e64 v1, 0x42800000, |v0|
	s_and_not1_b32 s4, s4, exec_lo
	s_delay_alu instid0(VALU_DEP_1) | instskip(NEXT) | instid1(VALU_DEP_1)
	v_and_b32_e32 v1, 0xff, v1
	v_cmp_ne_u32_e32 vcc_lo, 0, v1
	s_and_b32 s6, vcc_lo, exec_lo
	s_delay_alu instid0(SALU_CYCLE_1)
	s_or_b32 s4, s4, s6
	s_or_b32 exec_lo, exec_lo, s5
	v_mov_b32_e32 v4, 0
	s_and_saveexec_b32 s5, s4
	s_cbranch_execnz .LBB44_1102
	s_branch .LBB44_1103
.LBB44_2237:
	s_mov_b32 s0, -1
	s_mov_b32 s2, 0
.LBB44_2238:
                                        ; implicit-def: $vgpr43
.LBB44_2239:
	s_and_b32 vcc_lo, exec_lo, s3
	s_cbranch_vccz .LBB44_2243
; %bb.2240:
	s_cmp_eq_u32 s47, 44
	s_cbranch_scc0 .LBB44_2242
; %bb.2241:
	global_load_u8 v2, v[0:1], off
	s_mov_b32 s0, 0
	s_mov_b32 s2, -1
	s_wait_loadcnt 0x0
	v_lshlrev_b32_e32 v3, 23, v2
	v_cmp_ne_u32_e32 vcc_lo, 0xff, v2
	s_delay_alu instid0(VALU_DEP_2) | instskip(SKIP_1) | instid1(VALU_DEP_2)
	v_cndmask_b32_e32 v3, 0x7f800001, v3, vcc_lo
	v_cmp_ne_u32_e32 vcc_lo, 0, v2
	v_cndmask_b32_e32 v43, 0x400000, v3, vcc_lo
	s_branch .LBB44_2243
.LBB44_2242:
	s_mov_b32 s0, -1
                                        ; implicit-def: $vgpr43
.LBB44_2243:
	s_mov_b32 s3, 0
.LBB44_2244:
	s_delay_alu instid0(SALU_CYCLE_1)
	s_and_b32 vcc_lo, exec_lo, s3
	s_cbranch_vccz .LBB44_2248
; %bb.2245:
	s_cmp_eq_u32 s47, 29
	s_cbranch_scc0 .LBB44_2247
; %bb.2246:
	global_load_b64 v[2:3], v[0:1], off
	s_mov_b32 s0, 0
	s_mov_b32 s2, -1
	s_mov_b32 s3, 0
	s_wait_loadcnt 0x0
	v_clz_i32_u32_e32 v4, v3
	s_delay_alu instid0(VALU_DEP_1) | instskip(NEXT) | instid1(VALU_DEP_1)
	v_min_u32_e32 v4, 32, v4
	v_lshlrev_b64_e32 v[2:3], v4, v[2:3]
	s_delay_alu instid0(VALU_DEP_1) | instskip(NEXT) | instid1(VALU_DEP_1)
	v_min_u32_e32 v2, 1, v2
	v_dual_sub_nc_u32 v3, 32, v4 :: v_dual_bitop2_b32 v2, v3, v2 bitop3:0x54
	s_delay_alu instid0(VALU_DEP_1) | instskip(NEXT) | instid1(VALU_DEP_1)
	v_cvt_f32_u32_e32 v2, v2
	v_ldexp_f32 v43, v2, v3
	s_branch .LBB44_2249
.LBB44_2247:
	s_mov_b32 s0, -1
                                        ; implicit-def: $vgpr43
.LBB44_2248:
	s_mov_b32 s3, 0
.LBB44_2249:
	s_delay_alu instid0(SALU_CYCLE_1)
	s_and_b32 vcc_lo, exec_lo, s3
	s_cbranch_vccz .LBB44_2267
; %bb.2250:
	s_cmp_lt_i32 s47, 27
	s_cbranch_scc1 .LBB44_2253
; %bb.2251:
	s_cmp_gt_i32 s47, 27
	s_cbranch_scc0 .LBB44_2254
; %bb.2252:
	global_load_b32 v2, v[0:1], off
	s_mov_b32 s2, 0
	s_wait_loadcnt 0x0
	v_cvt_f32_u32_e32 v43, v2
	s_branch .LBB44_2255
.LBB44_2253:
	s_mov_b32 s2, -1
                                        ; implicit-def: $vgpr43
	s_branch .LBB44_2258
.LBB44_2254:
	s_mov_b32 s2, -1
                                        ; implicit-def: $vgpr43
.LBB44_2255:
	s_delay_alu instid0(SALU_CYCLE_1)
	s_and_not1_b32 vcc_lo, exec_lo, s2
	s_cbranch_vccnz .LBB44_2257
; %bb.2256:
	global_load_u16 v2, v[0:1], off
	s_wait_loadcnt 0x0
	v_cvt_f32_u32_e32 v43, v2
.LBB44_2257:
	s_mov_b32 s2, 0
.LBB44_2258:
	s_delay_alu instid0(SALU_CYCLE_1)
	s_and_not1_b32 vcc_lo, exec_lo, s2
	s_cbranch_vccnz .LBB44_2266
; %bb.2259:
	global_load_u8 v2, v[0:1], off
	s_mov_b32 s2, 0
	s_mov_b32 s3, exec_lo
	s_wait_loadcnt 0x0
	v_cmpx_lt_i16_e32 0x7f, v2
	s_xor_b32 s3, exec_lo, s3
	s_cbranch_execz .LBB44_2280
; %bb.2260:
	s_mov_b32 s2, -1
	s_mov_b32 s4, exec_lo
	v_cmpx_eq_u16_e32 0x80, v2
; %bb.2261:
	s_xor_b32 s2, exec_lo, -1
; %bb.2262:
	s_or_b32 exec_lo, exec_lo, s4
	s_delay_alu instid0(SALU_CYCLE_1)
	s_and_b32 s2, s2, exec_lo
	s_or_saveexec_b32 s3, s3
	v_mov_b32_e32 v43, 0x7f800001
	s_xor_b32 exec_lo, exec_lo, s3
	s_cbranch_execnz .LBB44_2281
.LBB44_2263:
	s_or_b32 exec_lo, exec_lo, s3
	s_and_saveexec_b32 s3, s2
	s_cbranch_execz .LBB44_2265
.LBB44_2264:
	v_and_b32_e32 v3, 0xffff, v2
	s_delay_alu instid0(VALU_DEP_1) | instskip(SKIP_1) | instid1(VALU_DEP_2)
	v_and_b32_e32 v4, 7, v3
	v_bfe_u32 v7, v3, 3, 4
	v_clz_i32_u32_e32 v5, v4
	s_delay_alu instid0(VALU_DEP_2) | instskip(NEXT) | instid1(VALU_DEP_2)
	v_cmp_eq_u32_e32 vcc_lo, 0, v7
	v_min_u32_e32 v5, 32, v5
	s_delay_alu instid0(VALU_DEP_1) | instskip(NEXT) | instid1(VALU_DEP_1)
	v_subrev_nc_u32_e32 v6, 28, v5
	v_dual_lshlrev_b32 v3, v6, v3 :: v_dual_sub_nc_u32 v5, 29, v5
	s_delay_alu instid0(VALU_DEP_1) | instskip(NEXT) | instid1(VALU_DEP_1)
	v_dual_lshlrev_b32 v2, 24, v2 :: v_dual_bitop2_b32 v3, 7, v3 bitop3:0x40
	v_dual_cndmask_b32 v5, v7, v5, vcc_lo :: v_dual_cndmask_b32 v3, v4, v3, vcc_lo
	s_delay_alu instid0(VALU_DEP_2) | instskip(NEXT) | instid1(VALU_DEP_2)
	v_and_b32_e32 v2, 0x80000000, v2
	v_lshl_add_u32 v4, v5, 23, 0x3b800000
	s_delay_alu instid0(VALU_DEP_3) | instskip(NEXT) | instid1(VALU_DEP_1)
	v_lshlrev_b32_e32 v3, 20, v3
	v_or3_b32 v43, v2, v4, v3
.LBB44_2265:
	s_or_b32 exec_lo, exec_lo, s3
.LBB44_2266:
	s_mov_b32 s2, -1
.LBB44_2267:
	s_mov_b32 s3, 0
.LBB44_2268:
	s_delay_alu instid0(SALU_CYCLE_1)
	s_and_b32 vcc_lo, exec_lo, s3
	s_cbranch_vccz .LBB44_2301
; %bb.2269:
	s_cmp_gt_i32 s47, 22
	s_cbranch_scc0 .LBB44_2279
; %bb.2270:
	s_cmp_lt_i32 s47, 24
	s_cbranch_scc1 .LBB44_2282
; %bb.2271:
	s_cmp_gt_i32 s47, 24
	s_cbranch_scc0 .LBB44_2283
; %bb.2272:
	global_load_u8 v2, v[0:1], off
	s_mov_b32 s2, exec_lo
	s_wait_loadcnt 0x0
	v_cmpx_lt_i16_e32 0x7f, v2
	s_xor_b32 s2, exec_lo, s2
	s_cbranch_execz .LBB44_2295
; %bb.2273:
	s_mov_b32 s1, -1
	s_mov_b32 s3, exec_lo
	v_cmpx_eq_u16_e32 0x80, v2
; %bb.2274:
	s_xor_b32 s1, exec_lo, -1
; %bb.2275:
	s_or_b32 exec_lo, exec_lo, s3
	s_delay_alu instid0(SALU_CYCLE_1)
	s_and_b32 s1, s1, exec_lo
	s_or_saveexec_b32 s2, s2
	v_mov_b32_e32 v43, 0x7f800001
	s_xor_b32 exec_lo, exec_lo, s2
	s_cbranch_execnz .LBB44_2296
.LBB44_2276:
	s_or_b32 exec_lo, exec_lo, s2
	s_and_saveexec_b32 s2, s1
	s_cbranch_execz .LBB44_2278
.LBB44_2277:
	v_and_b32_e32 v3, 0xffff, v2
	s_delay_alu instid0(VALU_DEP_1) | instskip(SKIP_1) | instid1(VALU_DEP_2)
	v_and_b32_e32 v4, 3, v3
	v_bfe_u32 v7, v3, 2, 5
	v_clz_i32_u32_e32 v5, v4
	s_delay_alu instid0(VALU_DEP_2) | instskip(NEXT) | instid1(VALU_DEP_2)
	v_cmp_eq_u32_e32 vcc_lo, 0, v7
	v_min_u32_e32 v5, 32, v5
	s_delay_alu instid0(VALU_DEP_1) | instskip(NEXT) | instid1(VALU_DEP_1)
	v_subrev_nc_u32_e32 v6, 29, v5
	v_dual_lshlrev_b32 v3, v6, v3 :: v_dual_sub_nc_u32 v5, 30, v5
	s_delay_alu instid0(VALU_DEP_1) | instskip(NEXT) | instid1(VALU_DEP_1)
	v_dual_lshlrev_b32 v2, 24, v2 :: v_dual_bitop2_b32 v3, 3, v3 bitop3:0x40
	v_dual_cndmask_b32 v5, v7, v5, vcc_lo :: v_dual_cndmask_b32 v3, v4, v3, vcc_lo
	s_delay_alu instid0(VALU_DEP_2) | instskip(NEXT) | instid1(VALU_DEP_2)
	v_and_b32_e32 v2, 0x80000000, v2
	v_lshl_add_u32 v4, v5, 23, 0x37800000
	s_delay_alu instid0(VALU_DEP_3) | instskip(NEXT) | instid1(VALU_DEP_1)
	v_lshlrev_b32_e32 v3, 21, v3
	v_or3_b32 v43, v2, v4, v3
.LBB44_2278:
	s_or_b32 exec_lo, exec_lo, s2
	s_mov_b32 s1, 0
	s_branch .LBB44_2284
.LBB44_2279:
	s_mov_b32 s1, -1
                                        ; implicit-def: $vgpr43
	s_branch .LBB44_2290
.LBB44_2280:
	s_or_saveexec_b32 s3, s3
	v_mov_b32_e32 v43, 0x7f800001
	s_xor_b32 exec_lo, exec_lo, s3
	s_cbranch_execz .LBB44_2263
.LBB44_2281:
	v_cmp_ne_u16_e32 vcc_lo, 0, v2
	v_mov_b32_e32 v43, 0
	s_and_not1_b32 s2, s2, exec_lo
	s_and_b32 s4, vcc_lo, exec_lo
	s_delay_alu instid0(SALU_CYCLE_1)
	s_or_b32 s2, s2, s4
	s_or_b32 exec_lo, exec_lo, s3
	s_and_saveexec_b32 s3, s2
	s_cbranch_execnz .LBB44_2264
	s_branch .LBB44_2265
.LBB44_2282:
	s_mov_b32 s1, -1
                                        ; implicit-def: $vgpr43
	s_branch .LBB44_2287
.LBB44_2283:
	s_mov_b32 s1, -1
                                        ; implicit-def: $vgpr43
.LBB44_2284:
	s_delay_alu instid0(SALU_CYCLE_1)
	s_and_b32 vcc_lo, exec_lo, s1
	s_cbranch_vccz .LBB44_2286
; %bb.2285:
	global_load_u8 v2, v[0:1], off
	s_wait_loadcnt 0x0
	v_lshlrev_b32_e32 v2, 24, v2
	s_delay_alu instid0(VALU_DEP_1) | instskip(NEXT) | instid1(VALU_DEP_1)
	v_and_b32_e32 v3, 0x7f000000, v2
	v_clz_i32_u32_e32 v4, v3
	v_cmp_ne_u32_e32 vcc_lo, 0, v3
	v_add_nc_u32_e32 v6, 0x1000000, v3
	s_delay_alu instid0(VALU_DEP_3) | instskip(NEXT) | instid1(VALU_DEP_1)
	v_min_u32_e32 v4, 32, v4
	v_sub_nc_u32_e64 v4, v4, 4 clamp
	s_delay_alu instid0(VALU_DEP_1) | instskip(NEXT) | instid1(VALU_DEP_1)
	v_dual_lshlrev_b32 v5, v4, v3 :: v_dual_lshlrev_b32 v4, 23, v4
	v_lshrrev_b32_e32 v5, 4, v5
	s_delay_alu instid0(VALU_DEP_1) | instskip(NEXT) | instid1(VALU_DEP_1)
	v_dual_sub_nc_u32 v4, v5, v4 :: v_dual_ashrrev_i32 v5, 8, v6
	v_add_nc_u32_e32 v4, 0x3c000000, v4
	s_delay_alu instid0(VALU_DEP_1) | instskip(NEXT) | instid1(VALU_DEP_1)
	v_and_or_b32 v4, 0x7f800000, v5, v4
	v_cndmask_b32_e32 v3, 0, v4, vcc_lo
	s_delay_alu instid0(VALU_DEP_1)
	v_and_or_b32 v43, 0x80000000, v2, v3
.LBB44_2286:
	s_mov_b32 s1, 0
.LBB44_2287:
	s_delay_alu instid0(SALU_CYCLE_1)
	s_and_not1_b32 vcc_lo, exec_lo, s1
	s_cbranch_vccnz .LBB44_2289
; %bb.2288:
	global_load_u8 v2, v[0:1], off
	s_wait_loadcnt 0x0
	v_lshlrev_b32_e32 v3, 25, v2
	v_lshlrev_b16 v2, 8, v2
	s_delay_alu instid0(VALU_DEP_1) | instskip(SKIP_1) | instid1(VALU_DEP_2)
	v_and_or_b32 v5, 0x7f00, v2, 0.5
	v_bfe_i32 v2, v2, 0, 16
	v_dual_add_f32 v5, -0.5, v5 :: v_dual_lshrrev_b32 v4, 4, v3
	v_cmp_gt_u32_e32 vcc_lo, 0x8000000, v3
	s_delay_alu instid0(VALU_DEP_2) | instskip(NEXT) | instid1(VALU_DEP_1)
	v_or_b32_e32 v4, 0x70000000, v4
	v_mul_f32_e32 v4, 0x7800000, v4
	s_delay_alu instid0(VALU_DEP_1) | instskip(NEXT) | instid1(VALU_DEP_1)
	v_cndmask_b32_e32 v3, v4, v5, vcc_lo
	v_and_or_b32 v43, 0x80000000, v2, v3
.LBB44_2289:
	s_mov_b32 s1, 0
	s_mov_b32 s2, -1
.LBB44_2290:
	s_and_not1_b32 vcc_lo, exec_lo, s1
	s_mov_b32 s1, 0
	s_cbranch_vccnz .LBB44_2301
; %bb.2291:
	s_cmp_gt_i32 s47, 14
	s_cbranch_scc0 .LBB44_2294
; %bb.2292:
	s_cmp_eq_u32 s47, 15
	s_cbranch_scc0 .LBB44_2297
; %bb.2293:
	global_load_u16 v2, v[0:1], off
	s_mov_b32 s0, 0
	s_mov_b32 s2, -1
	s_wait_loadcnt 0x0
	v_lshlrev_b32_e32 v43, 16, v2
	s_branch .LBB44_2299
.LBB44_2294:
	s_mov_b32 s1, -1
	s_branch .LBB44_2298
.LBB44_2295:
	s_or_saveexec_b32 s2, s2
	v_mov_b32_e32 v43, 0x7f800001
	s_xor_b32 exec_lo, exec_lo, s2
	s_cbranch_execz .LBB44_2276
.LBB44_2296:
	v_cmp_ne_u16_e32 vcc_lo, 0, v2
	v_mov_b32_e32 v43, 0
	s_and_not1_b32 s1, s1, exec_lo
	s_and_b32 s3, vcc_lo, exec_lo
	s_delay_alu instid0(SALU_CYCLE_1)
	s_or_b32 s1, s1, s3
	s_or_b32 exec_lo, exec_lo, s2
	s_and_saveexec_b32 s2, s1
	s_cbranch_execnz .LBB44_2277
	s_branch .LBB44_2278
.LBB44_2297:
	s_mov_b32 s0, -1
.LBB44_2298:
                                        ; implicit-def: $vgpr43
.LBB44_2299:
	s_and_b32 vcc_lo, exec_lo, s1
	s_mov_b32 s1, 0
	s_cbranch_vccz .LBB44_2301
; %bb.2300:
	s_cmp_lg_u32 s47, 11
	s_mov_b32 s1, -1
	s_cselect_b32 s0, -1, 0
.LBB44_2301:
	s_delay_alu instid0(SALU_CYCLE_1)
	s_and_b32 vcc_lo, exec_lo, s0
	s_cbranch_vccnz .LBB44_2371
; %bb.2302:
	s_and_not1_b32 vcc_lo, exec_lo, s1
	s_cbranch_vccnz .LBB44_2304
.LBB44_2303:
	global_load_u8 v2, v[0:1], off
	s_mov_b32 s2, -1
	s_wait_loadcnt 0x0
	v_cmp_ne_u16_e32 vcc_lo, 0, v2
	v_cndmask_b32_e64 v43, 0, 1.0, vcc_lo
.LBB44_2304:
	s_mov_b32 s0, 0
.LBB44_2305:
	s_delay_alu instid0(SALU_CYCLE_1)
	s_and_b32 vcc_lo, exec_lo, s0
	s_cbranch_vccz .LBB44_2354
; %bb.2306:
	s_cmp_lt_i32 s47, 5
	s_cbranch_scc1 .LBB44_2311
; %bb.2307:
	s_cmp_lt_i32 s47, 8
	s_cbranch_scc1 .LBB44_2312
	;; [unrolled: 3-line block ×3, first 2 shown]
; %bb.2309:
	s_cmp_gt_i32 s47, 9
	s_cbranch_scc0 .LBB44_2314
; %bb.2310:
	global_load_b64 v[2:3], v[0:1], off
	s_mov_b32 s0, 0
	s_wait_loadcnt 0x0
	v_cvt_f32_f64_e32 v43, v[2:3]
	s_branch .LBB44_2315
.LBB44_2311:
	s_mov_b32 s0, -1
                                        ; implicit-def: $vgpr43
	s_branch .LBB44_2333
.LBB44_2312:
	s_mov_b32 s0, -1
                                        ; implicit-def: $vgpr43
	s_branch .LBB44_2321
.LBB44_2313:
	s_mov_b32 s0, -1
                                        ; implicit-def: $vgpr43
	s_branch .LBB44_2318
.LBB44_2314:
	s_mov_b32 s0, -1
                                        ; implicit-def: $vgpr43
.LBB44_2315:
	s_delay_alu instid0(SALU_CYCLE_1)
	s_and_not1_b32 vcc_lo, exec_lo, s0
	s_cbranch_vccnz .LBB44_2317
; %bb.2316:
	s_wait_loadcnt 0x0
	global_load_b32 v43, v[0:1], off
.LBB44_2317:
	s_mov_b32 s0, 0
.LBB44_2318:
	s_delay_alu instid0(SALU_CYCLE_1)
	s_and_not1_b32 vcc_lo, exec_lo, s0
	s_cbranch_vccnz .LBB44_2320
; %bb.2319:
	global_load_b32 v2, v[0:1], off
	s_wait_loadcnt 0x0
	v_cvt_f32_f16_e32 v43, v2
.LBB44_2320:
	s_mov_b32 s0, 0
.LBB44_2321:
	s_delay_alu instid0(SALU_CYCLE_1)
	s_and_not1_b32 vcc_lo, exec_lo, s0
	s_cbranch_vccnz .LBB44_2332
; %bb.2322:
	s_cmp_lt_i32 s47, 6
	s_cbranch_scc1 .LBB44_2325
; %bb.2323:
	s_cmp_gt_i32 s47, 6
	s_cbranch_scc0 .LBB44_2326
; %bb.2324:
	global_load_b64 v[2:3], v[0:1], off
	s_mov_b32 s0, 0
	s_wait_loadcnt 0x0
	v_cvt_f32_f64_e32 v43, v[2:3]
	s_branch .LBB44_2327
.LBB44_2325:
	s_mov_b32 s0, -1
                                        ; implicit-def: $vgpr43
	s_branch .LBB44_2330
.LBB44_2326:
	s_mov_b32 s0, -1
                                        ; implicit-def: $vgpr43
.LBB44_2327:
	s_delay_alu instid0(SALU_CYCLE_1)
	s_and_not1_b32 vcc_lo, exec_lo, s0
	s_cbranch_vccnz .LBB44_2329
; %bb.2328:
	s_wait_loadcnt 0x0
	global_load_b32 v43, v[0:1], off
.LBB44_2329:
	s_mov_b32 s0, 0
.LBB44_2330:
	s_delay_alu instid0(SALU_CYCLE_1)
	s_and_not1_b32 vcc_lo, exec_lo, s0
	s_cbranch_vccnz .LBB44_2332
; %bb.2331:
	global_load_u16 v2, v[0:1], off
	s_wait_loadcnt 0x0
	v_cvt_f32_f16_e32 v43, v2
.LBB44_2332:
	s_mov_b32 s0, 0
.LBB44_2333:
	s_delay_alu instid0(SALU_CYCLE_1)
	s_and_not1_b32 vcc_lo, exec_lo, s0
	s_cbranch_vccnz .LBB44_2353
; %bb.2334:
	s_cmp_lt_i32 s47, 2
	s_cbranch_scc1 .LBB44_2338
; %bb.2335:
	s_cmp_lt_i32 s47, 3
	s_cbranch_scc1 .LBB44_2339
; %bb.2336:
	s_cmp_gt_i32 s47, 3
	s_cbranch_scc0 .LBB44_2340
; %bb.2337:
	global_load_b64 v[2:3], v[0:1], off
	s_mov_b32 s0, 0
	s_wait_loadcnt 0x0
	v_xor_b32_e32 v4, v2, v3
	v_cls_i32_e32 v5, v3
	s_delay_alu instid0(VALU_DEP_2) | instskip(NEXT) | instid1(VALU_DEP_1)
	v_ashrrev_i32_e32 v4, 31, v4
	v_add_nc_u32_e32 v4, 32, v4
	s_delay_alu instid0(VALU_DEP_1) | instskip(NEXT) | instid1(VALU_DEP_1)
	v_add_min_u32_e64 v4, v5, -1, v4
	v_lshlrev_b64_e32 v[2:3], v4, v[2:3]
	s_delay_alu instid0(VALU_DEP_1) | instskip(NEXT) | instid1(VALU_DEP_1)
	v_min_u32_e32 v2, 1, v2
	v_dual_sub_nc_u32 v3, 32, v4 :: v_dual_bitop2_b32 v2, v3, v2 bitop3:0x54
	s_delay_alu instid0(VALU_DEP_1) | instskip(NEXT) | instid1(VALU_DEP_1)
	v_cvt_f32_i32_e32 v2, v2
	v_ldexp_f32 v43, v2, v3
	s_branch .LBB44_2341
.LBB44_2338:
	s_mov_b32 s0, -1
                                        ; implicit-def: $vgpr43
	s_branch .LBB44_2347
.LBB44_2339:
	s_mov_b32 s0, -1
                                        ; implicit-def: $vgpr43
	s_branch .LBB44_2344
.LBB44_2340:
	s_mov_b32 s0, -1
                                        ; implicit-def: $vgpr43
.LBB44_2341:
	s_delay_alu instid0(SALU_CYCLE_1)
	s_and_not1_b32 vcc_lo, exec_lo, s0
	s_cbranch_vccnz .LBB44_2343
; %bb.2342:
	global_load_b32 v2, v[0:1], off
	s_wait_loadcnt 0x0
	v_cvt_f32_i32_e32 v43, v2
.LBB44_2343:
	s_mov_b32 s0, 0
.LBB44_2344:
	s_delay_alu instid0(SALU_CYCLE_1)
	s_and_not1_b32 vcc_lo, exec_lo, s0
	s_cbranch_vccnz .LBB44_2346
; %bb.2345:
	global_load_i16 v2, v[0:1], off
	s_wait_loadcnt 0x0
	v_cvt_f32_i32_e32 v43, v2
.LBB44_2346:
	s_mov_b32 s0, 0
.LBB44_2347:
	s_delay_alu instid0(SALU_CYCLE_1)
	s_and_not1_b32 vcc_lo, exec_lo, s0
	s_cbranch_vccnz .LBB44_2353
; %bb.2348:
	s_cmp_gt_i32 s47, 0
	s_mov_b32 s0, 0
	s_cbranch_scc0 .LBB44_2350
; %bb.2349:
	global_load_i8 v2, v[0:1], off
	s_wait_loadcnt 0x0
	v_cvt_f32_i32_e32 v43, v2
	s_branch .LBB44_2351
.LBB44_2350:
	s_mov_b32 s0, -1
                                        ; implicit-def: $vgpr43
.LBB44_2351:
	s_delay_alu instid0(SALU_CYCLE_1)
	s_and_not1_b32 vcc_lo, exec_lo, s0
	s_cbranch_vccnz .LBB44_2353
; %bb.2352:
	global_load_u8 v0, v[0:1], off
	s_wait_loadcnt 0x0
	v_cvt_f32_ubyte0_e32 v43, v0
.LBB44_2353:
	s_mov_b32 s2, -1
.LBB44_2354:
	s_delay_alu instid0(SALU_CYCLE_1)
	s_and_not1_b32 vcc_lo, exec_lo, s2
	s_cbranch_vccnz .LBB44_2624
; %bb.2355:
	s_and_b32 vcc_lo, exec_lo, s51
	s_cbranch_vccz .LBB44_2357
; %bb.2356:
	s_wait_loadcnt 0x0
	s_delay_alu instid0(VALU_DEP_1) | instskip(SKIP_2) | instid1(SALU_CYCLE_1)
	v_dual_mov_b32 v0, v40 :: v_dual_mov_b32 v1, v43
	s_get_pc_i64 s[0:1]
	s_add_nc_u64 s[0:1], s[0:1], _ZN12_GLOBAL__N_111calc_igammaIfEET_S1_S1_@rel64+4
	s_swap_pc_i64 s[30:31], s[0:1]
	s_delay_alu instid0(VALU_DEP_1)
	v_mov_b32_e32 v46, v0
	s_mov_b32 s0, 0
	s_branch .LBB44_2358
.LBB44_2357:
	s_mov_b32 s0, -1
                                        ; implicit-def: $vgpr46
.LBB44_2358:
	s_delay_alu instid0(SALU_CYCLE_1)
	s_and_not1_b32 vcc_lo, exec_lo, s0
	s_cbranch_vccnz .LBB44_2360
; %bb.2359:
	s_wait_loadcnt 0x0
	s_delay_alu instid0(VALU_DEP_1) | instskip(SKIP_2) | instid1(SALU_CYCLE_1)
	v_dual_mov_b32 v0, v40 :: v_dual_mov_b32 v1, v43
	s_get_pc_i64 s[0:1]
	s_add_nc_u64 s[0:1], s[0:1], _ZN12_GLOBAL__N_112calc_igammacIfEET_S1_S1_@rel64+4
	s_swap_pc_i64 s[30:31], s[0:1]
	s_delay_alu instid0(VALU_DEP_1)
	v_mov_b32_e32 v46, v0
.LBB44_2360:
	s_wait_xcnt 0x0
	v_add_nc_u32_e32 v0, s49, v56
	s_cmp_lt_i32 s53, 11
	s_delay_alu instid0(VALU_DEP_1) | instskip(NEXT) | instid1(VALU_DEP_1)
	v_ashrrev_i32_e32 v1, 31, v0
	v_add_nc_u64_e32 v[0:1], s[38:39], v[0:1]
	s_cbranch_scc1 .LBB44_2367
; %bb.2361:
	s_and_b32 s0, 0xffff, s53
	s_mov_b32 s2, 0
	s_cmp_gt_i32 s0, 25
	s_cbranch_scc0 .LBB44_2368
; %bb.2362:
	s_cmp_gt_i32 s0, 28
	s_cbranch_scc0 .LBB44_2369
; %bb.2363:
	s_cmp_gt_i32 s0, 43
	s_cbranch_scc0 .LBB44_2370
; %bb.2364:
	s_cmp_gt_i32 s0, 45
	s_cbranch_scc0 .LBB44_2372
; %bb.2365:
	s_cmp_eq_u32 s0, 46
	s_mov_b32 s4, 0
	s_cbranch_scc0 .LBB44_2373
; %bb.2366:
	global_load_b32 v2, v[0:1], off
	s_mov_b32 s1, 0
	s_mov_b32 s3, -1
	s_wait_loadcnt 0x0
	v_lshlrev_b32_e32 v40, 16, v2
	s_branch .LBB44_2375
.LBB44_2367:
	s_mov_b32 s0, -1
	s_mov_b32 s3, 0
                                        ; implicit-def: $vgpr40
	s_branch .LBB44_2441
.LBB44_2368:
	s_mov_b32 s4, -1
	s_mov_b32 s3, 0
	s_mov_b32 s1, 0
                                        ; implicit-def: $vgpr40
	s_branch .LBB44_2404
.LBB44_2369:
	s_mov_b32 s4, -1
	s_mov_b32 s3, 0
	s_mov_b32 s1, 0
                                        ; implicit-def: $vgpr40
	s_branch .LBB44_2385
.LBB44_2370:
	s_mov_b32 s4, -1
	s_mov_b32 s3, 0
	s_mov_b32 s1, 0
                                        ; implicit-def: $vgpr40
	s_branch .LBB44_2380
.LBB44_2371:
	s_or_b32 s52, s52, exec_lo
	s_trap 2
	s_cbranch_execz .LBB44_2303
	s_branch .LBB44_2304
.LBB44_2372:
	s_mov_b32 s4, -1
	s_mov_b32 s3, 0
	s_mov_b32 s1, 0
	s_branch .LBB44_2374
.LBB44_2373:
	s_mov_b32 s1, -1
	s_mov_b32 s3, 0
.LBB44_2374:
                                        ; implicit-def: $vgpr40
.LBB44_2375:
	s_and_b32 vcc_lo, exec_lo, s4
	s_cbranch_vccz .LBB44_2379
; %bb.2376:
	s_cmp_eq_u32 s0, 44
	s_cbranch_scc0 .LBB44_2378
; %bb.2377:
	global_load_u8 v2, v[0:1], off
	s_mov_b32 s1, 0
	s_mov_b32 s3, -1
	s_wait_loadcnt 0x0
	v_lshlrev_b32_e32 v3, 23, v2
	v_cmp_ne_u32_e32 vcc_lo, 0xff, v2
	s_delay_alu instid0(VALU_DEP_2) | instskip(SKIP_1) | instid1(VALU_DEP_2)
	v_cndmask_b32_e32 v3, 0x7f800001, v3, vcc_lo
	v_cmp_ne_u32_e32 vcc_lo, 0, v2
	v_cndmask_b32_e32 v40, 0x400000, v3, vcc_lo
	s_branch .LBB44_2379
.LBB44_2378:
	s_mov_b32 s1, -1
                                        ; implicit-def: $vgpr40
.LBB44_2379:
	s_mov_b32 s4, 0
.LBB44_2380:
	s_delay_alu instid0(SALU_CYCLE_1)
	s_and_b32 vcc_lo, exec_lo, s4
	s_cbranch_vccz .LBB44_2384
; %bb.2381:
	s_cmp_eq_u32 s0, 29
	s_cbranch_scc0 .LBB44_2383
; %bb.2382:
	global_load_b64 v[2:3], v[0:1], off
	s_mov_b32 s1, 0
	s_mov_b32 s3, -1
	s_mov_b32 s4, 0
	s_wait_loadcnt 0x0
	v_clz_i32_u32_e32 v4, v3
	s_delay_alu instid0(VALU_DEP_1) | instskip(NEXT) | instid1(VALU_DEP_1)
	v_min_u32_e32 v4, 32, v4
	v_lshlrev_b64_e32 v[2:3], v4, v[2:3]
	s_delay_alu instid0(VALU_DEP_1) | instskip(NEXT) | instid1(VALU_DEP_1)
	v_min_u32_e32 v2, 1, v2
	v_dual_sub_nc_u32 v3, 32, v4 :: v_dual_bitop2_b32 v2, v3, v2 bitop3:0x54
	s_delay_alu instid0(VALU_DEP_1) | instskip(NEXT) | instid1(VALU_DEP_1)
	v_cvt_f32_u32_e32 v2, v2
	v_ldexp_f32 v40, v2, v3
	s_branch .LBB44_2385
.LBB44_2383:
	s_mov_b32 s1, -1
                                        ; implicit-def: $vgpr40
.LBB44_2384:
	s_mov_b32 s4, 0
.LBB44_2385:
	s_delay_alu instid0(SALU_CYCLE_1)
	s_and_b32 vcc_lo, exec_lo, s4
	s_cbranch_vccz .LBB44_2403
; %bb.2386:
	s_cmp_lt_i32 s0, 27
	s_cbranch_scc1 .LBB44_2389
; %bb.2387:
	s_cmp_gt_i32 s0, 27
	s_cbranch_scc0 .LBB44_2390
; %bb.2388:
	global_load_b32 v2, v[0:1], off
	s_mov_b32 s3, 0
	s_wait_loadcnt 0x0
	v_cvt_f32_u32_e32 v40, v2
	s_branch .LBB44_2391
.LBB44_2389:
	s_mov_b32 s3, -1
                                        ; implicit-def: $vgpr40
	s_branch .LBB44_2394
.LBB44_2390:
	s_mov_b32 s3, -1
                                        ; implicit-def: $vgpr40
.LBB44_2391:
	s_delay_alu instid0(SALU_CYCLE_1)
	s_and_not1_b32 vcc_lo, exec_lo, s3
	s_cbranch_vccnz .LBB44_2393
; %bb.2392:
	global_load_u16 v2, v[0:1], off
	s_wait_loadcnt 0x0
	v_cvt_f32_u32_e32 v40, v2
.LBB44_2393:
	s_mov_b32 s3, 0
.LBB44_2394:
	s_delay_alu instid0(SALU_CYCLE_1)
	s_and_not1_b32 vcc_lo, exec_lo, s3
	s_cbranch_vccnz .LBB44_2402
; %bb.2395:
	global_load_u8 v2, v[0:1], off
	s_mov_b32 s3, 0
	s_mov_b32 s4, exec_lo
	s_wait_loadcnt 0x0
	v_cmpx_lt_i16_e32 0x7f, v2
	s_xor_b32 s4, exec_lo, s4
	s_cbranch_execz .LBB44_2416
; %bb.2396:
	s_mov_b32 s3, -1
	s_mov_b32 s5, exec_lo
	v_cmpx_eq_u16_e32 0x80, v2
; %bb.2397:
	s_xor_b32 s3, exec_lo, -1
; %bb.2398:
	s_or_b32 exec_lo, exec_lo, s5
	s_delay_alu instid0(SALU_CYCLE_1)
	s_and_b32 s3, s3, exec_lo
	s_or_saveexec_b32 s4, s4
	v_mov_b32_e32 v40, 0x7f800001
	s_xor_b32 exec_lo, exec_lo, s4
	s_cbranch_execnz .LBB44_2417
.LBB44_2399:
	s_or_b32 exec_lo, exec_lo, s4
	s_and_saveexec_b32 s4, s3
	s_cbranch_execz .LBB44_2401
.LBB44_2400:
	v_and_b32_e32 v3, 0xffff, v2
	s_delay_alu instid0(VALU_DEP_1) | instskip(SKIP_1) | instid1(VALU_DEP_2)
	v_and_b32_e32 v4, 7, v3
	v_bfe_u32 v7, v3, 3, 4
	v_clz_i32_u32_e32 v5, v4
	s_delay_alu instid0(VALU_DEP_2) | instskip(NEXT) | instid1(VALU_DEP_2)
	v_cmp_eq_u32_e32 vcc_lo, 0, v7
	v_min_u32_e32 v5, 32, v5
	s_delay_alu instid0(VALU_DEP_1) | instskip(NEXT) | instid1(VALU_DEP_1)
	v_subrev_nc_u32_e32 v6, 28, v5
	v_dual_lshlrev_b32 v3, v6, v3 :: v_dual_sub_nc_u32 v5, 29, v5
	s_delay_alu instid0(VALU_DEP_1) | instskip(NEXT) | instid1(VALU_DEP_1)
	v_dual_lshlrev_b32 v2, 24, v2 :: v_dual_bitop2_b32 v3, 7, v3 bitop3:0x40
	v_dual_cndmask_b32 v5, v7, v5, vcc_lo :: v_dual_cndmask_b32 v3, v4, v3, vcc_lo
	s_delay_alu instid0(VALU_DEP_2) | instskip(NEXT) | instid1(VALU_DEP_2)
	v_and_b32_e32 v2, 0x80000000, v2
	v_lshl_add_u32 v4, v5, 23, 0x3b800000
	s_delay_alu instid0(VALU_DEP_3) | instskip(NEXT) | instid1(VALU_DEP_1)
	v_lshlrev_b32_e32 v3, 20, v3
	v_or3_b32 v40, v2, v4, v3
.LBB44_2401:
	s_or_b32 exec_lo, exec_lo, s4
.LBB44_2402:
	s_mov_b32 s3, -1
.LBB44_2403:
	s_mov_b32 s4, 0
.LBB44_2404:
	s_delay_alu instid0(SALU_CYCLE_1)
	s_and_b32 vcc_lo, exec_lo, s4
	s_cbranch_vccz .LBB44_2437
; %bb.2405:
	s_cmp_gt_i32 s0, 22
	s_cbranch_scc0 .LBB44_2415
; %bb.2406:
	s_cmp_lt_i32 s0, 24
	s_cbranch_scc1 .LBB44_2418
; %bb.2407:
	s_cmp_gt_i32 s0, 24
	s_cbranch_scc0 .LBB44_2419
; %bb.2408:
	global_load_u8 v2, v[0:1], off
	s_mov_b32 s3, exec_lo
	s_wait_loadcnt 0x0
	v_cmpx_lt_i16_e32 0x7f, v2
	s_xor_b32 s3, exec_lo, s3
	s_cbranch_execz .LBB44_2431
; %bb.2409:
	s_mov_b32 s2, -1
	s_mov_b32 s4, exec_lo
	v_cmpx_eq_u16_e32 0x80, v2
; %bb.2410:
	s_xor_b32 s2, exec_lo, -1
; %bb.2411:
	s_or_b32 exec_lo, exec_lo, s4
	s_delay_alu instid0(SALU_CYCLE_1)
	s_and_b32 s2, s2, exec_lo
	s_or_saveexec_b32 s3, s3
	v_mov_b32_e32 v40, 0x7f800001
	s_xor_b32 exec_lo, exec_lo, s3
	s_cbranch_execnz .LBB44_2432
.LBB44_2412:
	s_or_b32 exec_lo, exec_lo, s3
	s_and_saveexec_b32 s3, s2
	s_cbranch_execz .LBB44_2414
.LBB44_2413:
	v_and_b32_e32 v3, 0xffff, v2
	s_delay_alu instid0(VALU_DEP_1) | instskip(SKIP_1) | instid1(VALU_DEP_2)
	v_and_b32_e32 v4, 3, v3
	v_bfe_u32 v7, v3, 2, 5
	v_clz_i32_u32_e32 v5, v4
	s_delay_alu instid0(VALU_DEP_2) | instskip(NEXT) | instid1(VALU_DEP_2)
	v_cmp_eq_u32_e32 vcc_lo, 0, v7
	v_min_u32_e32 v5, 32, v5
	s_delay_alu instid0(VALU_DEP_1) | instskip(NEXT) | instid1(VALU_DEP_1)
	v_subrev_nc_u32_e32 v6, 29, v5
	v_dual_lshlrev_b32 v3, v6, v3 :: v_dual_sub_nc_u32 v5, 30, v5
	s_delay_alu instid0(VALU_DEP_1) | instskip(NEXT) | instid1(VALU_DEP_1)
	v_dual_lshlrev_b32 v2, 24, v2 :: v_dual_bitop2_b32 v3, 3, v3 bitop3:0x40
	v_dual_cndmask_b32 v5, v7, v5, vcc_lo :: v_dual_cndmask_b32 v3, v4, v3, vcc_lo
	s_delay_alu instid0(VALU_DEP_2) | instskip(NEXT) | instid1(VALU_DEP_2)
	v_and_b32_e32 v2, 0x80000000, v2
	v_lshl_add_u32 v4, v5, 23, 0x37800000
	s_delay_alu instid0(VALU_DEP_3) | instskip(NEXT) | instid1(VALU_DEP_1)
	v_lshlrev_b32_e32 v3, 21, v3
	v_or3_b32 v40, v2, v4, v3
.LBB44_2414:
	s_or_b32 exec_lo, exec_lo, s3
	s_mov_b32 s2, 0
	s_branch .LBB44_2420
.LBB44_2415:
	s_mov_b32 s2, -1
                                        ; implicit-def: $vgpr40
	s_branch .LBB44_2426
.LBB44_2416:
	s_or_saveexec_b32 s4, s4
	v_mov_b32_e32 v40, 0x7f800001
	s_xor_b32 exec_lo, exec_lo, s4
	s_cbranch_execz .LBB44_2399
.LBB44_2417:
	v_cmp_ne_u16_e32 vcc_lo, 0, v2
	v_mov_b32_e32 v40, 0
	s_and_not1_b32 s3, s3, exec_lo
	s_and_b32 s5, vcc_lo, exec_lo
	s_delay_alu instid0(SALU_CYCLE_1)
	s_or_b32 s3, s3, s5
	s_or_b32 exec_lo, exec_lo, s4
	s_and_saveexec_b32 s4, s3
	s_cbranch_execnz .LBB44_2400
	s_branch .LBB44_2401
.LBB44_2418:
	s_mov_b32 s2, -1
                                        ; implicit-def: $vgpr40
	s_branch .LBB44_2423
.LBB44_2419:
	s_mov_b32 s2, -1
                                        ; implicit-def: $vgpr40
.LBB44_2420:
	s_delay_alu instid0(SALU_CYCLE_1)
	s_and_b32 vcc_lo, exec_lo, s2
	s_cbranch_vccz .LBB44_2422
; %bb.2421:
	global_load_u8 v2, v[0:1], off
	s_wait_loadcnt 0x0
	v_lshlrev_b32_e32 v2, 24, v2
	s_delay_alu instid0(VALU_DEP_1) | instskip(NEXT) | instid1(VALU_DEP_1)
	v_and_b32_e32 v3, 0x7f000000, v2
	v_clz_i32_u32_e32 v4, v3
	v_cmp_ne_u32_e32 vcc_lo, 0, v3
	v_add_nc_u32_e32 v6, 0x1000000, v3
	s_delay_alu instid0(VALU_DEP_3) | instskip(NEXT) | instid1(VALU_DEP_1)
	v_min_u32_e32 v4, 32, v4
	v_sub_nc_u32_e64 v4, v4, 4 clamp
	s_delay_alu instid0(VALU_DEP_1) | instskip(NEXT) | instid1(VALU_DEP_1)
	v_dual_lshlrev_b32 v5, v4, v3 :: v_dual_lshlrev_b32 v4, 23, v4
	v_lshrrev_b32_e32 v5, 4, v5
	s_delay_alu instid0(VALU_DEP_1) | instskip(NEXT) | instid1(VALU_DEP_1)
	v_dual_sub_nc_u32 v4, v5, v4 :: v_dual_ashrrev_i32 v5, 8, v6
	v_add_nc_u32_e32 v4, 0x3c000000, v4
	s_delay_alu instid0(VALU_DEP_1) | instskip(NEXT) | instid1(VALU_DEP_1)
	v_and_or_b32 v4, 0x7f800000, v5, v4
	v_cndmask_b32_e32 v3, 0, v4, vcc_lo
	s_delay_alu instid0(VALU_DEP_1)
	v_and_or_b32 v40, 0x80000000, v2, v3
.LBB44_2422:
	s_mov_b32 s2, 0
.LBB44_2423:
	s_delay_alu instid0(SALU_CYCLE_1)
	s_and_not1_b32 vcc_lo, exec_lo, s2
	s_cbranch_vccnz .LBB44_2425
; %bb.2424:
	global_load_u8 v2, v[0:1], off
	s_wait_loadcnt 0x0
	v_lshlrev_b32_e32 v3, 25, v2
	v_lshlrev_b16 v2, 8, v2
	s_delay_alu instid0(VALU_DEP_1) | instskip(SKIP_1) | instid1(VALU_DEP_2)
	v_and_or_b32 v5, 0x7f00, v2, 0.5
	v_bfe_i32 v2, v2, 0, 16
	v_dual_add_f32 v5, -0.5, v5 :: v_dual_lshrrev_b32 v4, 4, v3
	v_cmp_gt_u32_e32 vcc_lo, 0x8000000, v3
	s_delay_alu instid0(VALU_DEP_2) | instskip(NEXT) | instid1(VALU_DEP_1)
	v_or_b32_e32 v4, 0x70000000, v4
	v_mul_f32_e32 v4, 0x7800000, v4
	s_delay_alu instid0(VALU_DEP_1) | instskip(NEXT) | instid1(VALU_DEP_1)
	v_cndmask_b32_e32 v3, v4, v5, vcc_lo
	v_and_or_b32 v40, 0x80000000, v2, v3
.LBB44_2425:
	s_mov_b32 s2, 0
	s_mov_b32 s3, -1
.LBB44_2426:
	s_and_not1_b32 vcc_lo, exec_lo, s2
	s_mov_b32 s2, 0
	s_cbranch_vccnz .LBB44_2437
; %bb.2427:
	s_cmp_gt_i32 s0, 14
	s_cbranch_scc0 .LBB44_2430
; %bb.2428:
	s_cmp_eq_u32 s0, 15
	s_cbranch_scc0 .LBB44_2433
; %bb.2429:
	global_load_u16 v2, v[0:1], off
	s_mov_b32 s1, 0
	s_mov_b32 s3, -1
	s_wait_loadcnt 0x0
	v_lshlrev_b32_e32 v40, 16, v2
	s_branch .LBB44_2435
.LBB44_2430:
	s_mov_b32 s2, -1
	s_branch .LBB44_2434
.LBB44_2431:
	s_or_saveexec_b32 s3, s3
	v_mov_b32_e32 v40, 0x7f800001
	s_xor_b32 exec_lo, exec_lo, s3
	s_cbranch_execz .LBB44_2412
.LBB44_2432:
	v_cmp_ne_u16_e32 vcc_lo, 0, v2
	v_mov_b32_e32 v40, 0
	s_and_not1_b32 s2, s2, exec_lo
	s_and_b32 s4, vcc_lo, exec_lo
	s_delay_alu instid0(SALU_CYCLE_1)
	s_or_b32 s2, s2, s4
	s_or_b32 exec_lo, exec_lo, s3
	s_and_saveexec_b32 s3, s2
	s_cbranch_execnz .LBB44_2413
	s_branch .LBB44_2414
.LBB44_2433:
	s_mov_b32 s1, -1
.LBB44_2434:
                                        ; implicit-def: $vgpr40
.LBB44_2435:
	s_and_b32 vcc_lo, exec_lo, s2
	s_mov_b32 s2, 0
	s_cbranch_vccz .LBB44_2437
; %bb.2436:
	s_cmp_lg_u32 s0, 11
	s_mov_b32 s2, -1
	s_cselect_b32 s1, -1, 0
.LBB44_2437:
	s_delay_alu instid0(SALU_CYCLE_1)
	s_and_b32 vcc_lo, exec_lo, s1
	s_cbranch_vccnz .LBB44_2502
; %bb.2438:
	s_and_not1_b32 vcc_lo, exec_lo, s2
	s_cbranch_vccnz .LBB44_2440
.LBB44_2439:
	global_load_u8 v2, v[0:1], off
	s_mov_b32 s3, -1
	s_wait_loadcnt 0x0
	v_cmp_ne_u16_e32 vcc_lo, 0, v2
	v_cndmask_b32_e64 v40, 0, 1.0, vcc_lo
.LBB44_2440:
	s_mov_b32 s0, 0
.LBB44_2441:
	s_delay_alu instid0(SALU_CYCLE_1)
	s_and_b32 vcc_lo, exec_lo, s0
	s_cbranch_vccz .LBB44_2490
; %bb.2442:
	s_and_b32 s0, 0xffff, s53
	s_delay_alu instid0(SALU_CYCLE_1)
	s_cmp_lt_i32 s0, 5
	s_cbranch_scc1 .LBB44_2447
; %bb.2443:
	s_cmp_lt_i32 s0, 8
	s_cbranch_scc1 .LBB44_2448
; %bb.2444:
	;; [unrolled: 3-line block ×3, first 2 shown]
	s_cmp_gt_i32 s0, 9
	s_cbranch_scc0 .LBB44_2450
; %bb.2446:
	global_load_b64 v[2:3], v[0:1], off
	s_mov_b32 s1, 0
	s_wait_loadcnt 0x0
	v_cvt_f32_f64_e32 v40, v[2:3]
	s_branch .LBB44_2451
.LBB44_2447:
	s_mov_b32 s1, -1
                                        ; implicit-def: $vgpr40
	s_branch .LBB44_2469
.LBB44_2448:
	s_mov_b32 s1, -1
                                        ; implicit-def: $vgpr40
	s_branch .LBB44_2457
.LBB44_2449:
	s_mov_b32 s1, -1
                                        ; implicit-def: $vgpr40
	s_branch .LBB44_2454
.LBB44_2450:
	s_mov_b32 s1, -1
                                        ; implicit-def: $vgpr40
.LBB44_2451:
	s_delay_alu instid0(SALU_CYCLE_1)
	s_and_not1_b32 vcc_lo, exec_lo, s1
	s_cbranch_vccnz .LBB44_2453
; %bb.2452:
	s_wait_loadcnt 0x0
	global_load_b32 v40, v[0:1], off
.LBB44_2453:
	s_mov_b32 s1, 0
.LBB44_2454:
	s_delay_alu instid0(SALU_CYCLE_1)
	s_and_not1_b32 vcc_lo, exec_lo, s1
	s_cbranch_vccnz .LBB44_2456
; %bb.2455:
	global_load_b32 v2, v[0:1], off
	s_wait_loadcnt 0x0
	v_cvt_f32_f16_e32 v40, v2
.LBB44_2456:
	s_mov_b32 s1, 0
.LBB44_2457:
	s_delay_alu instid0(SALU_CYCLE_1)
	s_and_not1_b32 vcc_lo, exec_lo, s1
	s_cbranch_vccnz .LBB44_2468
; %bb.2458:
	s_cmp_lt_i32 s0, 6
	s_cbranch_scc1 .LBB44_2461
; %bb.2459:
	s_cmp_gt_i32 s0, 6
	s_cbranch_scc0 .LBB44_2462
; %bb.2460:
	global_load_b64 v[2:3], v[0:1], off
	s_mov_b32 s1, 0
	s_wait_loadcnt 0x0
	v_cvt_f32_f64_e32 v40, v[2:3]
	s_branch .LBB44_2463
.LBB44_2461:
	s_mov_b32 s1, -1
                                        ; implicit-def: $vgpr40
	s_branch .LBB44_2466
.LBB44_2462:
	s_mov_b32 s1, -1
                                        ; implicit-def: $vgpr40
.LBB44_2463:
	s_delay_alu instid0(SALU_CYCLE_1)
	s_and_not1_b32 vcc_lo, exec_lo, s1
	s_cbranch_vccnz .LBB44_2465
; %bb.2464:
	s_wait_loadcnt 0x0
	global_load_b32 v40, v[0:1], off
.LBB44_2465:
	s_mov_b32 s1, 0
.LBB44_2466:
	s_delay_alu instid0(SALU_CYCLE_1)
	s_and_not1_b32 vcc_lo, exec_lo, s1
	s_cbranch_vccnz .LBB44_2468
; %bb.2467:
	global_load_u16 v2, v[0:1], off
	s_wait_loadcnt 0x0
	v_cvt_f32_f16_e32 v40, v2
.LBB44_2468:
	s_mov_b32 s1, 0
.LBB44_2469:
	s_delay_alu instid0(SALU_CYCLE_1)
	s_and_not1_b32 vcc_lo, exec_lo, s1
	s_cbranch_vccnz .LBB44_2489
; %bb.2470:
	s_cmp_lt_i32 s0, 2
	s_cbranch_scc1 .LBB44_2474
; %bb.2471:
	s_cmp_lt_i32 s0, 3
	s_cbranch_scc1 .LBB44_2475
; %bb.2472:
	s_cmp_gt_i32 s0, 3
	s_cbranch_scc0 .LBB44_2476
; %bb.2473:
	global_load_b64 v[2:3], v[0:1], off
	s_mov_b32 s1, 0
	s_wait_loadcnt 0x0
	v_xor_b32_e32 v4, v2, v3
	v_cls_i32_e32 v5, v3
	s_delay_alu instid0(VALU_DEP_2) | instskip(NEXT) | instid1(VALU_DEP_1)
	v_ashrrev_i32_e32 v4, 31, v4
	v_add_nc_u32_e32 v4, 32, v4
	s_delay_alu instid0(VALU_DEP_1) | instskip(NEXT) | instid1(VALU_DEP_1)
	v_add_min_u32_e64 v4, v5, -1, v4
	v_lshlrev_b64_e32 v[2:3], v4, v[2:3]
	s_delay_alu instid0(VALU_DEP_1) | instskip(NEXT) | instid1(VALU_DEP_1)
	v_min_u32_e32 v2, 1, v2
	v_dual_sub_nc_u32 v3, 32, v4 :: v_dual_bitop2_b32 v2, v3, v2 bitop3:0x54
	s_delay_alu instid0(VALU_DEP_1) | instskip(NEXT) | instid1(VALU_DEP_1)
	v_cvt_f32_i32_e32 v2, v2
	v_ldexp_f32 v40, v2, v3
	s_branch .LBB44_2477
.LBB44_2474:
	s_mov_b32 s1, -1
                                        ; implicit-def: $vgpr40
	s_branch .LBB44_2483
.LBB44_2475:
	s_mov_b32 s1, -1
                                        ; implicit-def: $vgpr40
	s_branch .LBB44_2480
.LBB44_2476:
	s_mov_b32 s1, -1
                                        ; implicit-def: $vgpr40
.LBB44_2477:
	s_delay_alu instid0(SALU_CYCLE_1)
	s_and_not1_b32 vcc_lo, exec_lo, s1
	s_cbranch_vccnz .LBB44_2479
; %bb.2478:
	global_load_b32 v2, v[0:1], off
	s_wait_loadcnt 0x0
	v_cvt_f32_i32_e32 v40, v2
.LBB44_2479:
	s_mov_b32 s1, 0
.LBB44_2480:
	s_delay_alu instid0(SALU_CYCLE_1)
	s_and_not1_b32 vcc_lo, exec_lo, s1
	s_cbranch_vccnz .LBB44_2482
; %bb.2481:
	global_load_i16 v2, v[0:1], off
	s_wait_loadcnt 0x0
	v_cvt_f32_i32_e32 v40, v2
.LBB44_2482:
	s_mov_b32 s1, 0
.LBB44_2483:
	s_delay_alu instid0(SALU_CYCLE_1)
	s_and_not1_b32 vcc_lo, exec_lo, s1
	s_cbranch_vccnz .LBB44_2489
; %bb.2484:
	s_cmp_gt_i32 s0, 0
	s_mov_b32 s0, 0
	s_cbranch_scc0 .LBB44_2486
; %bb.2485:
	global_load_i8 v2, v[0:1], off
	s_wait_loadcnt 0x0
	v_cvt_f32_i32_e32 v40, v2
	s_branch .LBB44_2487
.LBB44_2486:
	s_mov_b32 s0, -1
                                        ; implicit-def: $vgpr40
.LBB44_2487:
	s_delay_alu instid0(SALU_CYCLE_1)
	s_and_not1_b32 vcc_lo, exec_lo, s0
	s_cbranch_vccnz .LBB44_2489
; %bb.2488:
	global_load_u8 v0, v[0:1], off
	s_wait_loadcnt 0x0
	v_cvt_f32_ubyte0_e32 v40, v0
.LBB44_2489:
	s_mov_b32 s3, -1
.LBB44_2490:
	s_delay_alu instid0(SALU_CYCLE_1)
	s_and_not1_b32 vcc_lo, exec_lo, s3
	s_cbranch_vccnz .LBB44_2624
; %bb.2491:
	s_wait_xcnt 0x0
	v_add_nc_u32_e32 v0, s50, v58
	s_cmp_lt_i32 s47, 11
	s_delay_alu instid0(VALU_DEP_1) | instskip(NEXT) | instid1(VALU_DEP_1)
	v_ashrrev_i32_e32 v1, 31, v0
	v_add_nc_u64_e32 v[0:1], s[34:35], v[0:1]
	s_cbranch_scc1 .LBB44_2498
; %bb.2492:
	s_cmp_gt_i32 s47, 25
	s_mov_b32 s1, 0
	s_cbranch_scc0 .LBB44_2499
; %bb.2493:
	s_cmp_gt_i32 s47, 28
	s_cbranch_scc0 .LBB44_2500
; %bb.2494:
	s_cmp_gt_i32 s47, 43
	;; [unrolled: 3-line block ×3, first 2 shown]
	s_cbranch_scc0 .LBB44_2503
; %bb.2496:
	s_cmp_eq_u32 s47, 46
	s_mov_b32 s3, 0
	s_cbranch_scc0 .LBB44_2504
; %bb.2497:
	global_load_b32 v2, v[0:1], off
	s_mov_b32 s0, 0
	s_mov_b32 s2, -1
	s_wait_loadcnt 0x0
	v_lshlrev_b32_e32 v43, 16, v2
	s_branch .LBB44_2506
.LBB44_2498:
	s_mov_b32 s0, -1
	s_mov_b32 s2, 0
                                        ; implicit-def: $vgpr43
	s_branch .LBB44_2572
.LBB44_2499:
	s_mov_b32 s3, -1
	s_mov_b32 s2, 0
	s_mov_b32 s0, 0
                                        ; implicit-def: $vgpr43
	s_branch .LBB44_2535
.LBB44_2500:
	s_mov_b32 s3, -1
	s_mov_b32 s2, 0
	s_mov_b32 s0, 0
                                        ; implicit-def: $vgpr43
	s_branch .LBB44_2516
.LBB44_2501:
	s_mov_b32 s3, -1
	s_mov_b32 s2, 0
	s_mov_b32 s0, 0
                                        ; implicit-def: $vgpr43
	s_branch .LBB44_2511
.LBB44_2502:
	s_or_b32 s52, s52, exec_lo
	s_trap 2
	s_cbranch_execz .LBB44_2439
	s_branch .LBB44_2440
.LBB44_2503:
	s_mov_b32 s3, -1
	s_mov_b32 s2, 0
	s_mov_b32 s0, 0
	s_branch .LBB44_2505
.LBB44_2504:
	s_mov_b32 s0, -1
	s_mov_b32 s2, 0
.LBB44_2505:
                                        ; implicit-def: $vgpr43
.LBB44_2506:
	s_and_b32 vcc_lo, exec_lo, s3
	s_cbranch_vccz .LBB44_2510
; %bb.2507:
	s_cmp_eq_u32 s47, 44
	s_cbranch_scc0 .LBB44_2509
; %bb.2508:
	global_load_u8 v2, v[0:1], off
	s_mov_b32 s0, 0
	s_mov_b32 s2, -1
	s_wait_loadcnt 0x0
	v_lshlrev_b32_e32 v3, 23, v2
	v_cmp_ne_u32_e32 vcc_lo, 0xff, v2
	s_delay_alu instid0(VALU_DEP_2) | instskip(SKIP_1) | instid1(VALU_DEP_2)
	v_cndmask_b32_e32 v3, 0x7f800001, v3, vcc_lo
	v_cmp_ne_u32_e32 vcc_lo, 0, v2
	v_cndmask_b32_e32 v43, 0x400000, v3, vcc_lo
	s_branch .LBB44_2510
.LBB44_2509:
	s_mov_b32 s0, -1
                                        ; implicit-def: $vgpr43
.LBB44_2510:
	s_mov_b32 s3, 0
.LBB44_2511:
	s_delay_alu instid0(SALU_CYCLE_1)
	s_and_b32 vcc_lo, exec_lo, s3
	s_cbranch_vccz .LBB44_2515
; %bb.2512:
	s_cmp_eq_u32 s47, 29
	s_cbranch_scc0 .LBB44_2514
; %bb.2513:
	global_load_b64 v[2:3], v[0:1], off
	s_mov_b32 s0, 0
	s_mov_b32 s2, -1
	s_mov_b32 s3, 0
	s_wait_loadcnt 0x0
	v_clz_i32_u32_e32 v4, v3
	s_delay_alu instid0(VALU_DEP_1) | instskip(NEXT) | instid1(VALU_DEP_1)
	v_min_u32_e32 v4, 32, v4
	v_lshlrev_b64_e32 v[2:3], v4, v[2:3]
	s_delay_alu instid0(VALU_DEP_1) | instskip(NEXT) | instid1(VALU_DEP_1)
	v_min_u32_e32 v2, 1, v2
	v_dual_sub_nc_u32 v3, 32, v4 :: v_dual_bitop2_b32 v2, v3, v2 bitop3:0x54
	s_delay_alu instid0(VALU_DEP_1) | instskip(NEXT) | instid1(VALU_DEP_1)
	v_cvt_f32_u32_e32 v2, v2
	v_ldexp_f32 v43, v2, v3
	s_branch .LBB44_2516
.LBB44_2514:
	s_mov_b32 s0, -1
                                        ; implicit-def: $vgpr43
.LBB44_2515:
	s_mov_b32 s3, 0
.LBB44_2516:
	s_delay_alu instid0(SALU_CYCLE_1)
	s_and_b32 vcc_lo, exec_lo, s3
	s_cbranch_vccz .LBB44_2534
; %bb.2517:
	s_cmp_lt_i32 s47, 27
	s_cbranch_scc1 .LBB44_2520
; %bb.2518:
	s_cmp_gt_i32 s47, 27
	s_cbranch_scc0 .LBB44_2521
; %bb.2519:
	global_load_b32 v2, v[0:1], off
	s_mov_b32 s2, 0
	s_wait_loadcnt 0x0
	v_cvt_f32_u32_e32 v43, v2
	s_branch .LBB44_2522
.LBB44_2520:
	s_mov_b32 s2, -1
                                        ; implicit-def: $vgpr43
	s_branch .LBB44_2525
.LBB44_2521:
	s_mov_b32 s2, -1
                                        ; implicit-def: $vgpr43
.LBB44_2522:
	s_delay_alu instid0(SALU_CYCLE_1)
	s_and_not1_b32 vcc_lo, exec_lo, s2
	s_cbranch_vccnz .LBB44_2524
; %bb.2523:
	global_load_u16 v2, v[0:1], off
	s_wait_loadcnt 0x0
	v_cvt_f32_u32_e32 v43, v2
.LBB44_2524:
	s_mov_b32 s2, 0
.LBB44_2525:
	s_delay_alu instid0(SALU_CYCLE_1)
	s_and_not1_b32 vcc_lo, exec_lo, s2
	s_cbranch_vccnz .LBB44_2533
; %bb.2526:
	global_load_u8 v2, v[0:1], off
	s_mov_b32 s2, 0
	s_mov_b32 s3, exec_lo
	s_wait_loadcnt 0x0
	v_cmpx_lt_i16_e32 0x7f, v2
	s_xor_b32 s3, exec_lo, s3
	s_cbranch_execz .LBB44_2547
; %bb.2527:
	s_mov_b32 s2, -1
	s_mov_b32 s4, exec_lo
	v_cmpx_eq_u16_e32 0x80, v2
; %bb.2528:
	s_xor_b32 s2, exec_lo, -1
; %bb.2529:
	s_or_b32 exec_lo, exec_lo, s4
	s_delay_alu instid0(SALU_CYCLE_1)
	s_and_b32 s2, s2, exec_lo
	s_or_saveexec_b32 s3, s3
	v_mov_b32_e32 v43, 0x7f800001
	s_xor_b32 exec_lo, exec_lo, s3
	s_cbranch_execnz .LBB44_2548
.LBB44_2530:
	s_or_b32 exec_lo, exec_lo, s3
	s_and_saveexec_b32 s3, s2
	s_cbranch_execz .LBB44_2532
.LBB44_2531:
	v_and_b32_e32 v3, 0xffff, v2
	s_delay_alu instid0(VALU_DEP_1) | instskip(SKIP_1) | instid1(VALU_DEP_2)
	v_and_b32_e32 v4, 7, v3
	v_bfe_u32 v7, v3, 3, 4
	v_clz_i32_u32_e32 v5, v4
	s_delay_alu instid0(VALU_DEP_2) | instskip(NEXT) | instid1(VALU_DEP_2)
	v_cmp_eq_u32_e32 vcc_lo, 0, v7
	v_min_u32_e32 v5, 32, v5
	s_delay_alu instid0(VALU_DEP_1) | instskip(NEXT) | instid1(VALU_DEP_1)
	v_subrev_nc_u32_e32 v6, 28, v5
	v_dual_lshlrev_b32 v3, v6, v3 :: v_dual_sub_nc_u32 v5, 29, v5
	s_delay_alu instid0(VALU_DEP_1) | instskip(NEXT) | instid1(VALU_DEP_1)
	v_dual_lshlrev_b32 v2, 24, v2 :: v_dual_bitop2_b32 v3, 7, v3 bitop3:0x40
	v_dual_cndmask_b32 v5, v7, v5, vcc_lo :: v_dual_cndmask_b32 v3, v4, v3, vcc_lo
	s_delay_alu instid0(VALU_DEP_2) | instskip(NEXT) | instid1(VALU_DEP_2)
	v_and_b32_e32 v2, 0x80000000, v2
	v_lshl_add_u32 v4, v5, 23, 0x3b800000
	s_delay_alu instid0(VALU_DEP_3) | instskip(NEXT) | instid1(VALU_DEP_1)
	v_lshlrev_b32_e32 v3, 20, v3
	v_or3_b32 v43, v2, v4, v3
.LBB44_2532:
	s_or_b32 exec_lo, exec_lo, s3
.LBB44_2533:
	s_mov_b32 s2, -1
.LBB44_2534:
	s_mov_b32 s3, 0
.LBB44_2535:
	s_delay_alu instid0(SALU_CYCLE_1)
	s_and_b32 vcc_lo, exec_lo, s3
	s_cbranch_vccz .LBB44_2568
; %bb.2536:
	s_cmp_gt_i32 s47, 22
	s_cbranch_scc0 .LBB44_2546
; %bb.2537:
	s_cmp_lt_i32 s47, 24
	s_cbranch_scc1 .LBB44_2549
; %bb.2538:
	s_cmp_gt_i32 s47, 24
	s_cbranch_scc0 .LBB44_2550
; %bb.2539:
	global_load_u8 v2, v[0:1], off
	s_mov_b32 s2, exec_lo
	s_wait_loadcnt 0x0
	v_cmpx_lt_i16_e32 0x7f, v2
	s_xor_b32 s2, exec_lo, s2
	s_cbranch_execz .LBB44_2562
; %bb.2540:
	s_mov_b32 s1, -1
	s_mov_b32 s3, exec_lo
	v_cmpx_eq_u16_e32 0x80, v2
; %bb.2541:
	s_xor_b32 s1, exec_lo, -1
; %bb.2542:
	s_or_b32 exec_lo, exec_lo, s3
	s_delay_alu instid0(SALU_CYCLE_1)
	s_and_b32 s1, s1, exec_lo
	s_or_saveexec_b32 s2, s2
	v_mov_b32_e32 v43, 0x7f800001
	s_xor_b32 exec_lo, exec_lo, s2
	s_cbranch_execnz .LBB44_2563
.LBB44_2543:
	s_or_b32 exec_lo, exec_lo, s2
	s_and_saveexec_b32 s2, s1
	s_cbranch_execz .LBB44_2545
.LBB44_2544:
	v_and_b32_e32 v3, 0xffff, v2
	s_delay_alu instid0(VALU_DEP_1) | instskip(SKIP_1) | instid1(VALU_DEP_2)
	v_and_b32_e32 v4, 3, v3
	v_bfe_u32 v7, v3, 2, 5
	v_clz_i32_u32_e32 v5, v4
	s_delay_alu instid0(VALU_DEP_2) | instskip(NEXT) | instid1(VALU_DEP_2)
	v_cmp_eq_u32_e32 vcc_lo, 0, v7
	v_min_u32_e32 v5, 32, v5
	s_delay_alu instid0(VALU_DEP_1) | instskip(NEXT) | instid1(VALU_DEP_1)
	v_subrev_nc_u32_e32 v6, 29, v5
	v_dual_lshlrev_b32 v3, v6, v3 :: v_dual_sub_nc_u32 v5, 30, v5
	s_delay_alu instid0(VALU_DEP_1) | instskip(NEXT) | instid1(VALU_DEP_1)
	v_dual_lshlrev_b32 v2, 24, v2 :: v_dual_bitop2_b32 v3, 3, v3 bitop3:0x40
	v_dual_cndmask_b32 v5, v7, v5, vcc_lo :: v_dual_cndmask_b32 v3, v4, v3, vcc_lo
	s_delay_alu instid0(VALU_DEP_2) | instskip(NEXT) | instid1(VALU_DEP_2)
	v_and_b32_e32 v2, 0x80000000, v2
	v_lshl_add_u32 v4, v5, 23, 0x37800000
	s_delay_alu instid0(VALU_DEP_3) | instskip(NEXT) | instid1(VALU_DEP_1)
	v_lshlrev_b32_e32 v3, 21, v3
	v_or3_b32 v43, v2, v4, v3
.LBB44_2545:
	s_or_b32 exec_lo, exec_lo, s2
	s_mov_b32 s1, 0
	s_branch .LBB44_2551
.LBB44_2546:
	s_mov_b32 s1, -1
                                        ; implicit-def: $vgpr43
	s_branch .LBB44_2557
.LBB44_2547:
	s_or_saveexec_b32 s3, s3
	v_mov_b32_e32 v43, 0x7f800001
	s_xor_b32 exec_lo, exec_lo, s3
	s_cbranch_execz .LBB44_2530
.LBB44_2548:
	v_cmp_ne_u16_e32 vcc_lo, 0, v2
	v_mov_b32_e32 v43, 0
	s_and_not1_b32 s2, s2, exec_lo
	s_and_b32 s4, vcc_lo, exec_lo
	s_delay_alu instid0(SALU_CYCLE_1)
	s_or_b32 s2, s2, s4
	s_or_b32 exec_lo, exec_lo, s3
	s_and_saveexec_b32 s3, s2
	s_cbranch_execnz .LBB44_2531
	s_branch .LBB44_2532
.LBB44_2549:
	s_mov_b32 s1, -1
                                        ; implicit-def: $vgpr43
	s_branch .LBB44_2554
.LBB44_2550:
	s_mov_b32 s1, -1
                                        ; implicit-def: $vgpr43
.LBB44_2551:
	s_delay_alu instid0(SALU_CYCLE_1)
	s_and_b32 vcc_lo, exec_lo, s1
	s_cbranch_vccz .LBB44_2553
; %bb.2552:
	global_load_u8 v2, v[0:1], off
	s_wait_loadcnt 0x0
	v_lshlrev_b32_e32 v2, 24, v2
	s_delay_alu instid0(VALU_DEP_1) | instskip(NEXT) | instid1(VALU_DEP_1)
	v_and_b32_e32 v3, 0x7f000000, v2
	v_clz_i32_u32_e32 v4, v3
	v_cmp_ne_u32_e32 vcc_lo, 0, v3
	v_add_nc_u32_e32 v6, 0x1000000, v3
	s_delay_alu instid0(VALU_DEP_3) | instskip(NEXT) | instid1(VALU_DEP_1)
	v_min_u32_e32 v4, 32, v4
	v_sub_nc_u32_e64 v4, v4, 4 clamp
	s_delay_alu instid0(VALU_DEP_1) | instskip(NEXT) | instid1(VALU_DEP_1)
	v_dual_lshlrev_b32 v5, v4, v3 :: v_dual_lshlrev_b32 v4, 23, v4
	v_lshrrev_b32_e32 v5, 4, v5
	s_delay_alu instid0(VALU_DEP_1) | instskip(NEXT) | instid1(VALU_DEP_1)
	v_dual_sub_nc_u32 v4, v5, v4 :: v_dual_ashrrev_i32 v5, 8, v6
	v_add_nc_u32_e32 v4, 0x3c000000, v4
	s_delay_alu instid0(VALU_DEP_1) | instskip(NEXT) | instid1(VALU_DEP_1)
	v_and_or_b32 v4, 0x7f800000, v5, v4
	v_cndmask_b32_e32 v3, 0, v4, vcc_lo
	s_delay_alu instid0(VALU_DEP_1)
	v_and_or_b32 v43, 0x80000000, v2, v3
.LBB44_2553:
	s_mov_b32 s1, 0
.LBB44_2554:
	s_delay_alu instid0(SALU_CYCLE_1)
	s_and_not1_b32 vcc_lo, exec_lo, s1
	s_cbranch_vccnz .LBB44_2556
; %bb.2555:
	global_load_u8 v2, v[0:1], off
	s_wait_loadcnt 0x0
	v_lshlrev_b32_e32 v3, 25, v2
	v_lshlrev_b16 v2, 8, v2
	s_delay_alu instid0(VALU_DEP_1) | instskip(SKIP_1) | instid1(VALU_DEP_2)
	v_and_or_b32 v5, 0x7f00, v2, 0.5
	v_bfe_i32 v2, v2, 0, 16
	v_dual_add_f32 v5, -0.5, v5 :: v_dual_lshrrev_b32 v4, 4, v3
	v_cmp_gt_u32_e32 vcc_lo, 0x8000000, v3
	s_delay_alu instid0(VALU_DEP_2) | instskip(NEXT) | instid1(VALU_DEP_1)
	v_or_b32_e32 v4, 0x70000000, v4
	v_mul_f32_e32 v4, 0x7800000, v4
	s_delay_alu instid0(VALU_DEP_1) | instskip(NEXT) | instid1(VALU_DEP_1)
	v_cndmask_b32_e32 v3, v4, v5, vcc_lo
	v_and_or_b32 v43, 0x80000000, v2, v3
.LBB44_2556:
	s_mov_b32 s1, 0
	s_mov_b32 s2, -1
.LBB44_2557:
	s_and_not1_b32 vcc_lo, exec_lo, s1
	s_mov_b32 s1, 0
	s_cbranch_vccnz .LBB44_2568
; %bb.2558:
	s_cmp_gt_i32 s47, 14
	s_cbranch_scc0 .LBB44_2561
; %bb.2559:
	s_cmp_eq_u32 s47, 15
	s_cbranch_scc0 .LBB44_2564
; %bb.2560:
	global_load_u16 v2, v[0:1], off
	s_mov_b32 s0, 0
	s_mov_b32 s2, -1
	s_wait_loadcnt 0x0
	v_lshlrev_b32_e32 v43, 16, v2
	s_branch .LBB44_2566
.LBB44_2561:
	s_mov_b32 s1, -1
	s_branch .LBB44_2565
.LBB44_2562:
	s_or_saveexec_b32 s2, s2
	v_mov_b32_e32 v43, 0x7f800001
	s_xor_b32 exec_lo, exec_lo, s2
	s_cbranch_execz .LBB44_2543
.LBB44_2563:
	v_cmp_ne_u16_e32 vcc_lo, 0, v2
	v_mov_b32_e32 v43, 0
	s_and_not1_b32 s1, s1, exec_lo
	s_and_b32 s3, vcc_lo, exec_lo
	s_delay_alu instid0(SALU_CYCLE_1)
	s_or_b32 s1, s1, s3
	s_or_b32 exec_lo, exec_lo, s2
	s_and_saveexec_b32 s2, s1
	s_cbranch_execnz .LBB44_2544
	s_branch .LBB44_2545
.LBB44_2564:
	s_mov_b32 s0, -1
.LBB44_2565:
                                        ; implicit-def: $vgpr43
.LBB44_2566:
	s_and_b32 vcc_lo, exec_lo, s1
	s_mov_b32 s1, 0
	s_cbranch_vccz .LBB44_2568
; %bb.2567:
	s_cmp_lg_u32 s47, 11
	s_mov_b32 s1, -1
	s_cselect_b32 s0, -1, 0
.LBB44_2568:
	s_delay_alu instid0(SALU_CYCLE_1)
	s_and_b32 vcc_lo, exec_lo, s0
	s_cbranch_vccnz .LBB44_3107
; %bb.2569:
	s_and_not1_b32 vcc_lo, exec_lo, s1
	s_cbranch_vccnz .LBB44_2571
.LBB44_2570:
	global_load_u8 v2, v[0:1], off
	s_mov_b32 s2, -1
	s_wait_loadcnt 0x0
	v_cmp_ne_u16_e32 vcc_lo, 0, v2
	v_cndmask_b32_e64 v43, 0, 1.0, vcc_lo
.LBB44_2571:
	s_mov_b32 s0, 0
.LBB44_2572:
	s_delay_alu instid0(SALU_CYCLE_1)
	s_and_b32 vcc_lo, exec_lo, s0
	s_cbranch_vccz .LBB44_2621
; %bb.2573:
	s_cmp_lt_i32 s47, 5
	s_cbranch_scc1 .LBB44_2578
; %bb.2574:
	s_cmp_lt_i32 s47, 8
	s_cbranch_scc1 .LBB44_2579
	;; [unrolled: 3-line block ×3, first 2 shown]
; %bb.2576:
	s_cmp_gt_i32 s47, 9
	s_cbranch_scc0 .LBB44_2581
; %bb.2577:
	global_load_b64 v[2:3], v[0:1], off
	s_mov_b32 s0, 0
	s_wait_loadcnt 0x0
	v_cvt_f32_f64_e32 v43, v[2:3]
	s_branch .LBB44_2582
.LBB44_2578:
	s_mov_b32 s0, -1
                                        ; implicit-def: $vgpr43
	s_branch .LBB44_2600
.LBB44_2579:
	s_mov_b32 s0, -1
                                        ; implicit-def: $vgpr43
	s_branch .LBB44_2588
.LBB44_2580:
	s_mov_b32 s0, -1
                                        ; implicit-def: $vgpr43
	s_branch .LBB44_2585
.LBB44_2581:
	s_mov_b32 s0, -1
                                        ; implicit-def: $vgpr43
.LBB44_2582:
	s_delay_alu instid0(SALU_CYCLE_1)
	s_and_not1_b32 vcc_lo, exec_lo, s0
	s_cbranch_vccnz .LBB44_2584
; %bb.2583:
	s_wait_loadcnt 0x0
	global_load_b32 v43, v[0:1], off
.LBB44_2584:
	s_mov_b32 s0, 0
.LBB44_2585:
	s_delay_alu instid0(SALU_CYCLE_1)
	s_and_not1_b32 vcc_lo, exec_lo, s0
	s_cbranch_vccnz .LBB44_2587
; %bb.2586:
	global_load_b32 v2, v[0:1], off
	s_wait_loadcnt 0x0
	v_cvt_f32_f16_e32 v43, v2
.LBB44_2587:
	s_mov_b32 s0, 0
.LBB44_2588:
	s_delay_alu instid0(SALU_CYCLE_1)
	s_and_not1_b32 vcc_lo, exec_lo, s0
	s_cbranch_vccnz .LBB44_2599
; %bb.2589:
	s_cmp_lt_i32 s47, 6
	s_cbranch_scc1 .LBB44_2592
; %bb.2590:
	s_cmp_gt_i32 s47, 6
	s_cbranch_scc0 .LBB44_2593
; %bb.2591:
	global_load_b64 v[2:3], v[0:1], off
	s_mov_b32 s0, 0
	s_wait_loadcnt 0x0
	v_cvt_f32_f64_e32 v43, v[2:3]
	s_branch .LBB44_2594
.LBB44_2592:
	s_mov_b32 s0, -1
                                        ; implicit-def: $vgpr43
	s_branch .LBB44_2597
.LBB44_2593:
	s_mov_b32 s0, -1
                                        ; implicit-def: $vgpr43
.LBB44_2594:
	s_delay_alu instid0(SALU_CYCLE_1)
	s_and_not1_b32 vcc_lo, exec_lo, s0
	s_cbranch_vccnz .LBB44_2596
; %bb.2595:
	s_wait_loadcnt 0x0
	global_load_b32 v43, v[0:1], off
.LBB44_2596:
	s_mov_b32 s0, 0
.LBB44_2597:
	s_delay_alu instid0(SALU_CYCLE_1)
	s_and_not1_b32 vcc_lo, exec_lo, s0
	s_cbranch_vccnz .LBB44_2599
; %bb.2598:
	global_load_u16 v2, v[0:1], off
	s_wait_loadcnt 0x0
	v_cvt_f32_f16_e32 v43, v2
.LBB44_2599:
	s_mov_b32 s0, 0
.LBB44_2600:
	s_delay_alu instid0(SALU_CYCLE_1)
	s_and_not1_b32 vcc_lo, exec_lo, s0
	s_cbranch_vccnz .LBB44_2620
; %bb.2601:
	s_cmp_lt_i32 s47, 2
	s_cbranch_scc1 .LBB44_2605
; %bb.2602:
	s_cmp_lt_i32 s47, 3
	s_cbranch_scc1 .LBB44_2606
; %bb.2603:
	s_cmp_gt_i32 s47, 3
	s_cbranch_scc0 .LBB44_2607
; %bb.2604:
	global_load_b64 v[2:3], v[0:1], off
	s_mov_b32 s0, 0
	s_wait_loadcnt 0x0
	v_xor_b32_e32 v4, v2, v3
	v_cls_i32_e32 v5, v3
	s_delay_alu instid0(VALU_DEP_2) | instskip(NEXT) | instid1(VALU_DEP_1)
	v_ashrrev_i32_e32 v4, 31, v4
	v_add_nc_u32_e32 v4, 32, v4
	s_delay_alu instid0(VALU_DEP_1) | instskip(NEXT) | instid1(VALU_DEP_1)
	v_add_min_u32_e64 v4, v5, -1, v4
	v_lshlrev_b64_e32 v[2:3], v4, v[2:3]
	s_delay_alu instid0(VALU_DEP_1) | instskip(NEXT) | instid1(VALU_DEP_1)
	v_min_u32_e32 v2, 1, v2
	v_dual_sub_nc_u32 v3, 32, v4 :: v_dual_bitop2_b32 v2, v3, v2 bitop3:0x54
	s_delay_alu instid0(VALU_DEP_1) | instskip(NEXT) | instid1(VALU_DEP_1)
	v_cvt_f32_i32_e32 v2, v2
	v_ldexp_f32 v43, v2, v3
	s_branch .LBB44_2608
.LBB44_2605:
	s_mov_b32 s0, -1
                                        ; implicit-def: $vgpr43
	s_branch .LBB44_2614
.LBB44_2606:
	s_mov_b32 s0, -1
                                        ; implicit-def: $vgpr43
	s_branch .LBB44_2611
.LBB44_2607:
	s_mov_b32 s0, -1
                                        ; implicit-def: $vgpr43
.LBB44_2608:
	s_delay_alu instid0(SALU_CYCLE_1)
	s_and_not1_b32 vcc_lo, exec_lo, s0
	s_cbranch_vccnz .LBB44_2610
; %bb.2609:
	global_load_b32 v2, v[0:1], off
	s_wait_loadcnt 0x0
	v_cvt_f32_i32_e32 v43, v2
.LBB44_2610:
	s_mov_b32 s0, 0
.LBB44_2611:
	s_delay_alu instid0(SALU_CYCLE_1)
	s_and_not1_b32 vcc_lo, exec_lo, s0
	s_cbranch_vccnz .LBB44_2613
; %bb.2612:
	global_load_i16 v2, v[0:1], off
	s_wait_loadcnt 0x0
	v_cvt_f32_i32_e32 v43, v2
.LBB44_2613:
	s_mov_b32 s0, 0
.LBB44_2614:
	s_delay_alu instid0(SALU_CYCLE_1)
	s_and_not1_b32 vcc_lo, exec_lo, s0
	s_cbranch_vccnz .LBB44_2620
; %bb.2615:
	s_cmp_gt_i32 s47, 0
	s_mov_b32 s0, 0
	s_cbranch_scc0 .LBB44_2617
; %bb.2616:
	global_load_i8 v2, v[0:1], off
	s_wait_loadcnt 0x0
	v_cvt_f32_i32_e32 v43, v2
	s_branch .LBB44_2618
.LBB44_2617:
	s_mov_b32 s0, -1
                                        ; implicit-def: $vgpr43
.LBB44_2618:
	s_delay_alu instid0(SALU_CYCLE_1)
	s_and_not1_b32 vcc_lo, exec_lo, s0
	s_cbranch_vccnz .LBB44_2620
; %bb.2619:
	global_load_u8 v0, v[0:1], off
	s_wait_loadcnt 0x0
	v_cvt_f32_ubyte0_e32 v43, v0
.LBB44_2620:
	s_mov_b32 s2, -1
.LBB44_2621:
	s_delay_alu instid0(SALU_CYCLE_1)
	s_and_not1_b32 vcc_lo, exec_lo, s2
	s_cbranch_vccnz .LBB44_2624
; %bb.2622:
	s_and_b32 vcc_lo, exec_lo, s51
	s_cbranch_vccz .LBB44_2669
; %bb.2623:
	s_wait_loadcnt 0x0
	s_delay_alu instid0(VALU_DEP_1) | instskip(SKIP_2) | instid1(SALU_CYCLE_1)
	v_dual_mov_b32 v0, v40 :: v_dual_mov_b32 v1, v43
	s_get_pc_i64 s[0:1]
	s_add_nc_u64 s[0:1], s[0:1], _ZN12_GLOBAL__N_111calc_igammaIfEET_S1_S1_@rel64+4
	s_swap_pc_i64 s[30:31], s[0:1]
	s_mov_b32 s0, 0
	s_branch .LBB44_2670
.LBB44_2624:
	s_mov_b32 s0, 0
	s_mov_b32 s3, 0
                                        ; implicit-def: $sgpr1
                                        ; implicit-def: $vgpr2_vgpr3
                                        ; implicit-def: $vgpr0
.LBB44_2625:
	s_and_not1_b32 s2, s55, exec_lo
	s_and_b32 s4, s52, exec_lo
	s_and_b32 s0, s0, exec_lo
	;; [unrolled: 1-line block ×3, first 2 shown]
	s_or_b32 s55, s2, s4
.LBB44_2626:
	s_wait_xcnt 0x0
	s_or_b32 exec_lo, exec_lo, s54
	s_and_saveexec_b32 s2, s55
	s_cbranch_execz .LBB44_2629
; %bb.2627:
	; divergent unreachable
	s_or_b32 exec_lo, exec_lo, s2
	s_and_saveexec_b32 s2, s52
	s_delay_alu instid0(SALU_CYCLE_1)
	s_xor_b32 s2, exec_lo, s2
	s_cbranch_execnz .LBB44_2630
.LBB44_2628:
	s_or_b32 exec_lo, exec_lo, s2
	s_and_saveexec_b32 s2, s0
	s_cbranch_execnz .LBB44_2631
	s_branch .LBB44_2668
.LBB44_2629:
	s_or_b32 exec_lo, exec_lo, s2
	s_and_saveexec_b32 s2, s52
	s_delay_alu instid0(SALU_CYCLE_1)
	s_xor_b32 s2, exec_lo, s2
	s_cbranch_execz .LBB44_2628
.LBB44_2630:
	v_cmp_neq_f32_e32 vcc_lo, 0, v0
	v_cndmask_b32_e64 v1, 0, 1, vcc_lo
	global_store_b8 v[2:3], v1, off
	s_wait_xcnt 0x0
	s_or_b32 exec_lo, exec_lo, s2
	s_and_saveexec_b32 s2, s0
	s_cbranch_execz .LBB44_2668
.LBB44_2631:
	s_sext_i32_i16 s2, s1
	s_mov_b32 s0, -1
	s_cmp_lt_i32 s2, 5
	s_cbranch_scc1 .LBB44_2652
; %bb.2632:
	s_cmp_lt_i32 s2, 8
	s_cbranch_scc1 .LBB44_2642
; %bb.2633:
	;; [unrolled: 3-line block ×3, first 2 shown]
	s_cmp_gt_i32 s2, 9
	s_cbranch_scc0 .LBB44_2636
; %bb.2635:
	v_cvt_f64_f32_e32 v[4:5], v0
	v_mov_b32_e32 v6, 0
	s_mov_b32 s0, 0
	s_delay_alu instid0(VALU_DEP_1)
	v_mov_b32_e32 v7, v6
	global_store_b128 v[2:3], v[4:7], off
.LBB44_2636:
	s_and_not1_b32 vcc_lo, exec_lo, s0
	s_cbranch_vccnz .LBB44_2638
; %bb.2637:
	v_mov_b32_e32 v1, 0
	global_store_b64 v[2:3], v[0:1], off
.LBB44_2638:
	s_mov_b32 s0, 0
.LBB44_2639:
	s_delay_alu instid0(SALU_CYCLE_1)
	s_and_not1_b32 vcc_lo, exec_lo, s0
	s_cbranch_vccnz .LBB44_2641
; %bb.2640:
	s_wait_xcnt 0x0
	v_cvt_f16_f32_e32 v1, v0
	s_delay_alu instid0(VALU_DEP_1)
	v_and_b32_e32 v1, 0xffff, v1
	global_store_b32 v[2:3], v1, off
.LBB44_2641:
	s_mov_b32 s0, 0
.LBB44_2642:
	s_delay_alu instid0(SALU_CYCLE_1)
	s_and_not1_b32 vcc_lo, exec_lo, s0
	s_cbranch_vccnz .LBB44_2651
; %bb.2643:
	s_sext_i32_i16 s2, s1
	s_mov_b32 s0, -1
	s_cmp_lt_i32 s2, 6
	s_cbranch_scc1 .LBB44_2649
; %bb.2644:
	s_cmp_gt_i32 s2, 6
	s_cbranch_scc0 .LBB44_2646
; %bb.2645:
	s_wait_xcnt 0x0
	v_cvt_f64_f32_e32 v[4:5], v0
	s_mov_b32 s0, 0
	global_store_b64 v[2:3], v[4:5], off
.LBB44_2646:
	s_and_not1_b32 vcc_lo, exec_lo, s0
	s_cbranch_vccnz .LBB44_2648
; %bb.2647:
	global_store_b32 v[2:3], v0, off
.LBB44_2648:
	s_mov_b32 s0, 0
.LBB44_2649:
	s_delay_alu instid0(SALU_CYCLE_1)
	s_and_not1_b32 vcc_lo, exec_lo, s0
	s_cbranch_vccnz .LBB44_2651
; %bb.2650:
	s_wait_xcnt 0x0
	v_cvt_f16_f32_e32 v1, v0
	global_store_b16 v[2:3], v1, off
.LBB44_2651:
	s_mov_b32 s0, 0
.LBB44_2652:
	s_delay_alu instid0(SALU_CYCLE_1)
	s_and_not1_b32 vcc_lo, exec_lo, s0
	s_cbranch_vccnz .LBB44_2668
; %bb.2653:
	s_sext_i32_i16 s2, s1
	s_mov_b32 s0, -1
	s_cmp_lt_i32 s2, 2
	s_cbranch_scc1 .LBB44_2663
; %bb.2654:
	s_cmp_lt_i32 s2, 3
	s_cbranch_scc1 .LBB44_2660
; %bb.2655:
	s_cmp_gt_i32 s2, 3
	s_cbranch_scc0 .LBB44_2657
; %bb.2656:
	s_wait_xcnt 0x0
	v_trunc_f32_e32 v1, v0
	s_mov_b32 s0, 0
	s_delay_alu instid0(VALU_DEP_1) | instskip(NEXT) | instid1(VALU_DEP_1)
	v_mul_f32_e64 v4, 0x2f800000, |v1|
	v_floor_f32_e32 v5, v4
	v_ashrrev_i32_e32 v4, 31, v1
	s_delay_alu instid0(VALU_DEP_2) | instskip(SKIP_1) | instid1(VALU_DEP_3)
	v_fma_f32 v6, 0xcf800000, v5, |v1|
	v_cvt_u32_f32_e32 v1, v5
	v_mov_b32_e32 v5, v4
	s_delay_alu instid0(VALU_DEP_3) | instskip(NEXT) | instid1(VALU_DEP_3)
	v_cvt_u32_f32_e32 v6, v6
	v_xor_b32_e32 v7, v1, v4
	s_delay_alu instid0(VALU_DEP_2) | instskip(NEXT) | instid1(VALU_DEP_1)
	v_xor_b32_e32 v6, v6, v4
	v_sub_nc_u64_e32 v[4:5], v[6:7], v[4:5]
	global_store_b64 v[2:3], v[4:5], off
.LBB44_2657:
	s_and_not1_b32 vcc_lo, exec_lo, s0
	s_cbranch_vccnz .LBB44_2659
; %bb.2658:
	s_wait_xcnt 0x0
	v_cvt_i32_f32_e32 v1, v0
	global_store_b32 v[2:3], v1, off
.LBB44_2659:
	s_mov_b32 s0, 0
.LBB44_2660:
	s_delay_alu instid0(SALU_CYCLE_1)
	s_and_not1_b32 vcc_lo, exec_lo, s0
	s_cbranch_vccnz .LBB44_2662
; %bb.2661:
	s_wait_xcnt 0x0
	v_cvt_i32_f32_e32 v1, v0
	global_store_b16 v[2:3], v1, off
.LBB44_2662:
	s_mov_b32 s0, 0
.LBB44_2663:
	s_delay_alu instid0(SALU_CYCLE_1)
	s_and_not1_b32 vcc_lo, exec_lo, s0
	s_cbranch_vccnz .LBB44_2668
; %bb.2664:
	s_sext_i32_i16 s0, s1
	s_delay_alu instid0(SALU_CYCLE_1)
	s_cmp_gt_i32 s0, 0
	s_mov_b32 s0, -1
	s_cbranch_scc0 .LBB44_2666
; %bb.2665:
	s_wait_xcnt 0x0
	v_cvt_i32_f32_e32 v1, v0
	s_mov_b32 s0, 0
	global_store_b8 v[2:3], v1, off
.LBB44_2666:
	s_and_not1_b32 vcc_lo, exec_lo, s0
	s_cbranch_vccnz .LBB44_2668
; %bb.2667:
	s_wait_xcnt 0x0
	v_trunc_f32_e32 v0, v0
	s_delay_alu instid0(VALU_DEP_1) | instskip(NEXT) | instid1(VALU_DEP_1)
	v_mul_f32_e64 v1, 0x2f800000, |v0|
	v_floor_f32_e32 v1, v1
	s_delay_alu instid0(VALU_DEP_1) | instskip(SKIP_1) | instid1(VALU_DEP_2)
	v_fma_f32 v1, 0xcf800000, v1, |v0|
	v_ashrrev_i32_e32 v0, 31, v0
	v_cvt_u32_f32_e32 v1, v1
	s_delay_alu instid0(VALU_DEP_1) | instskip(NEXT) | instid1(VALU_DEP_1)
	v_xor_b32_e32 v1, v1, v0
	v_sub_nc_u32_e32 v0, v1, v0
	global_store_b8 v[2:3], v0, off
	s_endpgm
.LBB44_2668:
	s_endpgm
.LBB44_2669:
	s_mov_b32 s0, -1
                                        ; implicit-def: $vgpr0
.LBB44_2670:
	s_delay_alu instid0(SALU_CYCLE_1)
	s_and_not1_b32 vcc_lo, exec_lo, s0
	s_cbranch_vccnz .LBB44_2672
; %bb.2671:
	s_wait_loadcnt 0x0
	s_delay_alu instid0(VALU_DEP_1) | instskip(SKIP_2) | instid1(SALU_CYCLE_1)
	v_dual_mov_b32 v0, v40 :: v_dual_mov_b32 v1, v43
	s_get_pc_i64 s[0:1]
	s_add_nc_u64 s[0:1], s[0:1], _ZN12_GLOBAL__N_112calc_igammacIfEET_S1_S1_@rel64+4
	s_swap_pc_i64 s[30:31], s[0:1]
.LBB44_2672:
	v_mul_lo_u32 v2, s48, v60
	s_and_b32 s1, s46, 0xff
	s_delay_alu instid0(SALU_CYCLE_1) | instskip(NEXT) | instid1(VALU_DEP_1)
	s_cmp_lt_i32 s1, 11
	v_ashrrev_i32_e32 v3, 31, v2
	s_delay_alu instid0(VALU_DEP_1)
	v_add_nc_u64_e32 v[4:5], s[36:37], v[2:3]
	s_cbranch_scc1 .LBB44_2750
; %bb.2673:
	s_and_b32 s2, 0xffff, s1
	s_mov_b32 s5, -1
	s_mov_b32 s3, 0
	s_cmp_gt_i32 s2, 25
	s_mov_b32 s4, 0
	s_mov_b32 s0, 0
	s_cbranch_scc0 .LBB44_2706
; %bb.2674:
	s_cmp_gt_i32 s2, 28
	s_cbranch_scc0 .LBB44_2689
; %bb.2675:
	s_cmp_gt_i32 s2, 43
	;; [unrolled: 3-line block ×3, first 2 shown]
	s_cbranch_scc0 .LBB44_2679
; %bb.2677:
	s_mov_b32 s0, -1
	s_mov_b32 s5, 0
	s_cmp_eq_u32 s2, 46
	s_cbranch_scc0 .LBB44_2679
; %bb.2678:
	s_wait_loadcnt 0x0
	v_bfe_u32 v1, v42, 16, 1
	v_cmp_o_f32_e32 vcc_lo, v42, v42
	s_mov_b32 s0, 0
	s_mov_b32 s4, -1
	s_delay_alu instid0(VALU_DEP_2) | instskip(NEXT) | instid1(VALU_DEP_1)
	v_add3_u32 v1, v42, v1, 0x7fff
	v_lshrrev_b32_e32 v1, 16, v1
	s_delay_alu instid0(VALU_DEP_1)
	v_cndmask_b32_e32 v1, 0x7fc0, v1, vcc_lo
	global_store_b32 v[4:5], v1, off
.LBB44_2679:
	s_and_b32 vcc_lo, exec_lo, s5
	s_cbranch_vccz .LBB44_2684
; %bb.2680:
	s_cmp_eq_u32 s2, 44
	s_mov_b32 s0, -1
	s_cbranch_scc0 .LBB44_2684
; %bb.2681:
	s_wait_loadcnt 0x0
	v_bfe_u32 v3, v42, 23, 8
	s_wait_xcnt 0x0
	v_mov_b32_e32 v1, 0xff
	s_mov_b32 s4, exec_lo
	s_delay_alu instid0(VALU_DEP_2)
	v_cmpx_ne_u32_e32 0xff, v3
	s_cbranch_execz .LBB44_2683
; %bb.2682:
	v_and_b32_e32 v1, 0x400000, v42
	v_and_or_b32 v3, 0x3fffff, v42, v3
	s_delay_alu instid0(VALU_DEP_2) | instskip(NEXT) | instid1(VALU_DEP_2)
	v_cmp_ne_u32_e32 vcc_lo, 0, v1
	v_cmp_ne_u32_e64 s0, 0, v3
	v_lshrrev_b32_e32 v1, 23, v42
	s_and_b32 s0, vcc_lo, s0
	s_delay_alu instid0(SALU_CYCLE_1) | instskip(NEXT) | instid1(VALU_DEP_1)
	v_cndmask_b32_e64 v3, 0, 1, s0
	v_add_nc_u32_e32 v1, v1, v3
.LBB44_2683:
	s_or_b32 exec_lo, exec_lo, s4
	s_mov_b32 s0, 0
	s_mov_b32 s4, -1
	global_store_b8 v[4:5], v1, off
.LBB44_2684:
	s_mov_b32 s5, 0
.LBB44_2685:
	s_delay_alu instid0(SALU_CYCLE_1)
	s_and_b32 vcc_lo, exec_lo, s5
	s_cbranch_vccz .LBB44_2688
; %bb.2686:
	s_cmp_eq_u32 s2, 29
	s_mov_b32 s0, -1
	s_cbranch_scc0 .LBB44_2688
; %bb.2687:
	s_wait_loadcnt 0x0
	v_trunc_f32_e32 v1, v42
	s_mov_b32 s0, 0
	s_mov_b32 s4, -1
	s_delay_alu instid0(VALU_DEP_1) | instskip(NEXT) | instid1(VALU_DEP_1)
	v_mul_f32_e32 v3, 0x2f800000, v1
	v_floor_f32_e32 v3, v3
	s_delay_alu instid0(VALU_DEP_1) | instskip(SKIP_1) | instid1(VALU_DEP_2)
	v_fmamk_f32 v1, v3, 0xcf800000, v1
	v_cvt_u32_f32_e32 v7, v3
	v_cvt_u32_f32_e32 v6, v1
	global_store_b64 v[4:5], v[6:7], off
.LBB44_2688:
	s_mov_b32 s5, 0
.LBB44_2689:
	s_delay_alu instid0(SALU_CYCLE_1)
	s_and_b32 vcc_lo, exec_lo, s5
	s_cbranch_vccz .LBB44_2705
; %bb.2690:
	s_cmp_lt_i32 s2, 27
	s_mov_b32 s4, -1
	s_cbranch_scc1 .LBB44_2696
; %bb.2691:
	s_wait_loadcnt 0x0
	v_cvt_u32_f32_e32 v1, v42
	s_cmp_gt_i32 s2, 27
	s_cbranch_scc0 .LBB44_2693
; %bb.2692:
	s_mov_b32 s4, 0
	global_store_b32 v[4:5], v1, off
.LBB44_2693:
	s_and_not1_b32 vcc_lo, exec_lo, s4
	s_cbranch_vccnz .LBB44_2695
; %bb.2694:
	global_store_b16 v[4:5], v1, off
.LBB44_2695:
	s_mov_b32 s4, 0
.LBB44_2696:
	s_delay_alu instid0(SALU_CYCLE_1)
	s_and_not1_b32 vcc_lo, exec_lo, s4
	s_cbranch_vccnz .LBB44_2704
; %bb.2697:
	s_wait_loadcnt 0x0
	v_and_b32_e32 v1, 0x7fffffff, v42
	v_mov_b32_e32 v3, 0x80
	s_mov_b32 s4, exec_lo
	s_delay_alu instid0(VALU_DEP_2)
	v_cmpx_gt_u32_e32 0x43800000, v1
	s_cbranch_execz .LBB44_2703
; %bb.2698:
	v_cmp_lt_u32_e32 vcc_lo, 0x3bffffff, v1
	s_mov_b32 s5, 0
                                        ; implicit-def: $vgpr1
	s_and_saveexec_b32 s6, vcc_lo
	s_delay_alu instid0(SALU_CYCLE_1)
	s_xor_b32 s6, exec_lo, s6
	s_cbranch_execz .LBB44_3108
; %bb.2699:
	v_bfe_u32 v1, v42, 20, 1
	s_mov_b32 s5, exec_lo
	s_delay_alu instid0(VALU_DEP_1) | instskip(NEXT) | instid1(VALU_DEP_1)
	v_add3_u32 v1, v42, v1, 0x487ffff
	v_lshrrev_b32_e32 v1, 20, v1
	s_and_not1_saveexec_b32 s6, s6
	s_cbranch_execnz .LBB44_3109
.LBB44_2700:
	s_or_b32 exec_lo, exec_lo, s6
	v_mov_b32_e32 v3, 0
	s_and_saveexec_b32 s6, s5
.LBB44_2701:
	v_lshrrev_b32_e32 v3, 24, v42
	s_delay_alu instid0(VALU_DEP_1)
	v_and_or_b32 v3, 0x80, v3, v1
.LBB44_2702:
	s_or_b32 exec_lo, exec_lo, s6
.LBB44_2703:
	s_delay_alu instid0(SALU_CYCLE_1)
	s_or_b32 exec_lo, exec_lo, s4
	global_store_b8 v[4:5], v3, off
.LBB44_2704:
	s_mov_b32 s4, -1
.LBB44_2705:
	s_mov_b32 s5, 0
.LBB44_2706:
	s_delay_alu instid0(SALU_CYCLE_1)
	s_and_b32 vcc_lo, exec_lo, s5
	s_cbranch_vccz .LBB44_2746
; %bb.2707:
	s_cmp_gt_i32 s2, 22
	s_mov_b32 s3, -1
	s_cbranch_scc0 .LBB44_2739
; %bb.2708:
	s_cmp_lt_i32 s2, 24
	s_cbranch_scc1 .LBB44_2728
; %bb.2709:
	s_cmp_gt_i32 s2, 24
	s_cbranch_scc0 .LBB44_2717
; %bb.2710:
	s_wait_loadcnt 0x0
	v_and_b32_e32 v1, 0x7fffffff, v42
	v_mov_b32_e32 v3, 0x80
	s_mov_b32 s3, exec_lo
	s_delay_alu instid0(VALU_DEP_2)
	v_cmpx_gt_u32_e32 0x47800000, v1
	s_cbranch_execz .LBB44_2716
; %bb.2711:
	v_cmp_lt_u32_e32 vcc_lo, 0x37ffffff, v1
	s_mov_b32 s4, 0
                                        ; implicit-def: $vgpr1
	s_and_saveexec_b32 s5, vcc_lo
	s_delay_alu instid0(SALU_CYCLE_1)
	s_xor_b32 s5, exec_lo, s5
	s_cbranch_execz .LBB44_3111
; %bb.2712:
	v_bfe_u32 v1, v42, 21, 1
	s_mov_b32 s4, exec_lo
	s_delay_alu instid0(VALU_DEP_1) | instskip(NEXT) | instid1(VALU_DEP_1)
	v_add3_u32 v1, v42, v1, 0x88fffff
	v_lshrrev_b32_e32 v1, 21, v1
	s_and_not1_saveexec_b32 s5, s5
	s_cbranch_execnz .LBB44_3112
.LBB44_2713:
	s_or_b32 exec_lo, exec_lo, s5
	v_mov_b32_e32 v3, 0
	s_and_saveexec_b32 s5, s4
.LBB44_2714:
	v_lshrrev_b32_e32 v3, 24, v42
	s_delay_alu instid0(VALU_DEP_1)
	v_and_or_b32 v3, 0x80, v3, v1
.LBB44_2715:
	s_or_b32 exec_lo, exec_lo, s5
.LBB44_2716:
	s_delay_alu instid0(SALU_CYCLE_1)
	s_or_b32 exec_lo, exec_lo, s3
	s_mov_b32 s3, 0
	global_store_b8 v[4:5], v3, off
.LBB44_2717:
	s_and_b32 vcc_lo, exec_lo, s3
	s_cbranch_vccz .LBB44_2727
; %bb.2718:
	s_wait_loadcnt 0x0
	v_and_b32_e32 v3, 0x7fffffff, v42
	s_mov_b32 s3, exec_lo
                                        ; implicit-def: $vgpr1
	s_delay_alu instid0(VALU_DEP_1)
	v_cmpx_gt_u32_e32 0x43f00000, v3
	s_xor_b32 s3, exec_lo, s3
	s_cbranch_execz .LBB44_2724
; %bb.2719:
	s_mov_b32 s4, exec_lo
                                        ; implicit-def: $vgpr1
	v_cmpx_lt_u32_e32 0x3c7fffff, v3
	s_xor_b32 s4, exec_lo, s4
; %bb.2720:
	v_bfe_u32 v1, v42, 20, 1
	s_delay_alu instid0(VALU_DEP_1) | instskip(NEXT) | instid1(VALU_DEP_1)
	v_add3_u32 v1, v42, v1, 0x407ffff
	v_and_b32_e32 v3, 0xff00000, v1
	v_lshrrev_b32_e32 v1, 20, v1
	s_delay_alu instid0(VALU_DEP_2) | instskip(NEXT) | instid1(VALU_DEP_2)
	v_cmp_ne_u32_e32 vcc_lo, 0x7f00000, v3
	v_cndmask_b32_e32 v1, 0x7e, v1, vcc_lo
; %bb.2721:
	s_and_not1_saveexec_b32 s4, s4
; %bb.2722:
	v_add_f32_e64 v1, 0x46800000, |v42|
; %bb.2723:
	s_or_b32 exec_lo, exec_lo, s4
                                        ; implicit-def: $vgpr3
.LBB44_2724:
	s_and_not1_saveexec_b32 s3, s3
; %bb.2725:
	v_mov_b32_e32 v1, 0x7f
	v_cmp_lt_u32_e32 vcc_lo, 0x7f800000, v3
	s_delay_alu instid0(VALU_DEP_2)
	v_cndmask_b32_e32 v1, 0x7e, v1, vcc_lo
; %bb.2726:
	s_or_b32 exec_lo, exec_lo, s3
	v_lshrrev_b32_e32 v3, 24, v42
	s_delay_alu instid0(VALU_DEP_1)
	v_and_or_b32 v1, 0x80, v3, v1
	global_store_b8 v[4:5], v1, off
.LBB44_2727:
	s_mov_b32 s3, 0
.LBB44_2728:
	s_delay_alu instid0(SALU_CYCLE_1)
	s_and_not1_b32 vcc_lo, exec_lo, s3
	s_cbranch_vccnz .LBB44_2738
; %bb.2729:
	s_wait_loadcnt 0x0
	v_and_b32_e32 v3, 0x7fffffff, v42
	s_mov_b32 s3, exec_lo
                                        ; implicit-def: $vgpr1
	s_delay_alu instid0(VALU_DEP_1)
	v_cmpx_gt_u32_e32 0x47800000, v3
	s_xor_b32 s3, exec_lo, s3
	s_cbranch_execz .LBB44_2735
; %bb.2730:
	s_mov_b32 s4, exec_lo
                                        ; implicit-def: $vgpr1
	v_cmpx_lt_u32_e32 0x387fffff, v3
	s_xor_b32 s4, exec_lo, s4
; %bb.2731:
	v_bfe_u32 v1, v42, 21, 1
	s_delay_alu instid0(VALU_DEP_1) | instskip(NEXT) | instid1(VALU_DEP_1)
	v_add3_u32 v1, v42, v1, 0x80fffff
	v_lshrrev_b32_e32 v1, 21, v1
; %bb.2732:
	s_and_not1_saveexec_b32 s4, s4
; %bb.2733:
	v_add_f32_e64 v1, 0x43000000, |v42|
; %bb.2734:
	s_or_b32 exec_lo, exec_lo, s4
                                        ; implicit-def: $vgpr3
.LBB44_2735:
	s_and_not1_saveexec_b32 s3, s3
; %bb.2736:
	v_mov_b32_e32 v1, 0x7f
	v_cmp_lt_u32_e32 vcc_lo, 0x7f800000, v3
	s_delay_alu instid0(VALU_DEP_2)
	v_cndmask_b32_e32 v1, 0x7c, v1, vcc_lo
; %bb.2737:
	s_or_b32 exec_lo, exec_lo, s3
	v_lshrrev_b32_e32 v3, 24, v42
	s_delay_alu instid0(VALU_DEP_1)
	v_and_or_b32 v1, 0x80, v3, v1
	global_store_b8 v[4:5], v1, off
.LBB44_2738:
	s_mov_b32 s3, 0
	s_mov_b32 s4, -1
.LBB44_2739:
	s_and_not1_b32 vcc_lo, exec_lo, s3
	s_mov_b32 s3, 0
	s_cbranch_vccnz .LBB44_2746
; %bb.2740:
	s_cmp_gt_i32 s2, 14
	s_mov_b32 s3, -1
	s_cbranch_scc0 .LBB44_2744
; %bb.2741:
	s_cmp_eq_u32 s2, 15
	s_mov_b32 s0, -1
	s_cbranch_scc0 .LBB44_2743
; %bb.2742:
	s_wait_loadcnt 0x0
	v_bfe_u32 v1, v42, 16, 1
	v_cmp_o_f32_e32 vcc_lo, v42, v42
	s_mov_b32 s0, 0
	s_mov_b32 s4, -1
	s_delay_alu instid0(VALU_DEP_2) | instskip(NEXT) | instid1(VALU_DEP_1)
	v_add3_u32 v1, v42, v1, 0x7fff
	v_lshrrev_b32_e32 v1, 16, v1
	s_delay_alu instid0(VALU_DEP_1)
	v_cndmask_b32_e32 v1, 0x7fc0, v1, vcc_lo
	global_store_b16 v[4:5], v1, off
.LBB44_2743:
	s_mov_b32 s3, 0
.LBB44_2744:
	s_delay_alu instid0(SALU_CYCLE_1)
	s_and_b32 vcc_lo, exec_lo, s3
	s_mov_b32 s3, 0
	s_cbranch_vccz .LBB44_2746
; %bb.2745:
	s_cmp_lg_u32 s2, 11
	s_mov_b32 s3, -1
	s_cselect_b32 s0, -1, 0
.LBB44_2746:
	s_delay_alu instid0(SALU_CYCLE_1)
	s_and_b32 vcc_lo, exec_lo, s0
	s_cbranch_vccnz .LBB44_3110
; %bb.2747:
	s_and_not1_b32 vcc_lo, exec_lo, s3
	s_cbranch_vccnz .LBB44_2749
.LBB44_2748:
	s_wait_loadcnt 0x0
	v_cmp_neq_f32_e32 vcc_lo, 0, v42
	s_mov_b32 s4, -1
	s_wait_xcnt 0x0
	v_cndmask_b32_e64 v1, 0, 1, vcc_lo
	global_store_b8 v[4:5], v1, off
.LBB44_2749:
	s_mov_b32 s0, 0
	s_branch .LBB44_2751
.LBB44_2750:
	s_mov_b32 s0, -1
	s_mov_b32 s4, 0
.LBB44_2751:
	s_and_b32 vcc_lo, exec_lo, s0
	s_cbranch_vccz .LBB44_2790
; %bb.2752:
	s_and_b32 s0, 0xffff, s1
	s_mov_b32 s2, -1
	s_cmp_lt_i32 s0, 5
	s_cbranch_scc1 .LBB44_2773
; %bb.2753:
	s_cmp_lt_i32 s0, 8
	s_cbranch_scc1 .LBB44_2763
; %bb.2754:
	;; [unrolled: 3-line block ×3, first 2 shown]
	s_cmp_gt_i32 s0, 9
	s_cbranch_scc0 .LBB44_2757
; %bb.2756:
	s_wait_loadcnt 0x0
	v_cvt_f64_f32_e32 v[6:7], v42
	v_mov_b32_e32 v8, 0
	s_mov_b32 s2, 0
	s_delay_alu instid0(VALU_DEP_1)
	v_mov_b32_e32 v9, v8
	global_store_b128 v[4:5], v[6:9], off
.LBB44_2757:
	s_and_not1_b32 vcc_lo, exec_lo, s2
	s_cbranch_vccnz .LBB44_2759
; %bb.2758:
	s_wait_loadcnt 0x0
	v_mov_b32_e32 v43, 0
	global_store_b64 v[4:5], v[42:43], off
.LBB44_2759:
	s_mov_b32 s2, 0
.LBB44_2760:
	s_delay_alu instid0(SALU_CYCLE_1)
	s_and_not1_b32 vcc_lo, exec_lo, s2
	s_cbranch_vccnz .LBB44_2762
; %bb.2761:
	s_wait_loadcnt 0x0
	v_cvt_f16_f32_e32 v1, v42
	s_delay_alu instid0(VALU_DEP_1)
	v_and_b32_e32 v1, 0xffff, v1
	global_store_b32 v[4:5], v1, off
.LBB44_2762:
	s_mov_b32 s2, 0
.LBB44_2763:
	s_delay_alu instid0(SALU_CYCLE_1)
	s_and_not1_b32 vcc_lo, exec_lo, s2
	s_cbranch_vccnz .LBB44_2772
; %bb.2764:
	s_cmp_lt_i32 s0, 6
	s_mov_b32 s2, -1
	s_cbranch_scc1 .LBB44_2770
; %bb.2765:
	s_cmp_gt_i32 s0, 6
	s_cbranch_scc0 .LBB44_2767
; %bb.2766:
	s_wait_loadcnt 0x0
	v_cvt_f64_f32_e32 v[6:7], v42
	s_mov_b32 s2, 0
	global_store_b64 v[4:5], v[6:7], off
.LBB44_2767:
	s_and_not1_b32 vcc_lo, exec_lo, s2
	s_cbranch_vccnz .LBB44_2769
; %bb.2768:
	s_wait_loadcnt 0x0
	global_store_b32 v[4:5], v42, off
.LBB44_2769:
	s_mov_b32 s2, 0
.LBB44_2770:
	s_delay_alu instid0(SALU_CYCLE_1)
	s_and_not1_b32 vcc_lo, exec_lo, s2
	s_cbranch_vccnz .LBB44_2772
; %bb.2771:
	s_wait_loadcnt 0x0
	v_cvt_f16_f32_e32 v1, v42
	global_store_b16 v[4:5], v1, off
.LBB44_2772:
	s_mov_b32 s2, 0
.LBB44_2773:
	s_delay_alu instid0(SALU_CYCLE_1)
	s_and_not1_b32 vcc_lo, exec_lo, s2
	s_cbranch_vccnz .LBB44_2789
; %bb.2774:
	s_cmp_lt_i32 s0, 2
	s_mov_b32 s2, -1
	s_cbranch_scc1 .LBB44_2784
; %bb.2775:
	s_cmp_lt_i32 s0, 3
	s_cbranch_scc1 .LBB44_2781
; %bb.2776:
	s_cmp_gt_i32 s0, 3
	s_cbranch_scc0 .LBB44_2778
; %bb.2777:
	s_wait_loadcnt 0x0
	v_trunc_f32_e32 v1, v42
	s_mov_b32 s2, 0
	s_delay_alu instid0(VALU_DEP_1) | instskip(SKIP_1) | instid1(VALU_DEP_2)
	v_mul_f32_e64 v3, 0x2f800000, |v1|
	v_ashrrev_i32_e32 v6, 31, v1
	v_floor_f32_e32 v3, v3
	s_delay_alu instid0(VALU_DEP_1) | instskip(SKIP_1) | instid1(VALU_DEP_2)
	v_fma_f32 v7, 0xcf800000, v3, |v1|
	v_cvt_u32_f32_e32 v1, v3
	v_cvt_u32_f32_e32 v3, v7
	s_delay_alu instid0(VALU_DEP_2) | instskip(NEXT) | instid1(VALU_DEP_2)
	v_dual_mov_b32 v7, v6 :: v_dual_bitop2_b32 v9, v1, v6 bitop3:0x14
	v_xor_b32_e32 v8, v3, v6
	s_delay_alu instid0(VALU_DEP_1)
	v_sub_nc_u64_e32 v[6:7], v[8:9], v[6:7]
	global_store_b64 v[4:5], v[6:7], off
.LBB44_2778:
	s_and_not1_b32 vcc_lo, exec_lo, s2
	s_cbranch_vccnz .LBB44_2780
; %bb.2779:
	s_wait_loadcnt 0x0
	v_cvt_i32_f32_e32 v1, v42
	global_store_b32 v[4:5], v1, off
.LBB44_2780:
	s_mov_b32 s2, 0
.LBB44_2781:
	s_delay_alu instid0(SALU_CYCLE_1)
	s_and_not1_b32 vcc_lo, exec_lo, s2
	s_cbranch_vccnz .LBB44_2783
; %bb.2782:
	s_wait_loadcnt 0x0
	v_cvt_i32_f32_e32 v1, v42
	global_store_b16 v[4:5], v1, off
.LBB44_2783:
	s_mov_b32 s2, 0
.LBB44_2784:
	s_delay_alu instid0(SALU_CYCLE_1)
	s_and_not1_b32 vcc_lo, exec_lo, s2
	s_cbranch_vccnz .LBB44_2789
; %bb.2785:
	s_cmp_gt_i32 s0, 0
	s_mov_b32 s0, -1
	s_cbranch_scc0 .LBB44_2787
; %bb.2786:
	s_wait_loadcnt 0x0
	v_cvt_i32_f32_e32 v1, v42
	s_mov_b32 s0, 0
	global_store_b8 v[4:5], v1, off
.LBB44_2787:
	s_and_not1_b32 vcc_lo, exec_lo, s0
	s_cbranch_vccnz .LBB44_2789
; %bb.2788:
	s_wait_loadcnt 0x0
	v_trunc_f32_e32 v1, v42
	s_delay_alu instid0(VALU_DEP_1) | instskip(NEXT) | instid1(VALU_DEP_1)
	v_mul_f32_e64 v3, 0x2f800000, |v1|
	v_floor_f32_e32 v3, v3
	s_delay_alu instid0(VALU_DEP_1) | instskip(SKIP_1) | instid1(VALU_DEP_2)
	v_fma_f32 v3, 0xcf800000, v3, |v1|
	v_ashrrev_i32_e32 v1, 31, v1
	v_cvt_u32_f32_e32 v3, v3
	s_delay_alu instid0(VALU_DEP_1) | instskip(NEXT) | instid1(VALU_DEP_1)
	v_xor_b32_e32 v3, v3, v1
	v_sub_nc_u32_e32 v1, v3, v1
	global_store_b8 v[4:5], v1, off
.LBB44_2789:
	s_mov_b32 s4, -1
.LBB44_2790:
	s_delay_alu instid0(SALU_CYCLE_1)
	s_and_not1_b32 vcc_lo, exec_lo, s4
	s_cbranch_vccnz .LBB44_3105
; %bb.2791:
	s_lshl_b32 s2, s48, 7
	s_cmp_lt_i32 s1, 11
	v_add_nc_u32_e32 v2, s2, v2
	s_wait_xcnt 0x0
	s_delay_alu instid0(VALU_DEP_1) | instskip(NEXT) | instid1(VALU_DEP_1)
	v_ashrrev_i32_e32 v3, 31, v2
	v_add_nc_u64_e32 v[4:5], s[36:37], v[2:3]
	s_cbranch_scc1 .LBB44_2869
; %bb.2792:
	s_and_b32 s3, 0xffff, s1
	s_mov_b32 s6, -1
	s_mov_b32 s4, 0
	s_cmp_gt_i32 s3, 25
	s_mov_b32 s5, 0
	s_mov_b32 s0, 0
	s_cbranch_scc0 .LBB44_2825
; %bb.2793:
	s_cmp_gt_i32 s3, 28
	s_cbranch_scc0 .LBB44_2808
; %bb.2794:
	s_cmp_gt_i32 s3, 43
	;; [unrolled: 3-line block ×3, first 2 shown]
	s_cbranch_scc0 .LBB44_2798
; %bb.2796:
	s_mov_b32 s0, -1
	s_mov_b32 s6, 0
	s_cmp_eq_u32 s3, 46
	s_cbranch_scc0 .LBB44_2798
; %bb.2797:
	v_bfe_u32 v1, v44, 16, 1
	v_cmp_o_f32_e32 vcc_lo, v44, v44
	s_mov_b32 s0, 0
	s_mov_b32 s5, -1
	s_delay_alu instid0(VALU_DEP_2) | instskip(NEXT) | instid1(VALU_DEP_1)
	v_add3_u32 v1, v44, v1, 0x7fff
	v_lshrrev_b32_e32 v1, 16, v1
	s_delay_alu instid0(VALU_DEP_1)
	v_cndmask_b32_e32 v1, 0x7fc0, v1, vcc_lo
	global_store_b32 v[4:5], v1, off
.LBB44_2798:
	s_and_b32 vcc_lo, exec_lo, s6
	s_cbranch_vccz .LBB44_2803
; %bb.2799:
	s_cmp_eq_u32 s3, 44
	s_mov_b32 s0, -1
	s_cbranch_scc0 .LBB44_2803
; %bb.2800:
	v_bfe_u32 v3, v44, 23, 8
	s_wait_xcnt 0x0
	v_mov_b32_e32 v1, 0xff
	s_mov_b32 s5, exec_lo
	s_delay_alu instid0(VALU_DEP_2)
	v_cmpx_ne_u32_e32 0xff, v3
	s_cbranch_execz .LBB44_2802
; %bb.2801:
	v_and_b32_e32 v1, 0x400000, v44
	v_and_or_b32 v3, 0x3fffff, v44, v3
	s_delay_alu instid0(VALU_DEP_2) | instskip(NEXT) | instid1(VALU_DEP_2)
	v_cmp_ne_u32_e32 vcc_lo, 0, v1
	v_cmp_ne_u32_e64 s0, 0, v3
	v_lshrrev_b32_e32 v1, 23, v44
	s_and_b32 s0, vcc_lo, s0
	s_delay_alu instid0(SALU_CYCLE_1) | instskip(NEXT) | instid1(VALU_DEP_1)
	v_cndmask_b32_e64 v3, 0, 1, s0
	v_add_nc_u32_e32 v1, v1, v3
.LBB44_2802:
	s_or_b32 exec_lo, exec_lo, s5
	s_mov_b32 s0, 0
	s_mov_b32 s5, -1
	global_store_b8 v[4:5], v1, off
.LBB44_2803:
	s_mov_b32 s6, 0
.LBB44_2804:
	s_delay_alu instid0(SALU_CYCLE_1)
	s_and_b32 vcc_lo, exec_lo, s6
	s_cbranch_vccz .LBB44_2807
; %bb.2805:
	s_cmp_eq_u32 s3, 29
	s_mov_b32 s0, -1
	s_cbranch_scc0 .LBB44_2807
; %bb.2806:
	s_wait_xcnt 0x0
	v_trunc_f32_e32 v1, v44
	s_mov_b32 s0, 0
	s_mov_b32 s5, -1
	s_delay_alu instid0(VALU_DEP_1) | instskip(NEXT) | instid1(VALU_DEP_1)
	v_mul_f32_e32 v3, 0x2f800000, v1
	v_floor_f32_e32 v3, v3
	s_delay_alu instid0(VALU_DEP_1) | instskip(SKIP_1) | instid1(VALU_DEP_2)
	v_fmamk_f32 v1, v3, 0xcf800000, v1
	v_cvt_u32_f32_e32 v7, v3
	v_cvt_u32_f32_e32 v6, v1
	global_store_b64 v[4:5], v[6:7], off
.LBB44_2807:
	s_mov_b32 s6, 0
.LBB44_2808:
	s_delay_alu instid0(SALU_CYCLE_1)
	s_and_b32 vcc_lo, exec_lo, s6
	s_cbranch_vccz .LBB44_2824
; %bb.2809:
	s_cmp_lt_i32 s3, 27
	s_mov_b32 s5, -1
	s_cbranch_scc1 .LBB44_2815
; %bb.2810:
	s_wait_xcnt 0x0
	v_cvt_u32_f32_e32 v1, v44
	s_cmp_gt_i32 s3, 27
	s_cbranch_scc0 .LBB44_2812
; %bb.2811:
	s_mov_b32 s5, 0
	global_store_b32 v[4:5], v1, off
.LBB44_2812:
	s_and_not1_b32 vcc_lo, exec_lo, s5
	s_cbranch_vccnz .LBB44_2814
; %bb.2813:
	global_store_b16 v[4:5], v1, off
.LBB44_2814:
	s_mov_b32 s5, 0
.LBB44_2815:
	s_delay_alu instid0(SALU_CYCLE_1)
	s_and_not1_b32 vcc_lo, exec_lo, s5
	s_cbranch_vccnz .LBB44_2823
; %bb.2816:
	s_wait_xcnt 0x0
	v_and_b32_e32 v1, 0x7fffffff, v44
	v_mov_b32_e32 v3, 0x80
	s_mov_b32 s5, exec_lo
	s_delay_alu instid0(VALU_DEP_2)
	v_cmpx_gt_u32_e32 0x43800000, v1
	s_cbranch_execz .LBB44_2822
; %bb.2817:
	v_cmp_lt_u32_e32 vcc_lo, 0x3bffffff, v1
	s_mov_b32 s6, 0
                                        ; implicit-def: $vgpr1
	s_and_saveexec_b32 s7, vcc_lo
	s_delay_alu instid0(SALU_CYCLE_1)
	s_xor_b32 s7, exec_lo, s7
	s_cbranch_execz .LBB44_3113
; %bb.2818:
	v_bfe_u32 v1, v44, 20, 1
	s_mov_b32 s6, exec_lo
	s_delay_alu instid0(VALU_DEP_1) | instskip(NEXT) | instid1(VALU_DEP_1)
	v_add3_u32 v1, v44, v1, 0x487ffff
	v_lshrrev_b32_e32 v1, 20, v1
	s_and_not1_saveexec_b32 s7, s7
	s_cbranch_execnz .LBB44_3114
.LBB44_2819:
	s_or_b32 exec_lo, exec_lo, s7
	v_mov_b32_e32 v3, 0
	s_and_saveexec_b32 s7, s6
.LBB44_2820:
	v_lshrrev_b32_e32 v3, 24, v44
	s_delay_alu instid0(VALU_DEP_1)
	v_and_or_b32 v3, 0x80, v3, v1
.LBB44_2821:
	s_or_b32 exec_lo, exec_lo, s7
.LBB44_2822:
	s_delay_alu instid0(SALU_CYCLE_1)
	s_or_b32 exec_lo, exec_lo, s5
	global_store_b8 v[4:5], v3, off
.LBB44_2823:
	s_mov_b32 s5, -1
.LBB44_2824:
	s_mov_b32 s6, 0
.LBB44_2825:
	s_delay_alu instid0(SALU_CYCLE_1)
	s_and_b32 vcc_lo, exec_lo, s6
	s_cbranch_vccz .LBB44_2865
; %bb.2826:
	s_cmp_gt_i32 s3, 22
	s_mov_b32 s4, -1
	s_cbranch_scc0 .LBB44_2858
; %bb.2827:
	s_cmp_lt_i32 s3, 24
	s_cbranch_scc1 .LBB44_2847
; %bb.2828:
	s_cmp_gt_i32 s3, 24
	s_cbranch_scc0 .LBB44_2836
; %bb.2829:
	s_wait_xcnt 0x0
	v_and_b32_e32 v1, 0x7fffffff, v44
	v_mov_b32_e32 v3, 0x80
	s_mov_b32 s4, exec_lo
	s_delay_alu instid0(VALU_DEP_2)
	v_cmpx_gt_u32_e32 0x47800000, v1
	s_cbranch_execz .LBB44_2835
; %bb.2830:
	v_cmp_lt_u32_e32 vcc_lo, 0x37ffffff, v1
	s_mov_b32 s5, 0
                                        ; implicit-def: $vgpr1
	s_and_saveexec_b32 s6, vcc_lo
	s_delay_alu instid0(SALU_CYCLE_1)
	s_xor_b32 s6, exec_lo, s6
	s_cbranch_execz .LBB44_3116
; %bb.2831:
	v_bfe_u32 v1, v44, 21, 1
	s_mov_b32 s5, exec_lo
	s_delay_alu instid0(VALU_DEP_1) | instskip(NEXT) | instid1(VALU_DEP_1)
	v_add3_u32 v1, v44, v1, 0x88fffff
	v_lshrrev_b32_e32 v1, 21, v1
	s_and_not1_saveexec_b32 s6, s6
	s_cbranch_execnz .LBB44_3117
.LBB44_2832:
	s_or_b32 exec_lo, exec_lo, s6
	v_mov_b32_e32 v3, 0
	s_and_saveexec_b32 s6, s5
.LBB44_2833:
	v_lshrrev_b32_e32 v3, 24, v44
	s_delay_alu instid0(VALU_DEP_1)
	v_and_or_b32 v3, 0x80, v3, v1
.LBB44_2834:
	s_or_b32 exec_lo, exec_lo, s6
.LBB44_2835:
	s_delay_alu instid0(SALU_CYCLE_1)
	s_or_b32 exec_lo, exec_lo, s4
	s_mov_b32 s4, 0
	global_store_b8 v[4:5], v3, off
.LBB44_2836:
	s_and_b32 vcc_lo, exec_lo, s4
	s_cbranch_vccz .LBB44_2846
; %bb.2837:
	s_wait_xcnt 0x0
	v_and_b32_e32 v3, 0x7fffffff, v44
	s_mov_b32 s4, exec_lo
                                        ; implicit-def: $vgpr1
	s_delay_alu instid0(VALU_DEP_1)
	v_cmpx_gt_u32_e32 0x43f00000, v3
	s_xor_b32 s4, exec_lo, s4
	s_cbranch_execz .LBB44_2843
; %bb.2838:
	s_mov_b32 s5, exec_lo
                                        ; implicit-def: $vgpr1
	v_cmpx_lt_u32_e32 0x3c7fffff, v3
	s_xor_b32 s5, exec_lo, s5
; %bb.2839:
	v_bfe_u32 v1, v44, 20, 1
	s_delay_alu instid0(VALU_DEP_1) | instskip(NEXT) | instid1(VALU_DEP_1)
	v_add3_u32 v1, v44, v1, 0x407ffff
	v_and_b32_e32 v3, 0xff00000, v1
	v_lshrrev_b32_e32 v1, 20, v1
	s_delay_alu instid0(VALU_DEP_2) | instskip(NEXT) | instid1(VALU_DEP_2)
	v_cmp_ne_u32_e32 vcc_lo, 0x7f00000, v3
	v_cndmask_b32_e32 v1, 0x7e, v1, vcc_lo
; %bb.2840:
	s_and_not1_saveexec_b32 s5, s5
; %bb.2841:
	v_add_f32_e64 v1, 0x46800000, |v44|
; %bb.2842:
	s_or_b32 exec_lo, exec_lo, s5
                                        ; implicit-def: $vgpr3
.LBB44_2843:
	s_and_not1_saveexec_b32 s4, s4
; %bb.2844:
	v_mov_b32_e32 v1, 0x7f
	v_cmp_lt_u32_e32 vcc_lo, 0x7f800000, v3
	s_delay_alu instid0(VALU_DEP_2)
	v_cndmask_b32_e32 v1, 0x7e, v1, vcc_lo
; %bb.2845:
	s_or_b32 exec_lo, exec_lo, s4
	v_lshrrev_b32_e32 v3, 24, v44
	s_delay_alu instid0(VALU_DEP_1)
	v_and_or_b32 v1, 0x80, v3, v1
	global_store_b8 v[4:5], v1, off
.LBB44_2846:
	s_mov_b32 s4, 0
.LBB44_2847:
	s_delay_alu instid0(SALU_CYCLE_1)
	s_and_not1_b32 vcc_lo, exec_lo, s4
	s_cbranch_vccnz .LBB44_2857
; %bb.2848:
	s_wait_xcnt 0x0
	v_and_b32_e32 v3, 0x7fffffff, v44
	s_mov_b32 s4, exec_lo
                                        ; implicit-def: $vgpr1
	s_delay_alu instid0(VALU_DEP_1)
	v_cmpx_gt_u32_e32 0x47800000, v3
	s_xor_b32 s4, exec_lo, s4
	s_cbranch_execz .LBB44_2854
; %bb.2849:
	s_mov_b32 s5, exec_lo
                                        ; implicit-def: $vgpr1
	v_cmpx_lt_u32_e32 0x387fffff, v3
	s_xor_b32 s5, exec_lo, s5
; %bb.2850:
	v_bfe_u32 v1, v44, 21, 1
	s_delay_alu instid0(VALU_DEP_1) | instskip(NEXT) | instid1(VALU_DEP_1)
	v_add3_u32 v1, v44, v1, 0x80fffff
	v_lshrrev_b32_e32 v1, 21, v1
; %bb.2851:
	s_and_not1_saveexec_b32 s5, s5
; %bb.2852:
	v_add_f32_e64 v1, 0x43000000, |v44|
; %bb.2853:
	s_or_b32 exec_lo, exec_lo, s5
                                        ; implicit-def: $vgpr3
.LBB44_2854:
	s_and_not1_saveexec_b32 s4, s4
; %bb.2855:
	v_mov_b32_e32 v1, 0x7f
	v_cmp_lt_u32_e32 vcc_lo, 0x7f800000, v3
	s_delay_alu instid0(VALU_DEP_2)
	v_cndmask_b32_e32 v1, 0x7c, v1, vcc_lo
; %bb.2856:
	s_or_b32 exec_lo, exec_lo, s4
	v_lshrrev_b32_e32 v3, 24, v44
	s_delay_alu instid0(VALU_DEP_1)
	v_and_or_b32 v1, 0x80, v3, v1
	global_store_b8 v[4:5], v1, off
.LBB44_2857:
	s_mov_b32 s4, 0
	s_mov_b32 s5, -1
.LBB44_2858:
	s_and_not1_b32 vcc_lo, exec_lo, s4
	s_mov_b32 s4, 0
	s_cbranch_vccnz .LBB44_2865
; %bb.2859:
	s_cmp_gt_i32 s3, 14
	s_mov_b32 s4, -1
	s_cbranch_scc0 .LBB44_2863
; %bb.2860:
	s_cmp_eq_u32 s3, 15
	s_mov_b32 s0, -1
	s_cbranch_scc0 .LBB44_2862
; %bb.2861:
	s_wait_xcnt 0x0
	v_bfe_u32 v1, v44, 16, 1
	v_cmp_o_f32_e32 vcc_lo, v44, v44
	s_mov_b32 s0, 0
	s_mov_b32 s5, -1
	s_delay_alu instid0(VALU_DEP_2) | instskip(NEXT) | instid1(VALU_DEP_1)
	v_add3_u32 v1, v44, v1, 0x7fff
	v_lshrrev_b32_e32 v1, 16, v1
	s_delay_alu instid0(VALU_DEP_1)
	v_cndmask_b32_e32 v1, 0x7fc0, v1, vcc_lo
	global_store_b16 v[4:5], v1, off
.LBB44_2862:
	s_mov_b32 s4, 0
.LBB44_2863:
	s_delay_alu instid0(SALU_CYCLE_1)
	s_and_b32 vcc_lo, exec_lo, s4
	s_mov_b32 s4, 0
	s_cbranch_vccz .LBB44_2865
; %bb.2864:
	s_cmp_lg_u32 s3, 11
	s_mov_b32 s4, -1
	s_cselect_b32 s0, -1, 0
.LBB44_2865:
	s_delay_alu instid0(SALU_CYCLE_1)
	s_and_b32 vcc_lo, exec_lo, s0
	s_cbranch_vccnz .LBB44_3115
; %bb.2866:
	s_and_not1_b32 vcc_lo, exec_lo, s4
	s_cbranch_vccnz .LBB44_2868
.LBB44_2867:
	v_cmp_neq_f32_e32 vcc_lo, 0, v44
	s_mov_b32 s5, -1
	s_wait_xcnt 0x0
	v_cndmask_b32_e64 v1, 0, 1, vcc_lo
	global_store_b8 v[4:5], v1, off
.LBB44_2868:
	s_mov_b32 s0, 0
	s_branch .LBB44_2870
.LBB44_2869:
	s_mov_b32 s0, -1
	s_mov_b32 s5, 0
.LBB44_2870:
	s_and_b32 vcc_lo, exec_lo, s0
	s_cbranch_vccz .LBB44_2909
; %bb.2871:
	s_and_b32 s0, 0xffff, s1
	s_mov_b32 s3, -1
	s_cmp_lt_i32 s0, 5
	s_cbranch_scc1 .LBB44_2892
; %bb.2872:
	s_cmp_lt_i32 s0, 8
	s_cbranch_scc1 .LBB44_2882
; %bb.2873:
	;; [unrolled: 3-line block ×3, first 2 shown]
	s_cmp_gt_i32 s0, 9
	s_cbranch_scc0 .LBB44_2876
; %bb.2875:
	s_wait_xcnt 0x0
	v_cvt_f64_f32_e32 v[6:7], v44
	v_mov_b32_e32 v8, 0
	s_mov_b32 s3, 0
	s_delay_alu instid0(VALU_DEP_1)
	v_mov_b32_e32 v9, v8
	global_store_b128 v[4:5], v[6:9], off
.LBB44_2876:
	s_and_not1_b32 vcc_lo, exec_lo, s3
	s_cbranch_vccnz .LBB44_2878
; %bb.2877:
	v_mov_b32_e32 v45, 0
	global_store_b64 v[4:5], v[44:45], off
.LBB44_2878:
	s_mov_b32 s3, 0
.LBB44_2879:
	s_delay_alu instid0(SALU_CYCLE_1)
	s_and_not1_b32 vcc_lo, exec_lo, s3
	s_cbranch_vccnz .LBB44_2881
; %bb.2880:
	s_wait_xcnt 0x0
	v_cvt_f16_f32_e32 v1, v44
	s_delay_alu instid0(VALU_DEP_1)
	v_and_b32_e32 v1, 0xffff, v1
	global_store_b32 v[4:5], v1, off
.LBB44_2881:
	s_mov_b32 s3, 0
.LBB44_2882:
	s_delay_alu instid0(SALU_CYCLE_1)
	s_and_not1_b32 vcc_lo, exec_lo, s3
	s_cbranch_vccnz .LBB44_2891
; %bb.2883:
	s_cmp_lt_i32 s0, 6
	s_mov_b32 s3, -1
	s_cbranch_scc1 .LBB44_2889
; %bb.2884:
	s_cmp_gt_i32 s0, 6
	s_cbranch_scc0 .LBB44_2886
; %bb.2885:
	s_wait_xcnt 0x0
	v_cvt_f64_f32_e32 v[6:7], v44
	s_mov_b32 s3, 0
	global_store_b64 v[4:5], v[6:7], off
.LBB44_2886:
	s_and_not1_b32 vcc_lo, exec_lo, s3
	s_cbranch_vccnz .LBB44_2888
; %bb.2887:
	global_store_b32 v[4:5], v44, off
.LBB44_2888:
	s_mov_b32 s3, 0
.LBB44_2889:
	s_delay_alu instid0(SALU_CYCLE_1)
	s_and_not1_b32 vcc_lo, exec_lo, s3
	s_cbranch_vccnz .LBB44_2891
; %bb.2890:
	s_wait_xcnt 0x0
	v_cvt_f16_f32_e32 v1, v44
	global_store_b16 v[4:5], v1, off
.LBB44_2891:
	s_mov_b32 s3, 0
.LBB44_2892:
	s_delay_alu instid0(SALU_CYCLE_1)
	s_and_not1_b32 vcc_lo, exec_lo, s3
	s_cbranch_vccnz .LBB44_2908
; %bb.2893:
	s_cmp_lt_i32 s0, 2
	s_mov_b32 s3, -1
	s_cbranch_scc1 .LBB44_2903
; %bb.2894:
	s_cmp_lt_i32 s0, 3
	s_cbranch_scc1 .LBB44_2900
; %bb.2895:
	s_cmp_gt_i32 s0, 3
	s_cbranch_scc0 .LBB44_2897
; %bb.2896:
	s_wait_xcnt 0x0
	v_trunc_f32_e32 v1, v44
	s_mov_b32 s3, 0
	s_delay_alu instid0(VALU_DEP_1) | instskip(SKIP_1) | instid1(VALU_DEP_2)
	v_mul_f32_e64 v3, 0x2f800000, |v1|
	v_ashrrev_i32_e32 v6, 31, v1
	v_floor_f32_e32 v3, v3
	s_delay_alu instid0(VALU_DEP_1) | instskip(SKIP_1) | instid1(VALU_DEP_2)
	v_fma_f32 v7, 0xcf800000, v3, |v1|
	v_cvt_u32_f32_e32 v1, v3
	v_cvt_u32_f32_e32 v3, v7
	s_delay_alu instid0(VALU_DEP_2) | instskip(NEXT) | instid1(VALU_DEP_2)
	v_dual_mov_b32 v7, v6 :: v_dual_bitop2_b32 v9, v1, v6 bitop3:0x14
	v_xor_b32_e32 v8, v3, v6
	s_delay_alu instid0(VALU_DEP_1)
	v_sub_nc_u64_e32 v[6:7], v[8:9], v[6:7]
	global_store_b64 v[4:5], v[6:7], off
.LBB44_2897:
	s_and_not1_b32 vcc_lo, exec_lo, s3
	s_cbranch_vccnz .LBB44_2899
; %bb.2898:
	s_wait_xcnt 0x0
	v_cvt_i32_f32_e32 v1, v44
	global_store_b32 v[4:5], v1, off
.LBB44_2899:
	s_mov_b32 s3, 0
.LBB44_2900:
	s_delay_alu instid0(SALU_CYCLE_1)
	s_and_not1_b32 vcc_lo, exec_lo, s3
	s_cbranch_vccnz .LBB44_2902
; %bb.2901:
	s_wait_xcnt 0x0
	v_cvt_i32_f32_e32 v1, v44
	global_store_b16 v[4:5], v1, off
.LBB44_2902:
	s_mov_b32 s3, 0
.LBB44_2903:
	s_delay_alu instid0(SALU_CYCLE_1)
	s_and_not1_b32 vcc_lo, exec_lo, s3
	s_cbranch_vccnz .LBB44_2908
; %bb.2904:
	s_cmp_gt_i32 s0, 0
	s_mov_b32 s0, -1
	s_cbranch_scc0 .LBB44_2906
; %bb.2905:
	s_wait_xcnt 0x0
	v_cvt_i32_f32_e32 v1, v44
	s_mov_b32 s0, 0
	global_store_b8 v[4:5], v1, off
.LBB44_2906:
	s_and_not1_b32 vcc_lo, exec_lo, s0
	s_cbranch_vccnz .LBB44_2908
; %bb.2907:
	s_wait_xcnt 0x0
	v_trunc_f32_e32 v1, v44
	s_delay_alu instid0(VALU_DEP_1) | instskip(NEXT) | instid1(VALU_DEP_1)
	v_mul_f32_e64 v3, 0x2f800000, |v1|
	v_floor_f32_e32 v3, v3
	s_delay_alu instid0(VALU_DEP_1) | instskip(SKIP_1) | instid1(VALU_DEP_2)
	v_fma_f32 v3, 0xcf800000, v3, |v1|
	v_ashrrev_i32_e32 v1, 31, v1
	v_cvt_u32_f32_e32 v3, v3
	s_delay_alu instid0(VALU_DEP_1) | instskip(NEXT) | instid1(VALU_DEP_1)
	v_xor_b32_e32 v3, v3, v1
	v_sub_nc_u32_e32 v1, v3, v1
	global_store_b8 v[4:5], v1, off
.LBB44_2908:
	s_mov_b32 s5, -1
.LBB44_2909:
	s_delay_alu instid0(SALU_CYCLE_1)
	s_and_not1_b32 vcc_lo, exec_lo, s5
	s_cbranch_vccnz .LBB44_3105
; %bb.2910:
	v_add_nc_u32_e32 v2, s2, v2
	s_cmp_lt_i32 s1, 11
	s_wait_xcnt 0x0
	s_delay_alu instid0(VALU_DEP_1) | instskip(NEXT) | instid1(VALU_DEP_1)
	v_ashrrev_i32_e32 v3, 31, v2
	v_add_nc_u64_e32 v[4:5], s[36:37], v[2:3]
	s_cbranch_scc1 .LBB44_2988
; %bb.2911:
	s_and_b32 s3, 0xffff, s1
	s_mov_b32 s6, -1
	s_mov_b32 s4, 0
	s_cmp_gt_i32 s3, 25
	s_mov_b32 s5, 0
	s_mov_b32 s0, 0
	s_cbranch_scc0 .LBB44_2944
; %bb.2912:
	s_cmp_gt_i32 s3, 28
	s_cbranch_scc0 .LBB44_2927
; %bb.2913:
	s_cmp_gt_i32 s3, 43
	;; [unrolled: 3-line block ×3, first 2 shown]
	s_cbranch_scc0 .LBB44_2917
; %bb.2915:
	s_mov_b32 s0, -1
	s_mov_b32 s6, 0
	s_cmp_eq_u32 s3, 46
	s_cbranch_scc0 .LBB44_2917
; %bb.2916:
	v_bfe_u32 v1, v46, 16, 1
	v_cmp_o_f32_e32 vcc_lo, v46, v46
	s_mov_b32 s0, 0
	s_mov_b32 s5, -1
	s_delay_alu instid0(VALU_DEP_2) | instskip(NEXT) | instid1(VALU_DEP_1)
	v_add3_u32 v1, v46, v1, 0x7fff
	v_lshrrev_b32_e32 v1, 16, v1
	s_delay_alu instid0(VALU_DEP_1)
	v_cndmask_b32_e32 v1, 0x7fc0, v1, vcc_lo
	global_store_b32 v[4:5], v1, off
.LBB44_2917:
	s_and_b32 vcc_lo, exec_lo, s6
	s_cbranch_vccz .LBB44_2922
; %bb.2918:
	s_cmp_eq_u32 s3, 44
	s_mov_b32 s0, -1
	s_cbranch_scc0 .LBB44_2922
; %bb.2919:
	v_bfe_u32 v3, v46, 23, 8
	s_wait_xcnt 0x0
	v_mov_b32_e32 v1, 0xff
	s_mov_b32 s5, exec_lo
	s_delay_alu instid0(VALU_DEP_2)
	v_cmpx_ne_u32_e32 0xff, v3
	s_cbranch_execz .LBB44_2921
; %bb.2920:
	v_and_b32_e32 v1, 0x400000, v46
	v_and_or_b32 v3, 0x3fffff, v46, v3
	s_delay_alu instid0(VALU_DEP_2) | instskip(NEXT) | instid1(VALU_DEP_2)
	v_cmp_ne_u32_e32 vcc_lo, 0, v1
	v_cmp_ne_u32_e64 s0, 0, v3
	v_lshrrev_b32_e32 v1, 23, v46
	s_and_b32 s0, vcc_lo, s0
	s_delay_alu instid0(SALU_CYCLE_1) | instskip(NEXT) | instid1(VALU_DEP_1)
	v_cndmask_b32_e64 v3, 0, 1, s0
	v_add_nc_u32_e32 v1, v1, v3
.LBB44_2921:
	s_or_b32 exec_lo, exec_lo, s5
	s_mov_b32 s0, 0
	s_mov_b32 s5, -1
	global_store_b8 v[4:5], v1, off
.LBB44_2922:
	s_mov_b32 s6, 0
.LBB44_2923:
	s_delay_alu instid0(SALU_CYCLE_1)
	s_and_b32 vcc_lo, exec_lo, s6
	s_cbranch_vccz .LBB44_2926
; %bb.2924:
	s_cmp_eq_u32 s3, 29
	s_mov_b32 s0, -1
	s_cbranch_scc0 .LBB44_2926
; %bb.2925:
	s_wait_xcnt 0x0
	v_trunc_f32_e32 v1, v46
	s_mov_b32 s0, 0
	s_mov_b32 s5, -1
	s_delay_alu instid0(VALU_DEP_1) | instskip(NEXT) | instid1(VALU_DEP_1)
	v_mul_f32_e32 v3, 0x2f800000, v1
	v_floor_f32_e32 v3, v3
	s_delay_alu instid0(VALU_DEP_1) | instskip(SKIP_1) | instid1(VALU_DEP_2)
	v_fmamk_f32 v1, v3, 0xcf800000, v1
	v_cvt_u32_f32_e32 v7, v3
	v_cvt_u32_f32_e32 v6, v1
	global_store_b64 v[4:5], v[6:7], off
.LBB44_2926:
	s_mov_b32 s6, 0
.LBB44_2927:
	s_delay_alu instid0(SALU_CYCLE_1)
	s_and_b32 vcc_lo, exec_lo, s6
	s_cbranch_vccz .LBB44_2943
; %bb.2928:
	s_cmp_lt_i32 s3, 27
	s_mov_b32 s5, -1
	s_cbranch_scc1 .LBB44_2934
; %bb.2929:
	s_wait_xcnt 0x0
	v_cvt_u32_f32_e32 v1, v46
	s_cmp_gt_i32 s3, 27
	s_cbranch_scc0 .LBB44_2931
; %bb.2930:
	s_mov_b32 s5, 0
	global_store_b32 v[4:5], v1, off
.LBB44_2931:
	s_and_not1_b32 vcc_lo, exec_lo, s5
	s_cbranch_vccnz .LBB44_2933
; %bb.2932:
	global_store_b16 v[4:5], v1, off
.LBB44_2933:
	s_mov_b32 s5, 0
.LBB44_2934:
	s_delay_alu instid0(SALU_CYCLE_1)
	s_and_not1_b32 vcc_lo, exec_lo, s5
	s_cbranch_vccnz .LBB44_2942
; %bb.2935:
	s_wait_xcnt 0x0
	v_and_b32_e32 v1, 0x7fffffff, v46
	v_mov_b32_e32 v3, 0x80
	s_mov_b32 s5, exec_lo
	s_delay_alu instid0(VALU_DEP_2)
	v_cmpx_gt_u32_e32 0x43800000, v1
	s_cbranch_execz .LBB44_2941
; %bb.2936:
	v_cmp_lt_u32_e32 vcc_lo, 0x3bffffff, v1
	s_mov_b32 s6, 0
                                        ; implicit-def: $vgpr1
	s_and_saveexec_b32 s7, vcc_lo
	s_delay_alu instid0(SALU_CYCLE_1)
	s_xor_b32 s7, exec_lo, s7
	s_cbranch_execz .LBB44_3118
; %bb.2937:
	v_bfe_u32 v1, v46, 20, 1
	s_mov_b32 s6, exec_lo
	s_delay_alu instid0(VALU_DEP_1) | instskip(NEXT) | instid1(VALU_DEP_1)
	v_add3_u32 v1, v46, v1, 0x487ffff
	v_lshrrev_b32_e32 v1, 20, v1
	s_and_not1_saveexec_b32 s7, s7
	s_cbranch_execnz .LBB44_3119
.LBB44_2938:
	s_or_b32 exec_lo, exec_lo, s7
	v_mov_b32_e32 v3, 0
	s_and_saveexec_b32 s7, s6
.LBB44_2939:
	v_lshrrev_b32_e32 v3, 24, v46
	s_delay_alu instid0(VALU_DEP_1)
	v_and_or_b32 v3, 0x80, v3, v1
.LBB44_2940:
	s_or_b32 exec_lo, exec_lo, s7
.LBB44_2941:
	s_delay_alu instid0(SALU_CYCLE_1)
	s_or_b32 exec_lo, exec_lo, s5
	global_store_b8 v[4:5], v3, off
.LBB44_2942:
	s_mov_b32 s5, -1
.LBB44_2943:
	s_mov_b32 s6, 0
.LBB44_2944:
	s_delay_alu instid0(SALU_CYCLE_1)
	s_and_b32 vcc_lo, exec_lo, s6
	s_cbranch_vccz .LBB44_2984
; %bb.2945:
	s_cmp_gt_i32 s3, 22
	s_mov_b32 s4, -1
	s_cbranch_scc0 .LBB44_2977
; %bb.2946:
	s_cmp_lt_i32 s3, 24
	s_cbranch_scc1 .LBB44_2966
; %bb.2947:
	s_cmp_gt_i32 s3, 24
	s_cbranch_scc0 .LBB44_2955
; %bb.2948:
	s_wait_xcnt 0x0
	v_and_b32_e32 v1, 0x7fffffff, v46
	v_mov_b32_e32 v3, 0x80
	s_mov_b32 s4, exec_lo
	s_delay_alu instid0(VALU_DEP_2)
	v_cmpx_gt_u32_e32 0x47800000, v1
	s_cbranch_execz .LBB44_2954
; %bb.2949:
	v_cmp_lt_u32_e32 vcc_lo, 0x37ffffff, v1
	s_mov_b32 s5, 0
                                        ; implicit-def: $vgpr1
	s_and_saveexec_b32 s6, vcc_lo
	s_delay_alu instid0(SALU_CYCLE_1)
	s_xor_b32 s6, exec_lo, s6
	s_cbranch_execz .LBB44_3121
; %bb.2950:
	v_bfe_u32 v1, v46, 21, 1
	s_mov_b32 s5, exec_lo
	s_delay_alu instid0(VALU_DEP_1) | instskip(NEXT) | instid1(VALU_DEP_1)
	v_add3_u32 v1, v46, v1, 0x88fffff
	v_lshrrev_b32_e32 v1, 21, v1
	s_and_not1_saveexec_b32 s6, s6
	s_cbranch_execnz .LBB44_3122
.LBB44_2951:
	s_or_b32 exec_lo, exec_lo, s6
	v_mov_b32_e32 v3, 0
	s_and_saveexec_b32 s6, s5
.LBB44_2952:
	v_lshrrev_b32_e32 v3, 24, v46
	s_delay_alu instid0(VALU_DEP_1)
	v_and_or_b32 v3, 0x80, v3, v1
.LBB44_2953:
	s_or_b32 exec_lo, exec_lo, s6
.LBB44_2954:
	s_delay_alu instid0(SALU_CYCLE_1)
	s_or_b32 exec_lo, exec_lo, s4
	s_mov_b32 s4, 0
	global_store_b8 v[4:5], v3, off
.LBB44_2955:
	s_and_b32 vcc_lo, exec_lo, s4
	s_cbranch_vccz .LBB44_2965
; %bb.2956:
	s_wait_xcnt 0x0
	v_and_b32_e32 v3, 0x7fffffff, v46
	s_mov_b32 s4, exec_lo
                                        ; implicit-def: $vgpr1
	s_delay_alu instid0(VALU_DEP_1)
	v_cmpx_gt_u32_e32 0x43f00000, v3
	s_xor_b32 s4, exec_lo, s4
	s_cbranch_execz .LBB44_2962
; %bb.2957:
	s_mov_b32 s5, exec_lo
                                        ; implicit-def: $vgpr1
	v_cmpx_lt_u32_e32 0x3c7fffff, v3
	s_xor_b32 s5, exec_lo, s5
; %bb.2958:
	v_bfe_u32 v1, v46, 20, 1
	s_delay_alu instid0(VALU_DEP_1) | instskip(NEXT) | instid1(VALU_DEP_1)
	v_add3_u32 v1, v46, v1, 0x407ffff
	v_and_b32_e32 v3, 0xff00000, v1
	v_lshrrev_b32_e32 v1, 20, v1
	s_delay_alu instid0(VALU_DEP_2) | instskip(NEXT) | instid1(VALU_DEP_2)
	v_cmp_ne_u32_e32 vcc_lo, 0x7f00000, v3
	v_cndmask_b32_e32 v1, 0x7e, v1, vcc_lo
; %bb.2959:
	s_and_not1_saveexec_b32 s5, s5
; %bb.2960:
	v_add_f32_e64 v1, 0x46800000, |v46|
; %bb.2961:
	s_or_b32 exec_lo, exec_lo, s5
                                        ; implicit-def: $vgpr3
.LBB44_2962:
	s_and_not1_saveexec_b32 s4, s4
; %bb.2963:
	v_mov_b32_e32 v1, 0x7f
	v_cmp_lt_u32_e32 vcc_lo, 0x7f800000, v3
	s_delay_alu instid0(VALU_DEP_2)
	v_cndmask_b32_e32 v1, 0x7e, v1, vcc_lo
; %bb.2964:
	s_or_b32 exec_lo, exec_lo, s4
	v_lshrrev_b32_e32 v3, 24, v46
	s_delay_alu instid0(VALU_DEP_1)
	v_and_or_b32 v1, 0x80, v3, v1
	global_store_b8 v[4:5], v1, off
.LBB44_2965:
	s_mov_b32 s4, 0
.LBB44_2966:
	s_delay_alu instid0(SALU_CYCLE_1)
	s_and_not1_b32 vcc_lo, exec_lo, s4
	s_cbranch_vccnz .LBB44_2976
; %bb.2967:
	s_wait_xcnt 0x0
	v_and_b32_e32 v3, 0x7fffffff, v46
	s_mov_b32 s4, exec_lo
                                        ; implicit-def: $vgpr1
	s_delay_alu instid0(VALU_DEP_1)
	v_cmpx_gt_u32_e32 0x47800000, v3
	s_xor_b32 s4, exec_lo, s4
	s_cbranch_execz .LBB44_2973
; %bb.2968:
	s_mov_b32 s5, exec_lo
                                        ; implicit-def: $vgpr1
	v_cmpx_lt_u32_e32 0x387fffff, v3
	s_xor_b32 s5, exec_lo, s5
; %bb.2969:
	v_bfe_u32 v1, v46, 21, 1
	s_delay_alu instid0(VALU_DEP_1) | instskip(NEXT) | instid1(VALU_DEP_1)
	v_add3_u32 v1, v46, v1, 0x80fffff
	v_lshrrev_b32_e32 v1, 21, v1
; %bb.2970:
	s_and_not1_saveexec_b32 s5, s5
; %bb.2971:
	v_add_f32_e64 v1, 0x43000000, |v46|
; %bb.2972:
	s_or_b32 exec_lo, exec_lo, s5
                                        ; implicit-def: $vgpr3
.LBB44_2973:
	s_and_not1_saveexec_b32 s4, s4
; %bb.2974:
	v_mov_b32_e32 v1, 0x7f
	v_cmp_lt_u32_e32 vcc_lo, 0x7f800000, v3
	s_delay_alu instid0(VALU_DEP_2)
	v_cndmask_b32_e32 v1, 0x7c, v1, vcc_lo
; %bb.2975:
	s_or_b32 exec_lo, exec_lo, s4
	v_lshrrev_b32_e32 v3, 24, v46
	s_delay_alu instid0(VALU_DEP_1)
	v_and_or_b32 v1, 0x80, v3, v1
	global_store_b8 v[4:5], v1, off
.LBB44_2976:
	s_mov_b32 s4, 0
	s_mov_b32 s5, -1
.LBB44_2977:
	s_and_not1_b32 vcc_lo, exec_lo, s4
	s_mov_b32 s4, 0
	s_cbranch_vccnz .LBB44_2984
; %bb.2978:
	s_cmp_gt_i32 s3, 14
	s_mov_b32 s4, -1
	s_cbranch_scc0 .LBB44_2982
; %bb.2979:
	s_cmp_eq_u32 s3, 15
	s_mov_b32 s0, -1
	s_cbranch_scc0 .LBB44_2981
; %bb.2980:
	s_wait_xcnt 0x0
	v_bfe_u32 v1, v46, 16, 1
	v_cmp_o_f32_e32 vcc_lo, v46, v46
	s_mov_b32 s0, 0
	s_mov_b32 s5, -1
	s_delay_alu instid0(VALU_DEP_2) | instskip(NEXT) | instid1(VALU_DEP_1)
	v_add3_u32 v1, v46, v1, 0x7fff
	v_lshrrev_b32_e32 v1, 16, v1
	s_delay_alu instid0(VALU_DEP_1)
	v_cndmask_b32_e32 v1, 0x7fc0, v1, vcc_lo
	global_store_b16 v[4:5], v1, off
.LBB44_2981:
	s_mov_b32 s4, 0
.LBB44_2982:
	s_delay_alu instid0(SALU_CYCLE_1)
	s_and_b32 vcc_lo, exec_lo, s4
	s_mov_b32 s4, 0
	s_cbranch_vccz .LBB44_2984
; %bb.2983:
	s_cmp_lg_u32 s3, 11
	s_mov_b32 s4, -1
	s_cselect_b32 s0, -1, 0
.LBB44_2984:
	s_delay_alu instid0(SALU_CYCLE_1)
	s_and_b32 vcc_lo, exec_lo, s0
	s_cbranch_vccnz .LBB44_3120
; %bb.2985:
	s_and_not1_b32 vcc_lo, exec_lo, s4
	s_cbranch_vccnz .LBB44_2987
.LBB44_2986:
	v_cmp_neq_f32_e32 vcc_lo, 0, v46
	s_mov_b32 s5, -1
	s_wait_xcnt 0x0
	v_cndmask_b32_e64 v1, 0, 1, vcc_lo
	global_store_b8 v[4:5], v1, off
.LBB44_2987:
	s_mov_b32 s0, 0
	s_branch .LBB44_2989
.LBB44_2988:
	s_mov_b32 s0, -1
	s_mov_b32 s5, 0
.LBB44_2989:
	s_and_b32 vcc_lo, exec_lo, s0
	s_cbranch_vccz .LBB44_3028
; %bb.2990:
	s_and_b32 s0, 0xffff, s1
	s_mov_b32 s3, -1
	s_cmp_lt_i32 s0, 5
	s_cbranch_scc1 .LBB44_3011
; %bb.2991:
	s_cmp_lt_i32 s0, 8
	s_cbranch_scc1 .LBB44_3001
; %bb.2992:
	;; [unrolled: 3-line block ×3, first 2 shown]
	s_cmp_gt_i32 s0, 9
	s_cbranch_scc0 .LBB44_2995
; %bb.2994:
	s_wait_xcnt 0x0
	v_cvt_f64_f32_e32 v[6:7], v46
	v_mov_b32_e32 v8, 0
	s_mov_b32 s3, 0
	s_delay_alu instid0(VALU_DEP_1)
	v_mov_b32_e32 v9, v8
	global_store_b128 v[4:5], v[6:9], off
.LBB44_2995:
	s_and_not1_b32 vcc_lo, exec_lo, s3
	s_cbranch_vccnz .LBB44_2997
; %bb.2996:
	v_mov_b32_e32 v47, 0
	global_store_b64 v[4:5], v[46:47], off
.LBB44_2997:
	s_mov_b32 s3, 0
.LBB44_2998:
	s_delay_alu instid0(SALU_CYCLE_1)
	s_and_not1_b32 vcc_lo, exec_lo, s3
	s_cbranch_vccnz .LBB44_3000
; %bb.2999:
	s_wait_xcnt 0x0
	v_cvt_f16_f32_e32 v1, v46
	s_delay_alu instid0(VALU_DEP_1)
	v_and_b32_e32 v1, 0xffff, v1
	global_store_b32 v[4:5], v1, off
.LBB44_3000:
	s_mov_b32 s3, 0
.LBB44_3001:
	s_delay_alu instid0(SALU_CYCLE_1)
	s_and_not1_b32 vcc_lo, exec_lo, s3
	s_cbranch_vccnz .LBB44_3010
; %bb.3002:
	s_cmp_lt_i32 s0, 6
	s_mov_b32 s3, -1
	s_cbranch_scc1 .LBB44_3008
; %bb.3003:
	s_cmp_gt_i32 s0, 6
	s_cbranch_scc0 .LBB44_3005
; %bb.3004:
	s_wait_xcnt 0x0
	v_cvt_f64_f32_e32 v[6:7], v46
	s_mov_b32 s3, 0
	global_store_b64 v[4:5], v[6:7], off
.LBB44_3005:
	s_and_not1_b32 vcc_lo, exec_lo, s3
	s_cbranch_vccnz .LBB44_3007
; %bb.3006:
	global_store_b32 v[4:5], v46, off
.LBB44_3007:
	s_mov_b32 s3, 0
.LBB44_3008:
	s_delay_alu instid0(SALU_CYCLE_1)
	s_and_not1_b32 vcc_lo, exec_lo, s3
	s_cbranch_vccnz .LBB44_3010
; %bb.3009:
	s_wait_xcnt 0x0
	v_cvt_f16_f32_e32 v1, v46
	global_store_b16 v[4:5], v1, off
.LBB44_3010:
	s_mov_b32 s3, 0
.LBB44_3011:
	s_delay_alu instid0(SALU_CYCLE_1)
	s_and_not1_b32 vcc_lo, exec_lo, s3
	s_cbranch_vccnz .LBB44_3027
; %bb.3012:
	s_cmp_lt_i32 s0, 2
	s_mov_b32 s3, -1
	s_cbranch_scc1 .LBB44_3022
; %bb.3013:
	s_cmp_lt_i32 s0, 3
	s_cbranch_scc1 .LBB44_3019
; %bb.3014:
	s_cmp_gt_i32 s0, 3
	s_cbranch_scc0 .LBB44_3016
; %bb.3015:
	s_wait_xcnt 0x0
	v_trunc_f32_e32 v1, v46
	s_mov_b32 s3, 0
	s_delay_alu instid0(VALU_DEP_1) | instskip(SKIP_1) | instid1(VALU_DEP_2)
	v_mul_f32_e64 v3, 0x2f800000, |v1|
	v_ashrrev_i32_e32 v6, 31, v1
	v_floor_f32_e32 v3, v3
	s_delay_alu instid0(VALU_DEP_1) | instskip(SKIP_1) | instid1(VALU_DEP_2)
	v_fma_f32 v7, 0xcf800000, v3, |v1|
	v_cvt_u32_f32_e32 v1, v3
	v_cvt_u32_f32_e32 v3, v7
	s_delay_alu instid0(VALU_DEP_2) | instskip(NEXT) | instid1(VALU_DEP_2)
	v_dual_mov_b32 v7, v6 :: v_dual_bitop2_b32 v9, v1, v6 bitop3:0x14
	v_xor_b32_e32 v8, v3, v6
	s_delay_alu instid0(VALU_DEP_1)
	v_sub_nc_u64_e32 v[6:7], v[8:9], v[6:7]
	global_store_b64 v[4:5], v[6:7], off
.LBB44_3016:
	s_and_not1_b32 vcc_lo, exec_lo, s3
	s_cbranch_vccnz .LBB44_3018
; %bb.3017:
	s_wait_xcnt 0x0
	v_cvt_i32_f32_e32 v1, v46
	global_store_b32 v[4:5], v1, off
.LBB44_3018:
	s_mov_b32 s3, 0
.LBB44_3019:
	s_delay_alu instid0(SALU_CYCLE_1)
	s_and_not1_b32 vcc_lo, exec_lo, s3
	s_cbranch_vccnz .LBB44_3021
; %bb.3020:
	s_wait_xcnt 0x0
	v_cvt_i32_f32_e32 v1, v46
	global_store_b16 v[4:5], v1, off
.LBB44_3021:
	s_mov_b32 s3, 0
.LBB44_3022:
	s_delay_alu instid0(SALU_CYCLE_1)
	s_and_not1_b32 vcc_lo, exec_lo, s3
	s_cbranch_vccnz .LBB44_3027
; %bb.3023:
	s_cmp_gt_i32 s0, 0
	s_mov_b32 s0, -1
	s_cbranch_scc0 .LBB44_3025
; %bb.3024:
	s_wait_xcnt 0x0
	v_cvt_i32_f32_e32 v1, v46
	s_mov_b32 s0, 0
	global_store_b8 v[4:5], v1, off
.LBB44_3025:
	s_and_not1_b32 vcc_lo, exec_lo, s0
	s_cbranch_vccnz .LBB44_3027
; %bb.3026:
	s_wait_xcnt 0x0
	v_trunc_f32_e32 v1, v46
	s_delay_alu instid0(VALU_DEP_1) | instskip(NEXT) | instid1(VALU_DEP_1)
	v_mul_f32_e64 v3, 0x2f800000, |v1|
	v_floor_f32_e32 v3, v3
	s_delay_alu instid0(VALU_DEP_1) | instskip(SKIP_1) | instid1(VALU_DEP_2)
	v_fma_f32 v3, 0xcf800000, v3, |v1|
	v_ashrrev_i32_e32 v1, 31, v1
	v_cvt_u32_f32_e32 v3, v3
	s_delay_alu instid0(VALU_DEP_1) | instskip(NEXT) | instid1(VALU_DEP_1)
	v_xor_b32_e32 v3, v3, v1
	v_sub_nc_u32_e32 v1, v3, v1
	global_store_b8 v[4:5], v1, off
.LBB44_3027:
	s_mov_b32 s5, -1
.LBB44_3028:
	s_delay_alu instid0(SALU_CYCLE_1)
	s_and_not1_b32 vcc_lo, exec_lo, s5
	s_cbranch_vccnz .LBB44_3105
; %bb.3029:
	v_add_nc_u32_e32 v2, s2, v2
	s_cmp_lt_i32 s1, 11
	s_wait_xcnt 0x0
	s_delay_alu instid0(VALU_DEP_1) | instskip(NEXT) | instid1(VALU_DEP_1)
	v_ashrrev_i32_e32 v3, 31, v2
	v_add_nc_u64_e32 v[2:3], s[36:37], v[2:3]
	s_cbranch_scc1 .LBB44_3106
; %bb.3030:
	s_and_b32 s2, 0xffff, s1
	s_mov_b32 s4, -1
	s_mov_b32 s3, 0
	s_cmp_gt_i32 s2, 25
	s_mov_b32 s0, 0
	s_cbranch_scc0 .LBB44_3063
; %bb.3031:
	s_cmp_gt_i32 s2, 28
	s_cbranch_scc0 .LBB44_3047
; %bb.3032:
	s_cmp_gt_i32 s2, 43
	;; [unrolled: 3-line block ×3, first 2 shown]
	s_cbranch_scc0 .LBB44_3037
; %bb.3034:
	s_cmp_eq_u32 s2, 46
	s_mov_b32 s0, -1
	s_cbranch_scc0 .LBB44_3036
; %bb.3035:
	v_bfe_u32 v1, v0, 16, 1
	v_cmp_o_f32_e32 vcc_lo, v0, v0
	s_mov_b32 s0, 0
	s_delay_alu instid0(VALU_DEP_2) | instskip(NEXT) | instid1(VALU_DEP_1)
	v_add3_u32 v1, v0, v1, 0x7fff
	v_lshrrev_b32_e32 v1, 16, v1
	s_delay_alu instid0(VALU_DEP_1)
	v_cndmask_b32_e32 v1, 0x7fc0, v1, vcc_lo
	global_store_b32 v[2:3], v1, off
.LBB44_3036:
	s_mov_b32 s4, 0
.LBB44_3037:
	s_delay_alu instid0(SALU_CYCLE_1)
	s_and_b32 vcc_lo, exec_lo, s4
	s_cbranch_vccz .LBB44_3042
; %bb.3038:
	s_cmp_eq_u32 s2, 44
	s_mov_b32 s0, -1
	s_cbranch_scc0 .LBB44_3042
; %bb.3039:
	v_bfe_u32 v4, v0, 23, 8
	s_wait_xcnt 0x0
	v_mov_b32_e32 v1, 0xff
	s_mov_b32 s4, exec_lo
	s_delay_alu instid0(VALU_DEP_2)
	v_cmpx_ne_u32_e32 0xff, v4
	s_cbranch_execz .LBB44_3041
; %bb.3040:
	v_and_b32_e32 v1, 0x400000, v0
	v_and_or_b32 v4, 0x3fffff, v0, v4
	s_delay_alu instid0(VALU_DEP_2) | instskip(NEXT) | instid1(VALU_DEP_2)
	v_cmp_ne_u32_e32 vcc_lo, 0, v1
	v_cmp_ne_u32_e64 s0, 0, v4
	v_lshrrev_b32_e32 v1, 23, v0
	s_and_b32 s0, vcc_lo, s0
	s_delay_alu instid0(SALU_CYCLE_1) | instskip(NEXT) | instid1(VALU_DEP_1)
	v_cndmask_b32_e64 v4, 0, 1, s0
	v_add_nc_u32_e32 v1, v1, v4
.LBB44_3041:
	s_or_b32 exec_lo, exec_lo, s4
	s_mov_b32 s0, 0
	global_store_b8 v[2:3], v1, off
.LBB44_3042:
	s_mov_b32 s4, 0
.LBB44_3043:
	s_delay_alu instid0(SALU_CYCLE_1)
	s_and_b32 vcc_lo, exec_lo, s4
	s_cbranch_vccz .LBB44_3046
; %bb.3044:
	s_cmp_eq_u32 s2, 29
	s_mov_b32 s0, -1
	s_cbranch_scc0 .LBB44_3046
; %bb.3045:
	s_wait_xcnt 0x0
	v_trunc_f32_e32 v1, v0
	s_mov_b32 s0, 0
	s_delay_alu instid0(VALU_DEP_1) | instskip(NEXT) | instid1(VALU_DEP_1)
	v_mul_f32_e32 v4, 0x2f800000, v1
	v_floor_f32_e32 v4, v4
	s_delay_alu instid0(VALU_DEP_1) | instskip(SKIP_1) | instid1(VALU_DEP_2)
	v_fmamk_f32 v1, v4, 0xcf800000, v1
	v_cvt_u32_f32_e32 v5, v4
	v_cvt_u32_f32_e32 v4, v1
	global_store_b64 v[2:3], v[4:5], off
.LBB44_3046:
	s_mov_b32 s4, 0
.LBB44_3047:
	s_delay_alu instid0(SALU_CYCLE_1)
	s_and_b32 vcc_lo, exec_lo, s4
	s_cbranch_vccz .LBB44_3062
; %bb.3048:
	s_cmp_lt_i32 s2, 27
	s_mov_b32 s4, -1
	s_cbranch_scc1 .LBB44_3054
; %bb.3049:
	s_wait_xcnt 0x0
	v_cvt_u32_f32_e32 v1, v0
	s_cmp_gt_i32 s2, 27
	s_cbranch_scc0 .LBB44_3051
; %bb.3050:
	s_mov_b32 s4, 0
	global_store_b32 v[2:3], v1, off
.LBB44_3051:
	s_and_not1_b32 vcc_lo, exec_lo, s4
	s_cbranch_vccnz .LBB44_3053
; %bb.3052:
	global_store_b16 v[2:3], v1, off
.LBB44_3053:
	s_mov_b32 s4, 0
.LBB44_3054:
	s_delay_alu instid0(SALU_CYCLE_1)
	s_and_not1_b32 vcc_lo, exec_lo, s4
	s_cbranch_vccnz .LBB44_3062
; %bb.3055:
	s_wait_xcnt 0x0
	v_and_b32_e32 v1, 0x7fffffff, v0
	v_mov_b32_e32 v4, 0x80
	s_mov_b32 s4, exec_lo
	s_delay_alu instid0(VALU_DEP_2)
	v_cmpx_gt_u32_e32 0x43800000, v1
	s_cbranch_execz .LBB44_3061
; %bb.3056:
	v_cmp_lt_u32_e32 vcc_lo, 0x3bffffff, v1
	s_mov_b32 s5, 0
                                        ; implicit-def: $vgpr1
	s_and_saveexec_b32 s6, vcc_lo
	s_delay_alu instid0(SALU_CYCLE_1)
	s_xor_b32 s6, exec_lo, s6
	s_cbranch_execz .LBB44_3123
; %bb.3057:
	v_bfe_u32 v1, v0, 20, 1
	s_mov_b32 s5, exec_lo
	s_delay_alu instid0(VALU_DEP_1) | instskip(NEXT) | instid1(VALU_DEP_1)
	v_add3_u32 v1, v0, v1, 0x487ffff
	v_lshrrev_b32_e32 v1, 20, v1
	s_and_not1_saveexec_b32 s6, s6
	s_cbranch_execnz .LBB44_3124
.LBB44_3058:
	s_or_b32 exec_lo, exec_lo, s6
	v_mov_b32_e32 v4, 0
	s_and_saveexec_b32 s6, s5
.LBB44_3059:
	v_lshrrev_b32_e32 v4, 24, v0
	s_delay_alu instid0(VALU_DEP_1)
	v_and_or_b32 v4, 0x80, v4, v1
.LBB44_3060:
	s_or_b32 exec_lo, exec_lo, s6
.LBB44_3061:
	s_delay_alu instid0(SALU_CYCLE_1)
	s_or_b32 exec_lo, exec_lo, s4
	global_store_b8 v[2:3], v4, off
.LBB44_3062:
	s_mov_b32 s4, 0
.LBB44_3063:
	s_delay_alu instid0(SALU_CYCLE_1)
	s_and_b32 vcc_lo, exec_lo, s4
	s_cbranch_vccz .LBB44_3103
; %bb.3064:
	s_cmp_gt_i32 s2, 22
	s_mov_b32 s3, -1
	s_cbranch_scc0 .LBB44_3096
; %bb.3065:
	s_cmp_lt_i32 s2, 24
	s_cbranch_scc1 .LBB44_3085
; %bb.3066:
	s_cmp_gt_i32 s2, 24
	s_cbranch_scc0 .LBB44_3074
; %bb.3067:
	s_wait_xcnt 0x0
	v_and_b32_e32 v1, 0x7fffffff, v0
	v_mov_b32_e32 v4, 0x80
	s_mov_b32 s3, exec_lo
	s_delay_alu instid0(VALU_DEP_2)
	v_cmpx_gt_u32_e32 0x47800000, v1
	s_cbranch_execz .LBB44_3073
; %bb.3068:
	v_cmp_lt_u32_e32 vcc_lo, 0x37ffffff, v1
	s_mov_b32 s4, 0
                                        ; implicit-def: $vgpr1
	s_and_saveexec_b32 s5, vcc_lo
	s_delay_alu instid0(SALU_CYCLE_1)
	s_xor_b32 s5, exec_lo, s5
	s_cbranch_execz .LBB44_3126
; %bb.3069:
	v_bfe_u32 v1, v0, 21, 1
	s_mov_b32 s4, exec_lo
	s_delay_alu instid0(VALU_DEP_1) | instskip(NEXT) | instid1(VALU_DEP_1)
	v_add3_u32 v1, v0, v1, 0x88fffff
	v_lshrrev_b32_e32 v1, 21, v1
	s_and_not1_saveexec_b32 s5, s5
	s_cbranch_execnz .LBB44_3127
.LBB44_3070:
	s_or_b32 exec_lo, exec_lo, s5
	v_mov_b32_e32 v4, 0
	s_and_saveexec_b32 s5, s4
.LBB44_3071:
	v_lshrrev_b32_e32 v4, 24, v0
	s_delay_alu instid0(VALU_DEP_1)
	v_and_or_b32 v4, 0x80, v4, v1
.LBB44_3072:
	s_or_b32 exec_lo, exec_lo, s5
.LBB44_3073:
	s_delay_alu instid0(SALU_CYCLE_1)
	s_or_b32 exec_lo, exec_lo, s3
	s_mov_b32 s3, 0
	global_store_b8 v[2:3], v4, off
.LBB44_3074:
	s_and_b32 vcc_lo, exec_lo, s3
	s_cbranch_vccz .LBB44_3084
; %bb.3075:
	s_wait_xcnt 0x0
	v_and_b32_e32 v4, 0x7fffffff, v0
	s_mov_b32 s3, exec_lo
                                        ; implicit-def: $vgpr1
	s_delay_alu instid0(VALU_DEP_1)
	v_cmpx_gt_u32_e32 0x43f00000, v4
	s_xor_b32 s3, exec_lo, s3
	s_cbranch_execz .LBB44_3081
; %bb.3076:
	s_mov_b32 s4, exec_lo
                                        ; implicit-def: $vgpr1
	v_cmpx_lt_u32_e32 0x3c7fffff, v4
	s_xor_b32 s4, exec_lo, s4
; %bb.3077:
	v_bfe_u32 v1, v0, 20, 1
	s_delay_alu instid0(VALU_DEP_1) | instskip(NEXT) | instid1(VALU_DEP_1)
	v_add3_u32 v1, v0, v1, 0x407ffff
	v_and_b32_e32 v4, 0xff00000, v1
	v_lshrrev_b32_e32 v1, 20, v1
	s_delay_alu instid0(VALU_DEP_2) | instskip(NEXT) | instid1(VALU_DEP_2)
	v_cmp_ne_u32_e32 vcc_lo, 0x7f00000, v4
	v_cndmask_b32_e32 v1, 0x7e, v1, vcc_lo
; %bb.3078:
	s_and_not1_saveexec_b32 s4, s4
; %bb.3079:
	v_add_f32_e64 v1, 0x46800000, |v0|
; %bb.3080:
	s_or_b32 exec_lo, exec_lo, s4
                                        ; implicit-def: $vgpr4
.LBB44_3081:
	s_and_not1_saveexec_b32 s3, s3
; %bb.3082:
	v_mov_b32_e32 v1, 0x7f
	v_cmp_lt_u32_e32 vcc_lo, 0x7f800000, v4
	s_delay_alu instid0(VALU_DEP_2)
	v_cndmask_b32_e32 v1, 0x7e, v1, vcc_lo
; %bb.3083:
	s_or_b32 exec_lo, exec_lo, s3
	v_lshrrev_b32_e32 v4, 24, v0
	s_delay_alu instid0(VALU_DEP_1)
	v_and_or_b32 v1, 0x80, v4, v1
	global_store_b8 v[2:3], v1, off
.LBB44_3084:
	s_mov_b32 s3, 0
.LBB44_3085:
	s_delay_alu instid0(SALU_CYCLE_1)
	s_and_not1_b32 vcc_lo, exec_lo, s3
	s_cbranch_vccnz .LBB44_3095
; %bb.3086:
	s_wait_xcnt 0x0
	v_and_b32_e32 v4, 0x7fffffff, v0
	s_mov_b32 s3, exec_lo
                                        ; implicit-def: $vgpr1
	s_delay_alu instid0(VALU_DEP_1)
	v_cmpx_gt_u32_e32 0x47800000, v4
	s_xor_b32 s3, exec_lo, s3
	s_cbranch_execz .LBB44_3092
; %bb.3087:
	s_mov_b32 s4, exec_lo
                                        ; implicit-def: $vgpr1
	v_cmpx_lt_u32_e32 0x387fffff, v4
	s_xor_b32 s4, exec_lo, s4
; %bb.3088:
	v_bfe_u32 v1, v0, 21, 1
	s_delay_alu instid0(VALU_DEP_1) | instskip(NEXT) | instid1(VALU_DEP_1)
	v_add3_u32 v1, v0, v1, 0x80fffff
	v_lshrrev_b32_e32 v1, 21, v1
; %bb.3089:
	s_and_not1_saveexec_b32 s4, s4
; %bb.3090:
	v_add_f32_e64 v1, 0x43000000, |v0|
; %bb.3091:
	s_or_b32 exec_lo, exec_lo, s4
                                        ; implicit-def: $vgpr4
.LBB44_3092:
	s_and_not1_saveexec_b32 s3, s3
; %bb.3093:
	v_mov_b32_e32 v1, 0x7f
	v_cmp_lt_u32_e32 vcc_lo, 0x7f800000, v4
	s_delay_alu instid0(VALU_DEP_2)
	v_cndmask_b32_e32 v1, 0x7c, v1, vcc_lo
; %bb.3094:
	s_or_b32 exec_lo, exec_lo, s3
	v_lshrrev_b32_e32 v4, 24, v0
	s_delay_alu instid0(VALU_DEP_1)
	v_and_or_b32 v1, 0x80, v4, v1
	global_store_b8 v[2:3], v1, off
.LBB44_3095:
	s_mov_b32 s3, 0
.LBB44_3096:
	s_delay_alu instid0(SALU_CYCLE_1)
	s_and_not1_b32 vcc_lo, exec_lo, s3
	s_mov_b32 s3, 0
	s_cbranch_vccnz .LBB44_3103
; %bb.3097:
	s_cmp_gt_i32 s2, 14
	s_mov_b32 s3, -1
	s_cbranch_scc0 .LBB44_3101
; %bb.3098:
	s_cmp_eq_u32 s2, 15
	s_mov_b32 s0, -1
	s_cbranch_scc0 .LBB44_3100
; %bb.3099:
	s_wait_xcnt 0x0
	v_bfe_u32 v1, v0, 16, 1
	v_cmp_o_f32_e32 vcc_lo, v0, v0
	s_mov_b32 s0, 0
	s_delay_alu instid0(VALU_DEP_2) | instskip(NEXT) | instid1(VALU_DEP_1)
	v_add3_u32 v1, v0, v1, 0x7fff
	v_lshrrev_b32_e32 v1, 16, v1
	s_delay_alu instid0(VALU_DEP_1)
	v_cndmask_b32_e32 v1, 0x7fc0, v1, vcc_lo
	global_store_b16 v[2:3], v1, off
.LBB44_3100:
	s_mov_b32 s3, 0
.LBB44_3101:
	s_delay_alu instid0(SALU_CYCLE_1)
	s_and_b32 vcc_lo, exec_lo, s3
	s_mov_b32 s3, 0
	s_cbranch_vccz .LBB44_3103
; %bb.3102:
	s_cmp_lg_u32 s2, 11
	s_mov_b32 s3, -1
	s_cselect_b32 s0, -1, 0
.LBB44_3103:
	s_delay_alu instid0(SALU_CYCLE_1)
	s_and_b32 vcc_lo, exec_lo, s0
	s_cbranch_vccnz .LBB44_3125
.LBB44_3104:
	s_mov_b32 s0, 0
	s_branch .LBB44_2625
.LBB44_3105:
	s_mov_b32 s0, 0
	s_mov_b32 s3, 0
                                        ; implicit-def: $sgpr1
                                        ; implicit-def: $vgpr2_vgpr3
	s_branch .LBB44_2625
.LBB44_3106:
	s_mov_b32 s3, 0
	s_mov_b32 s0, -1
	s_branch .LBB44_2625
.LBB44_3107:
	s_or_b32 s52, s52, exec_lo
	s_trap 2
	s_cbranch_execz .LBB44_2570
	s_branch .LBB44_2571
.LBB44_3108:
	s_and_not1_saveexec_b32 s6, s6
	s_cbranch_execz .LBB44_2700
.LBB44_3109:
	v_add_f32_e64 v1, 0x46000000, |v42|
	s_and_not1_b32 s5, s5, exec_lo
	s_delay_alu instid0(VALU_DEP_1) | instskip(NEXT) | instid1(VALU_DEP_1)
	v_and_b32_e32 v1, 0xff, v1
	v_cmp_ne_u32_e32 vcc_lo, 0, v1
	s_and_b32 s7, vcc_lo, exec_lo
	s_delay_alu instid0(SALU_CYCLE_1)
	s_or_b32 s5, s5, s7
	s_or_b32 exec_lo, exec_lo, s6
	v_mov_b32_e32 v3, 0
	s_and_saveexec_b32 s6, s5
	s_cbranch_execnz .LBB44_2701
	s_branch .LBB44_2702
.LBB44_3110:
	s_or_b32 s52, s52, exec_lo
	s_trap 2
	s_cbranch_execz .LBB44_2748
	s_branch .LBB44_2749
.LBB44_3111:
	s_and_not1_saveexec_b32 s5, s5
	s_cbranch_execz .LBB44_2713
.LBB44_3112:
	v_add_f32_e64 v1, 0x42800000, |v42|
	s_and_not1_b32 s4, s4, exec_lo
	s_delay_alu instid0(VALU_DEP_1) | instskip(NEXT) | instid1(VALU_DEP_1)
	v_and_b32_e32 v1, 0xff, v1
	v_cmp_ne_u32_e32 vcc_lo, 0, v1
	s_and_b32 s6, vcc_lo, exec_lo
	s_delay_alu instid0(SALU_CYCLE_1)
	s_or_b32 s4, s4, s6
	s_or_b32 exec_lo, exec_lo, s5
	v_mov_b32_e32 v3, 0
	s_and_saveexec_b32 s5, s4
	s_cbranch_execnz .LBB44_2714
	s_branch .LBB44_2715
.LBB44_3113:
	s_and_not1_saveexec_b32 s7, s7
	s_cbranch_execz .LBB44_2819
.LBB44_3114:
	v_add_f32_e64 v1, 0x46000000, |v44|
	s_and_not1_b32 s6, s6, exec_lo
	s_delay_alu instid0(VALU_DEP_1) | instskip(NEXT) | instid1(VALU_DEP_1)
	v_and_b32_e32 v1, 0xff, v1
	v_cmp_ne_u32_e32 vcc_lo, 0, v1
	s_and_b32 s8, vcc_lo, exec_lo
	s_delay_alu instid0(SALU_CYCLE_1)
	s_or_b32 s6, s6, s8
	s_or_b32 exec_lo, exec_lo, s7
	v_mov_b32_e32 v3, 0
	s_and_saveexec_b32 s7, s6
	s_cbranch_execnz .LBB44_2820
	s_branch .LBB44_2821
.LBB44_3115:
	s_or_b32 s52, s52, exec_lo
	s_trap 2
	s_cbranch_execz .LBB44_2867
	s_branch .LBB44_2868
.LBB44_3116:
	s_and_not1_saveexec_b32 s6, s6
	s_cbranch_execz .LBB44_2832
.LBB44_3117:
	v_add_f32_e64 v1, 0x42800000, |v44|
	s_and_not1_b32 s5, s5, exec_lo
	s_delay_alu instid0(VALU_DEP_1) | instskip(NEXT) | instid1(VALU_DEP_1)
	v_and_b32_e32 v1, 0xff, v1
	v_cmp_ne_u32_e32 vcc_lo, 0, v1
	s_and_b32 s7, vcc_lo, exec_lo
	s_delay_alu instid0(SALU_CYCLE_1)
	s_or_b32 s5, s5, s7
	s_or_b32 exec_lo, exec_lo, s6
	v_mov_b32_e32 v3, 0
	s_and_saveexec_b32 s6, s5
	s_cbranch_execnz .LBB44_2833
	s_branch .LBB44_2834
.LBB44_3118:
	s_and_not1_saveexec_b32 s7, s7
	s_cbranch_execz .LBB44_2938
.LBB44_3119:
	v_add_f32_e64 v1, 0x46000000, |v46|
	s_and_not1_b32 s6, s6, exec_lo
	s_delay_alu instid0(VALU_DEP_1) | instskip(NEXT) | instid1(VALU_DEP_1)
	v_and_b32_e32 v1, 0xff, v1
	v_cmp_ne_u32_e32 vcc_lo, 0, v1
	s_and_b32 s8, vcc_lo, exec_lo
	s_delay_alu instid0(SALU_CYCLE_1)
	s_or_b32 s6, s6, s8
	s_or_b32 exec_lo, exec_lo, s7
	v_mov_b32_e32 v3, 0
	s_and_saveexec_b32 s7, s6
	s_cbranch_execnz .LBB44_2939
	s_branch .LBB44_2940
.LBB44_3120:
	s_or_b32 s52, s52, exec_lo
	s_trap 2
	s_cbranch_execz .LBB44_2986
	s_branch .LBB44_2987
.LBB44_3121:
	s_and_not1_saveexec_b32 s6, s6
	s_cbranch_execz .LBB44_2951
.LBB44_3122:
	v_add_f32_e64 v1, 0x42800000, |v46|
	s_and_not1_b32 s5, s5, exec_lo
	s_delay_alu instid0(VALU_DEP_1) | instskip(NEXT) | instid1(VALU_DEP_1)
	v_and_b32_e32 v1, 0xff, v1
	v_cmp_ne_u32_e32 vcc_lo, 0, v1
	s_and_b32 s7, vcc_lo, exec_lo
	s_delay_alu instid0(SALU_CYCLE_1)
	s_or_b32 s5, s5, s7
	s_or_b32 exec_lo, exec_lo, s6
	v_mov_b32_e32 v3, 0
	s_and_saveexec_b32 s6, s5
	s_cbranch_execnz .LBB44_2952
	s_branch .LBB44_2953
.LBB44_3123:
	s_and_not1_saveexec_b32 s6, s6
	s_cbranch_execz .LBB44_3058
.LBB44_3124:
	v_add_f32_e64 v1, 0x46000000, |v0|
	s_and_not1_b32 s5, s5, exec_lo
	s_delay_alu instid0(VALU_DEP_1) | instskip(NEXT) | instid1(VALU_DEP_1)
	v_and_b32_e32 v1, 0xff, v1
	v_cmp_ne_u32_e32 vcc_lo, 0, v1
	s_and_b32 s7, vcc_lo, exec_lo
	s_delay_alu instid0(SALU_CYCLE_1)
	s_or_b32 s5, s5, s7
	s_or_b32 exec_lo, exec_lo, s6
	v_mov_b32_e32 v4, 0
	s_and_saveexec_b32 s6, s5
	s_cbranch_execnz .LBB44_3059
	s_branch .LBB44_3060
.LBB44_3125:
	s_mov_b32 s3, 0
	s_or_b32 s52, s52, exec_lo
	s_trap 2
	s_branch .LBB44_3104
.LBB44_3126:
	s_and_not1_saveexec_b32 s5, s5
	s_cbranch_execz .LBB44_3070
.LBB44_3127:
	v_add_f32_e64 v1, 0x42800000, |v0|
	s_and_not1_b32 s4, s4, exec_lo
	s_delay_alu instid0(VALU_DEP_1) | instskip(NEXT) | instid1(VALU_DEP_1)
	v_and_b32_e32 v1, 0xff, v1
	v_cmp_ne_u32_e32 vcc_lo, 0, v1
	s_and_b32 s6, vcc_lo, exec_lo
	s_delay_alu instid0(SALU_CYCLE_1)
	s_or_b32 s4, s4, s6
	s_or_b32 exec_lo, exec_lo, s5
	v_mov_b32_e32 v4, 0
	s_and_saveexec_b32 s5, s4
	s_cbranch_execnz .LBB44_3071
	s_branch .LBB44_3072
	.section	.rodata,"a",@progbits
	.p2align	6, 0x0
	.amdhsa_kernel _ZN2at6native32elementwise_kernel_manual_unrollILi128ELi4EZNS0_15gpu_kernel_implIN12_GLOBAL__N_110CalcIgammaIfEEEEvRNS_18TensorIteratorBaseERKT_EUlibE_EEviT1_
		.amdhsa_group_segment_fixed_size 0
		.amdhsa_private_segment_fixed_size 144
		.amdhsa_kernarg_size 48
		.amdhsa_user_sgpr_count 2
		.amdhsa_user_sgpr_dispatch_ptr 0
		.amdhsa_user_sgpr_queue_ptr 0
		.amdhsa_user_sgpr_kernarg_segment_ptr 1
		.amdhsa_user_sgpr_dispatch_id 0
		.amdhsa_user_sgpr_kernarg_preload_length 0
		.amdhsa_user_sgpr_kernarg_preload_offset 0
		.amdhsa_user_sgpr_private_segment_size 0
		.amdhsa_wavefront_size32 1
		.amdhsa_uses_dynamic_stack 0
		.amdhsa_enable_private_segment 1
		.amdhsa_system_sgpr_workgroup_id_x 1
		.amdhsa_system_sgpr_workgroup_id_y 0
		.amdhsa_system_sgpr_workgroup_id_z 0
		.amdhsa_system_sgpr_workgroup_info 0
		.amdhsa_system_vgpr_workitem_id 0
		.amdhsa_next_free_vgpr 84
		.amdhsa_next_free_sgpr 68
		.amdhsa_named_barrier_count 0
		.amdhsa_reserve_vcc 1
		.amdhsa_float_round_mode_32 0
		.amdhsa_float_round_mode_16_64 0
		.amdhsa_float_denorm_mode_32 3
		.amdhsa_float_denorm_mode_16_64 3
		.amdhsa_fp16_overflow 0
		.amdhsa_memory_ordered 1
		.amdhsa_forward_progress 1
		.amdhsa_inst_pref_size 255
		.amdhsa_round_robin_scheduling 0
		.amdhsa_exception_fp_ieee_invalid_op 0
		.amdhsa_exception_fp_denorm_src 0
		.amdhsa_exception_fp_ieee_div_zero 0
		.amdhsa_exception_fp_ieee_overflow 0
		.amdhsa_exception_fp_ieee_underflow 0
		.amdhsa_exception_fp_ieee_inexact 0
		.amdhsa_exception_int_div_zero 0
	.end_amdhsa_kernel
	.section	.text._ZN2at6native32elementwise_kernel_manual_unrollILi128ELi4EZNS0_15gpu_kernel_implIN12_GLOBAL__N_110CalcIgammaIfEEEEvRNS_18TensorIteratorBaseERKT_EUlibE_EEviT1_,"axG",@progbits,_ZN2at6native32elementwise_kernel_manual_unrollILi128ELi4EZNS0_15gpu_kernel_implIN12_GLOBAL__N_110CalcIgammaIfEEEEvRNS_18TensorIteratorBaseERKT_EUlibE_EEviT1_,comdat
.Lfunc_end44:
	.size	_ZN2at6native32elementwise_kernel_manual_unrollILi128ELi4EZNS0_15gpu_kernel_implIN12_GLOBAL__N_110CalcIgammaIfEEEEvRNS_18TensorIteratorBaseERKT_EUlibE_EEviT1_, .Lfunc_end44-_ZN2at6native32elementwise_kernel_manual_unrollILi128ELi4EZNS0_15gpu_kernel_implIN12_GLOBAL__N_110CalcIgammaIfEEEEvRNS_18TensorIteratorBaseERKT_EUlibE_EEviT1_
                                        ; -- End function
	.set _ZN2at6native32elementwise_kernel_manual_unrollILi128ELi4EZNS0_15gpu_kernel_implIN12_GLOBAL__N_110CalcIgammaIfEEEEvRNS_18TensorIteratorBaseERKT_EUlibE_EEviT1_.num_vgpr, max(61, .L_ZN12_GLOBAL__N_111calc_igammaIfEET_S1_S1_.num_vgpr, .L_ZN12_GLOBAL__N_112calc_igammacIfEET_S1_S1_.num_vgpr)
	.set _ZN2at6native32elementwise_kernel_manual_unrollILi128ELi4EZNS0_15gpu_kernel_implIN12_GLOBAL__N_110CalcIgammaIfEEEEvRNS_18TensorIteratorBaseERKT_EUlibE_EEviT1_.num_agpr, max(0, .L_ZN12_GLOBAL__N_111calc_igammaIfEET_S1_S1_.num_agpr, .L_ZN12_GLOBAL__N_112calc_igammacIfEET_S1_S1_.num_agpr)
	.set _ZN2at6native32elementwise_kernel_manual_unrollILi128ELi4EZNS0_15gpu_kernel_implIN12_GLOBAL__N_110CalcIgammaIfEEEEvRNS_18TensorIteratorBaseERKT_EUlibE_EEviT1_.numbered_sgpr, max(68, .L_ZN12_GLOBAL__N_111calc_igammaIfEET_S1_S1_.numbered_sgpr, .L_ZN12_GLOBAL__N_112calc_igammacIfEET_S1_S1_.numbered_sgpr)
	.set _ZN2at6native32elementwise_kernel_manual_unrollILi128ELi4EZNS0_15gpu_kernel_implIN12_GLOBAL__N_110CalcIgammaIfEEEEvRNS_18TensorIteratorBaseERKT_EUlibE_EEviT1_.num_named_barrier, max(0, .L_ZN12_GLOBAL__N_111calc_igammaIfEET_S1_S1_.num_named_barrier, .L_ZN12_GLOBAL__N_112calc_igammacIfEET_S1_S1_.num_named_barrier)
	.set _ZN2at6native32elementwise_kernel_manual_unrollILi128ELi4EZNS0_15gpu_kernel_implIN12_GLOBAL__N_110CalcIgammaIfEEEEvRNS_18TensorIteratorBaseERKT_EUlibE_EEviT1_.private_seg_size, 0+max(.L_ZN12_GLOBAL__N_111calc_igammaIfEET_S1_S1_.private_seg_size, .L_ZN12_GLOBAL__N_112calc_igammacIfEET_S1_S1_.private_seg_size)
	.set _ZN2at6native32elementwise_kernel_manual_unrollILi128ELi4EZNS0_15gpu_kernel_implIN12_GLOBAL__N_110CalcIgammaIfEEEEvRNS_18TensorIteratorBaseERKT_EUlibE_EEviT1_.uses_vcc, or(1, .L_ZN12_GLOBAL__N_111calc_igammaIfEET_S1_S1_.uses_vcc, .L_ZN12_GLOBAL__N_112calc_igammacIfEET_S1_S1_.uses_vcc)
	.set _ZN2at6native32elementwise_kernel_manual_unrollILi128ELi4EZNS0_15gpu_kernel_implIN12_GLOBAL__N_110CalcIgammaIfEEEEvRNS_18TensorIteratorBaseERKT_EUlibE_EEviT1_.uses_flat_scratch, or(0, .L_ZN12_GLOBAL__N_111calc_igammaIfEET_S1_S1_.uses_flat_scratch, .L_ZN12_GLOBAL__N_112calc_igammacIfEET_S1_S1_.uses_flat_scratch)
	.set _ZN2at6native32elementwise_kernel_manual_unrollILi128ELi4EZNS0_15gpu_kernel_implIN12_GLOBAL__N_110CalcIgammaIfEEEEvRNS_18TensorIteratorBaseERKT_EUlibE_EEviT1_.has_dyn_sized_stack, or(0, .L_ZN12_GLOBAL__N_111calc_igammaIfEET_S1_S1_.has_dyn_sized_stack, .L_ZN12_GLOBAL__N_112calc_igammacIfEET_S1_S1_.has_dyn_sized_stack)
	.set _ZN2at6native32elementwise_kernel_manual_unrollILi128ELi4EZNS0_15gpu_kernel_implIN12_GLOBAL__N_110CalcIgammaIfEEEEvRNS_18TensorIteratorBaseERKT_EUlibE_EEviT1_.has_recursion, or(0, .L_ZN12_GLOBAL__N_111calc_igammaIfEET_S1_S1_.has_recursion, .L_ZN12_GLOBAL__N_112calc_igammacIfEET_S1_S1_.has_recursion)
	.set _ZN2at6native32elementwise_kernel_manual_unrollILi128ELi4EZNS0_15gpu_kernel_implIN12_GLOBAL__N_110CalcIgammaIfEEEEvRNS_18TensorIteratorBaseERKT_EUlibE_EEviT1_.has_indirect_call, or(0, .L_ZN12_GLOBAL__N_111calc_igammaIfEET_S1_S1_.has_indirect_call, .L_ZN12_GLOBAL__N_112calc_igammacIfEET_S1_S1_.has_indirect_call)
	.section	.AMDGPU.csdata,"",@progbits
; Kernel info:
; codeLenInByte = 56268
; TotalNumSgprs: 70
; NumVgprs: 84
; ScratchSize: 144
; MemoryBound: 1
; FloatMode: 240
; IeeeMode: 1
; LDSByteSize: 0 bytes/workgroup (compile time only)
; SGPRBlocks: 0
; VGPRBlocks: 5
; NumSGPRsForWavesPerEU: 70
; NumVGPRsForWavesPerEU: 84
; NamedBarCnt: 0
; Occupancy: 10
; WaveLimiterHint : 0
; COMPUTE_PGM_RSRC2:SCRATCH_EN: 1
; COMPUTE_PGM_RSRC2:USER_SGPR: 2
; COMPUTE_PGM_RSRC2:TRAP_HANDLER: 0
; COMPUTE_PGM_RSRC2:TGID_X_EN: 1
; COMPUTE_PGM_RSRC2:TGID_Y_EN: 0
; COMPUTE_PGM_RSRC2:TGID_Z_EN: 0
; COMPUTE_PGM_RSRC2:TIDIG_COMP_CNT: 0
	.section	.text._ZN2at6native32elementwise_kernel_manual_unrollILi128ELi4EZNS0_12_GLOBAL__N_142type_specialized_broadcast_kernel_launcherILi0EE5applyIN12_GLOBAL__N_110CalcIgammaIfEESt5arrayIPcLm3EES9_IN3c1010ScalarTypeELm3EE16OffsetCalculatorILi3EjLb0EEEEvlT_T0_T1_T2_EUlibE_EEviSJ_,"axG",@progbits,_ZN2at6native32elementwise_kernel_manual_unrollILi128ELi4EZNS0_12_GLOBAL__N_142type_specialized_broadcast_kernel_launcherILi0EE5applyIN12_GLOBAL__N_110CalcIgammaIfEESt5arrayIPcLm3EES9_IN3c1010ScalarTypeELm3EE16OffsetCalculatorILi3EjLb0EEEEvlT_T0_T1_T2_EUlibE_EEviSJ_,comdat
	.globl	_ZN2at6native32elementwise_kernel_manual_unrollILi128ELi4EZNS0_12_GLOBAL__N_142type_specialized_broadcast_kernel_launcherILi0EE5applyIN12_GLOBAL__N_110CalcIgammaIfEESt5arrayIPcLm3EES9_IN3c1010ScalarTypeELm3EE16OffsetCalculatorILi3EjLb0EEEEvlT_T0_T1_T2_EUlibE_EEviSJ_ ; -- Begin function _ZN2at6native32elementwise_kernel_manual_unrollILi128ELi4EZNS0_12_GLOBAL__N_142type_specialized_broadcast_kernel_launcherILi0EE5applyIN12_GLOBAL__N_110CalcIgammaIfEESt5arrayIPcLm3EES9_IN3c1010ScalarTypeELm3EE16OffsetCalculatorILi3EjLb0EEEEvlT_T0_T1_T2_EUlibE_EEviSJ_
	.p2align	8
	.type	_ZN2at6native32elementwise_kernel_manual_unrollILi128ELi4EZNS0_12_GLOBAL__N_142type_specialized_broadcast_kernel_launcherILi0EE5applyIN12_GLOBAL__N_110CalcIgammaIfEESt5arrayIPcLm3EES9_IN3c1010ScalarTypeELm3EE16OffsetCalculatorILi3EjLb0EEEEvlT_T0_T1_T2_EUlibE_EEviSJ_,@function
_ZN2at6native32elementwise_kernel_manual_unrollILi128ELi4EZNS0_12_GLOBAL__N_142type_specialized_broadcast_kernel_launcherILi0EE5applyIN12_GLOBAL__N_110CalcIgammaIfEESt5arrayIPcLm3EES9_IN3c1010ScalarTypeELm3EE16OffsetCalculatorILi3EjLb0EEEEvlT_T0_T1_T2_EUlibE_EEviSJ_: ; @_ZN2at6native32elementwise_kernel_manual_unrollILi128ELi4EZNS0_12_GLOBAL__N_142type_specialized_broadcast_kernel_launcherILi0EE5applyIN12_GLOBAL__N_110CalcIgammaIfEESt5arrayIPcLm3EES9_IN3c1010ScalarTypeELm3EE16OffsetCalculatorILi3EjLb0EEEEvlT_T0_T1_T2_EUlibE_EEviSJ_
; %bb.0:
	s_clause 0x1
	s_load_b32 s59, s[0:1], 0x8
	s_load_b32 s71, s[0:1], 0x0
	s_bfe_u32 s2, ttmp6, 0x4000c
	s_and_b32 s3, ttmp6, 15
	s_add_co_i32 s2, s2, 1
	s_getreg_b32 s4, hwreg(HW_REG_IB_STS2, 6, 4)
	s_mul_i32 s2, ttmp9, s2
	s_add_nc_u64 s[34:35], s[0:1], 8
	s_add_co_i32 s3, s3, s2
	s_cmp_eq_u32 s4, 0
	s_mov_b32 s61, 0
	s_cselect_b32 s2, ttmp9, s3
	s_mov_b32 s32, 0
	v_lshl_or_b32 v44, s2, 9, v0
	s_wait_xcnt 0x0
	s_mov_b32 s0, exec_lo
	s_delay_alu instid0(VALU_DEP_1) | instskip(SKIP_2) | instid1(SALU_CYCLE_1)
	v_or_b32_e32 v0, 0x180, v44
	s_wait_kmcnt 0x0
	s_add_co_i32 s66, s59, -1
	s_cmp_gt_u32 s66, 1
	s_cselect_b32 s67, -1, 0
	v_cmpx_le_i32_e64 s71, v0
	s_xor_b32 s68, exec_lo, s0
	s_cbranch_execz .LBB45_70
; %bb.1:
	s_clause 0x5
	s_load_b128 s[48:51], s[34:35], 0x4
	s_load_b64 s[46:47], s[34:35], 0x14
	s_load_b96 s[56:58], s[34:35], 0x198
	s_load_b128 s[52:55], s[34:35], 0xc4
	s_load_b64 s[62:63], s[34:35], 0xd4
	s_load_b128 s[36:39], s[34:35], 0x188
	s_cmp_lg_u32 s59, 0
	s_mov_b32 s65, s61
	s_cselect_b32 s72, -1, 0
	s_min_u32 s70, s66, 15
	s_cmp_gt_u32 s59, 1
	s_cselect_b32 s69, -1, 0
	s_wait_kmcnt 0x0
	s_mov_b32 s60, s49
	s_mov_b32 s64, s46
	s_bitcmp1_b32 s58, 0
	s_mov_b32 s49, exec_lo
	s_cselect_b32 s0, -1, 0
	s_delay_alu instid0(SALU_CYCLE_1)
	s_xor_b32 s46, s0, -1
	v_cmpx_gt_i32_e64 s71, v44
	s_cbranch_execnz .LBB45_5
; %bb.2:
	s_or_b32 exec_lo, exec_lo, s49
	s_delay_alu instid0(SALU_CYCLE_1)
	s_mov_b32 s49, exec_lo
	v_cmpx_gt_i32_e64 s71, v44
	s_cbranch_execnz .LBB45_21
.LBB45_3:
	s_or_b32 exec_lo, exec_lo, s49
	s_delay_alu instid0(SALU_CYCLE_1)
	s_mov_b32 s49, exec_lo
	v_cmpx_gt_i32_e64 s71, v44
	s_cbranch_execnz .LBB45_37
.LBB45_4:
	s_or_b32 exec_lo, exec_lo, s49
	s_delay_alu instid0(SALU_CYCLE_1)
	s_mov_b32 s49, exec_lo
	v_cmpx_gt_i32_e64 s71, v44
	s_cbranch_execnz .LBB45_53
	s_branch .LBB45_69
.LBB45_5:
	s_and_not1_b32 vcc_lo, exec_lo, s67
	s_cbranch_vccnz .LBB45_11
; %bb.6:
	s_and_not1_b32 vcc_lo, exec_lo, s72
	s_cbranch_vccnz .LBB45_12
; %bb.7:
	v_dual_mov_b32 v43, 0 :: v_dual_mov_b32 v0, v44
	v_dual_mov_b32 v3, 0 :: v_dual_mov_b32 v2, 0
	s_add_co_i32 s2, s70, 1
	s_mov_b64 s[0:1], 0xffffffffffffffe8
	s_and_b32 s2, s2, 30
	s_add_nc_u64 s[0:1], s[34:35], s[0:1]
.LBB45_8:                               ; =>This Inner Loop Header: Depth=1
	s_clause 0x1
	s_load_b128 s[4:7], s[0:1], 0x1c
	s_load_b64 s[12:13], s[0:1], 0x2c
	s_add_co_i32 s2, s2, -2
	s_delay_alu instid0(SALU_CYCLE_1) | instskip(SKIP_2) | instid1(VALU_DEP_1)
	s_cmp_lg_u32 s2, 0
	s_wait_kmcnt 0x0
	v_mul_hi_u32 v1, s5, v0
	v_add_nc_u32_e32 v1, v0, v1
	s_delay_alu instid0(VALU_DEP_1) | instskip(NEXT) | instid1(VALU_DEP_1)
	v_lshrrev_b32_e32 v1, s6, v1
	v_mul_hi_u32 v4, s12, v1
	v_mul_lo_u32 v5, v1, s4
	s_clause 0x1
	s_load_b128 s[8:11], s[0:1], 0xdc
	s_load_b64 s[4:5], s[0:1], 0xec
	s_wait_xcnt 0x0
	s_add_nc_u64 s[0:1], s[0:1], 24
	s_delay_alu instid0(VALU_DEP_1) | instskip(NEXT) | instid1(VALU_DEP_1)
	v_dual_add_nc_u32 v4, v1, v4 :: v_dual_sub_nc_u32 v5, v0, v5
	v_lshrrev_b32_e32 v0, s13, v4
	s_wait_kmcnt 0x0
	s_delay_alu instid0(VALU_DEP_2) | instskip(NEXT) | instid1(VALU_DEP_2)
	v_mad_u32 v6, v5, s8, v43
	v_mul_lo_u32 v4, v0, s7
	v_mad_u32 v2, v5, s10, v2
	v_mad_u32 v3, v5, s9, v3
	s_delay_alu instid0(VALU_DEP_3) | instskip(NEXT) | instid1(VALU_DEP_1)
	v_sub_nc_u32_e32 v1, v1, v4
	v_mad_u32 v43, v1, s11, v6
	s_delay_alu instid0(VALU_DEP_4) | instskip(NEXT) | instid1(VALU_DEP_4)
	v_mad_u32 v2, v1, s5, v2
	v_mad_u32 v3, v1, s4, v3
	s_cbranch_scc1 .LBB45_8
; %bb.9:
	s_bitcmp1_b32 s70, 0
	s_cselect_b32 s2, -1, 0
	s_delay_alu instid0(SALU_CYCLE_1)
	s_and_b32 vcc_lo, exec_lo, s2
	s_cbranch_vccnz .LBB45_13
; %bb.10:
	s_clause 0x1
	s_load_b96 s[4:6], s[0:1], 0x1c
	s_load_b96 s[8:10], s[0:1], 0xdc
	s_wait_xcnt 0x0
	s_wait_kmcnt 0x0
	v_mul_hi_u32 v1, s5, v0
	s_delay_alu instid0(VALU_DEP_1) | instskip(NEXT) | instid1(VALU_DEP_1)
	v_add_nc_u32_e32 v1, v0, v1
	v_lshrrev_b32_e32 v1, s6, v1
	s_delay_alu instid0(VALU_DEP_1) | instskip(NEXT) | instid1(VALU_DEP_1)
	v_mul_lo_u32 v1, v1, s4
	v_sub_nc_u32_e32 v0, v0, v1
	s_delay_alu instid0(VALU_DEP_1)
	v_mad_u32 v43, v0, s8, v43
	v_mad_u32 v3, v0, s9, v3
	;; [unrolled: 1-line block ×3, first 2 shown]
	s_cbranch_execz .LBB45_14
	s_branch .LBB45_16
.LBB45_11:
                                        ; implicit-def: $vgpr2
                                        ; implicit-def: $vgpr3
                                        ; implicit-def: $vgpr43
	s_branch .LBB45_14
.LBB45_12:
	v_dual_mov_b32 v2, 0 :: v_dual_mov_b32 v3, 0
	v_mov_b32_e32 v43, 0
.LBB45_13:
	s_cbranch_execnz .LBB45_16
.LBB45_14:
	v_mov_b32_e32 v45, 0
	s_and_not1_b32 vcc_lo, exec_lo, s69
	s_delay_alu instid0(VALU_DEP_1) | instskip(NEXT) | instid1(VALU_DEP_1)
	v_mul_u64_e32 v[0:1], s[60:61], v[44:45]
	v_add_nc_u32_e32 v0, v44, v1
	s_delay_alu instid0(VALU_DEP_1) | instskip(NEXT) | instid1(VALU_DEP_1)
	v_lshrrev_b32_e32 v0, s50, v0
	v_mul_lo_u32 v1, v0, s48
	s_delay_alu instid0(VALU_DEP_1) | instskip(NEXT) | instid1(VALU_DEP_1)
	v_sub_nc_u32_e32 v1, v44, v1
	v_mul_lo_u32 v43, v1, s52
	v_mul_lo_u32 v2, v1, s54
	;; [unrolled: 1-line block ×3, first 2 shown]
	s_cbranch_vccnz .LBB45_16
; %bb.15:
	v_mov_b32_e32 v1, v45
	s_delay_alu instid0(VALU_DEP_1) | instskip(NEXT) | instid1(VALU_DEP_1)
	v_mul_u64_e32 v[4:5], s[64:65], v[0:1]
	v_add_nc_u32_e32 v1, v0, v5
	s_delay_alu instid0(VALU_DEP_1) | instskip(NEXT) | instid1(VALU_DEP_1)
	v_lshrrev_b32_e32 v1, s47, v1
	v_mul_lo_u32 v1, v1, s51
	s_delay_alu instid0(VALU_DEP_1) | instskip(NEXT) | instid1(VALU_DEP_1)
	v_sub_nc_u32_e32 v0, v0, v1
	v_mad_u32 v43, v0, s55, v43
	v_mad_u32 v3, v0, s62, v3
	;; [unrolled: 1-line block ×3, first 2 shown]
.LBB45_16:
	global_load_u16 v0, v2, s[56:57]
	global_load_b32 v40, v3, s[38:39]
	s_and_b32 vcc_lo, exec_lo, s46
	s_wait_loadcnt 0x1
	v_lshlrev_b32_e32 v42, 16, v0
	s_cbranch_vccz .LBB45_18
; %bb.17:
	s_wait_loadcnt 0x0
	s_delay_alu instid0(VALU_DEP_1) | instskip(SKIP_2) | instid1(SALU_CYCLE_1)
	v_dual_mov_b32 v0, v40 :: v_dual_mov_b32 v1, v42
	s_get_pc_i64 s[0:1]
	s_add_nc_u64 s[0:1], s[0:1], _ZN12_GLOBAL__N_111calc_igammaIfEET_S1_S1_@rel64+4
	s_swap_pc_i64 s[30:31], s[0:1]
	s_cbranch_execz .LBB45_19
	s_branch .LBB45_20
.LBB45_18:
                                        ; implicit-def: $vgpr0
.LBB45_19:
	s_wait_loadcnt 0x0
	s_delay_alu instid0(VALU_DEP_1) | instskip(SKIP_2) | instid1(SALU_CYCLE_1)
	v_dual_mov_b32 v0, v40 :: v_dual_mov_b32 v1, v42
	s_get_pc_i64 s[0:1]
	s_add_nc_u64 s[0:1], s[0:1], _ZN12_GLOBAL__N_112calc_igammacIfEET_S1_S1_@rel64+4
	s_swap_pc_i64 s[30:31], s[0:1]
.LBB45_20:
	v_add_nc_u32_e32 v44, 0x80, v44
	global_store_b32 v43, v0, s[36:37]
	s_wait_xcnt 0x0
	s_or_b32 exec_lo, exec_lo, s49
	s_delay_alu instid0(SALU_CYCLE_1)
	s_mov_b32 s49, exec_lo
	v_cmpx_gt_i32_e64 s71, v44
	s_cbranch_execz .LBB45_3
.LBB45_21:
	s_and_not1_b32 vcc_lo, exec_lo, s67
	s_cbranch_vccnz .LBB45_27
; %bb.22:
	s_and_not1_b32 vcc_lo, exec_lo, s72
	s_cbranch_vccnz .LBB45_28
; %bb.23:
	v_dual_mov_b32 v43, 0 :: v_dual_mov_b32 v0, v44
	v_dual_mov_b32 v3, 0 :: v_dual_mov_b32 v2, 0
	s_add_co_i32 s2, s70, 1
	s_mov_b64 s[0:1], 0xffffffffffffffe8
	s_and_b32 s2, s2, 30
	s_add_nc_u64 s[0:1], s[34:35], s[0:1]
.LBB45_24:                              ; =>This Inner Loop Header: Depth=1
	s_clause 0x1
	s_load_b128 s[4:7], s[0:1], 0x1c
	s_load_b64 s[12:13], s[0:1], 0x2c
	s_add_co_i32 s2, s2, -2
	s_delay_alu instid0(SALU_CYCLE_1) | instskip(SKIP_2) | instid1(VALU_DEP_1)
	s_cmp_eq_u32 s2, 0
	s_wait_kmcnt 0x0
	v_mul_hi_u32 v1, s5, v0
	v_add_nc_u32_e32 v1, v0, v1
	s_delay_alu instid0(VALU_DEP_1) | instskip(NEXT) | instid1(VALU_DEP_1)
	v_lshrrev_b32_e32 v1, s6, v1
	v_mul_hi_u32 v4, s12, v1
	v_mul_lo_u32 v5, v1, s4
	s_clause 0x1
	s_load_b128 s[8:11], s[0:1], 0xdc
	s_load_b64 s[4:5], s[0:1], 0xec
	s_wait_xcnt 0x0
	s_add_nc_u64 s[0:1], s[0:1], 24
	s_delay_alu instid0(VALU_DEP_1) | instskip(NEXT) | instid1(VALU_DEP_1)
	v_dual_add_nc_u32 v4, v1, v4 :: v_dual_sub_nc_u32 v5, v0, v5
	v_lshrrev_b32_e32 v0, s13, v4
	s_wait_kmcnt 0x0
	s_delay_alu instid0(VALU_DEP_2) | instskip(NEXT) | instid1(VALU_DEP_2)
	v_mad_u32 v6, v5, s8, v43
	v_mul_lo_u32 v4, v0, s7
	v_mad_u32 v2, v5, s10, v2
	v_mad_u32 v3, v5, s9, v3
	s_delay_alu instid0(VALU_DEP_3) | instskip(NEXT) | instid1(VALU_DEP_1)
	v_sub_nc_u32_e32 v1, v1, v4
	v_mad_u32 v43, v1, s11, v6
	s_delay_alu instid0(VALU_DEP_4) | instskip(NEXT) | instid1(VALU_DEP_4)
	v_mad_u32 v2, v1, s5, v2
	v_mad_u32 v3, v1, s4, v3
	s_cbranch_scc0 .LBB45_24
; %bb.25:
	s_bitcmp1_b32 s70, 0
	s_cselect_b32 s2, -1, 0
	s_delay_alu instid0(SALU_CYCLE_1)
	s_and_b32 vcc_lo, exec_lo, s2
	s_cbranch_vccnz .LBB45_29
; %bb.26:
	s_clause 0x1
	s_load_b96 s[4:6], s[0:1], 0x1c
	s_load_b96 s[8:10], s[0:1], 0xdc
	s_wait_kmcnt 0x0
	v_mul_hi_u32 v1, s5, v0
	s_delay_alu instid0(VALU_DEP_1) | instskip(NEXT) | instid1(VALU_DEP_1)
	v_add_nc_u32_e32 v1, v0, v1
	v_lshrrev_b32_e32 v1, s6, v1
	s_delay_alu instid0(VALU_DEP_1) | instskip(NEXT) | instid1(VALU_DEP_1)
	v_mul_lo_u32 v1, v1, s4
	v_sub_nc_u32_e32 v0, v0, v1
	s_delay_alu instid0(VALU_DEP_1)
	v_mad_u32 v43, v0, s8, v43
	v_mad_u32 v3, v0, s9, v3
	;; [unrolled: 1-line block ×3, first 2 shown]
	s_branch .LBB45_29
.LBB45_27:
                                        ; implicit-def: $vgpr2
                                        ; implicit-def: $vgpr3
                                        ; implicit-def: $vgpr43
	s_branch .LBB45_30
.LBB45_28:
	v_dual_mov_b32 v2, 0 :: v_dual_mov_b32 v3, 0
	v_mov_b32_e32 v43, 0
.LBB45_29:
	s_cbranch_execnz .LBB45_32
.LBB45_30:
	v_mov_b32_e32 v45, 0
	s_and_not1_b32 vcc_lo, exec_lo, s69
	s_delay_alu instid0(VALU_DEP_1) | instskip(NEXT) | instid1(VALU_DEP_1)
	v_mul_u64_e32 v[0:1], s[60:61], v[44:45]
	v_add_nc_u32_e32 v0, v44, v1
	s_delay_alu instid0(VALU_DEP_1) | instskip(NEXT) | instid1(VALU_DEP_1)
	v_lshrrev_b32_e32 v0, s50, v0
	v_mul_lo_u32 v1, v0, s48
	s_delay_alu instid0(VALU_DEP_1) | instskip(NEXT) | instid1(VALU_DEP_1)
	v_sub_nc_u32_e32 v1, v44, v1
	v_mul_lo_u32 v43, v1, s52
	v_mul_lo_u32 v2, v1, s54
	;; [unrolled: 1-line block ×3, first 2 shown]
	s_cbranch_vccnz .LBB45_32
; %bb.31:
	v_mov_b32_e32 v1, v45
	s_delay_alu instid0(VALU_DEP_1) | instskip(NEXT) | instid1(VALU_DEP_1)
	v_mul_u64_e32 v[4:5], s[64:65], v[0:1]
	v_add_nc_u32_e32 v1, v0, v5
	s_delay_alu instid0(VALU_DEP_1) | instskip(NEXT) | instid1(VALU_DEP_1)
	v_lshrrev_b32_e32 v1, s47, v1
	v_mul_lo_u32 v1, v1, s51
	s_delay_alu instid0(VALU_DEP_1) | instskip(NEXT) | instid1(VALU_DEP_1)
	v_sub_nc_u32_e32 v0, v0, v1
	v_mad_u32 v43, v0, s55, v43
	v_mad_u32 v3, v0, s62, v3
	;; [unrolled: 1-line block ×3, first 2 shown]
.LBB45_32:
	global_load_u16 v0, v2, s[56:57]
	s_wait_loadcnt 0x1
	global_load_b32 v40, v3, s[38:39]
	s_and_not1_b32 vcc_lo, exec_lo, s46
	s_wait_loadcnt 0x1
	v_lshlrev_b32_e32 v42, 16, v0
	s_cbranch_vccnz .LBB45_34
; %bb.33:
	s_wait_loadcnt 0x0
	s_delay_alu instid0(VALU_DEP_1) | instskip(SKIP_2) | instid1(SALU_CYCLE_1)
	v_dual_mov_b32 v0, v40 :: v_dual_mov_b32 v1, v42
	s_get_pc_i64 s[0:1]
	s_add_nc_u64 s[0:1], s[0:1], _ZN12_GLOBAL__N_111calc_igammaIfEET_S1_S1_@rel64+4
	s_swap_pc_i64 s[30:31], s[0:1]
	s_cbranch_execz .LBB45_35
	s_branch .LBB45_36
.LBB45_34:
                                        ; implicit-def: $vgpr0
.LBB45_35:
	s_wait_loadcnt 0x0
	s_delay_alu instid0(VALU_DEP_1) | instskip(SKIP_2) | instid1(SALU_CYCLE_1)
	v_dual_mov_b32 v0, v40 :: v_dual_mov_b32 v1, v42
	s_get_pc_i64 s[0:1]
	s_add_nc_u64 s[0:1], s[0:1], _ZN12_GLOBAL__N_112calc_igammacIfEET_S1_S1_@rel64+4
	s_swap_pc_i64 s[30:31], s[0:1]
.LBB45_36:
	v_add_nc_u32_e32 v44, 0x80, v44
	global_store_b32 v43, v0, s[36:37]
	s_wait_xcnt 0x0
	s_or_b32 exec_lo, exec_lo, s49
	s_delay_alu instid0(SALU_CYCLE_1)
	s_mov_b32 s49, exec_lo
	v_cmpx_gt_i32_e64 s71, v44
	s_cbranch_execz .LBB45_4
.LBB45_37:
	s_and_not1_b32 vcc_lo, exec_lo, s67
	s_cbranch_vccnz .LBB45_43
; %bb.38:
	s_and_not1_b32 vcc_lo, exec_lo, s72
	s_cbranch_vccnz .LBB45_44
; %bb.39:
	v_dual_mov_b32 v43, 0 :: v_dual_mov_b32 v0, v44
	v_dual_mov_b32 v3, 0 :: v_dual_mov_b32 v2, 0
	s_add_co_i32 s2, s70, 1
	s_mov_b64 s[0:1], 0xffffffffffffffe8
	s_and_b32 s2, s2, 30
	s_add_nc_u64 s[0:1], s[34:35], s[0:1]
.LBB45_40:                              ; =>This Inner Loop Header: Depth=1
	s_clause 0x1
	s_load_b128 s[4:7], s[0:1], 0x1c
	s_load_b64 s[12:13], s[0:1], 0x2c
	s_add_co_i32 s2, s2, -2
	s_delay_alu instid0(SALU_CYCLE_1) | instskip(SKIP_2) | instid1(VALU_DEP_1)
	s_cmp_eq_u32 s2, 0
	s_wait_kmcnt 0x0
	v_mul_hi_u32 v1, s5, v0
	v_add_nc_u32_e32 v1, v0, v1
	s_delay_alu instid0(VALU_DEP_1) | instskip(NEXT) | instid1(VALU_DEP_1)
	v_lshrrev_b32_e32 v1, s6, v1
	v_mul_hi_u32 v4, s12, v1
	v_mul_lo_u32 v5, v1, s4
	s_clause 0x1
	s_load_b128 s[8:11], s[0:1], 0xdc
	s_load_b64 s[4:5], s[0:1], 0xec
	s_wait_xcnt 0x0
	s_add_nc_u64 s[0:1], s[0:1], 24
	s_delay_alu instid0(VALU_DEP_1) | instskip(NEXT) | instid1(VALU_DEP_1)
	v_dual_add_nc_u32 v4, v1, v4 :: v_dual_sub_nc_u32 v5, v0, v5
	v_lshrrev_b32_e32 v0, s13, v4
	s_wait_kmcnt 0x0
	s_delay_alu instid0(VALU_DEP_2) | instskip(NEXT) | instid1(VALU_DEP_2)
	v_mad_u32 v6, v5, s8, v43
	v_mul_lo_u32 v4, v0, s7
	v_mad_u32 v2, v5, s10, v2
	v_mad_u32 v3, v5, s9, v3
	s_delay_alu instid0(VALU_DEP_3) | instskip(NEXT) | instid1(VALU_DEP_1)
	v_sub_nc_u32_e32 v1, v1, v4
	v_mad_u32 v43, v1, s11, v6
	s_delay_alu instid0(VALU_DEP_4) | instskip(NEXT) | instid1(VALU_DEP_4)
	v_mad_u32 v2, v1, s5, v2
	v_mad_u32 v3, v1, s4, v3
	s_cbranch_scc0 .LBB45_40
; %bb.41:
	s_bitcmp1_b32 s70, 0
	s_cselect_b32 s2, -1, 0
	s_delay_alu instid0(SALU_CYCLE_1)
	s_and_b32 vcc_lo, exec_lo, s2
	s_cbranch_vccnz .LBB45_45
; %bb.42:
	s_clause 0x1
	s_load_b96 s[4:6], s[0:1], 0x1c
	s_load_b96 s[8:10], s[0:1], 0xdc
	s_wait_kmcnt 0x0
	v_mul_hi_u32 v1, s5, v0
	s_delay_alu instid0(VALU_DEP_1) | instskip(NEXT) | instid1(VALU_DEP_1)
	v_add_nc_u32_e32 v1, v0, v1
	v_lshrrev_b32_e32 v1, s6, v1
	s_delay_alu instid0(VALU_DEP_1) | instskip(NEXT) | instid1(VALU_DEP_1)
	v_mul_lo_u32 v1, v1, s4
	v_sub_nc_u32_e32 v0, v0, v1
	s_delay_alu instid0(VALU_DEP_1)
	v_mad_u32 v43, v0, s8, v43
	v_mad_u32 v3, v0, s9, v3
	;; [unrolled: 1-line block ×3, first 2 shown]
	s_branch .LBB45_45
.LBB45_43:
                                        ; implicit-def: $vgpr2
                                        ; implicit-def: $vgpr3
                                        ; implicit-def: $vgpr43
	s_branch .LBB45_46
.LBB45_44:
	v_dual_mov_b32 v2, 0 :: v_dual_mov_b32 v3, 0
	v_mov_b32_e32 v43, 0
.LBB45_45:
	s_cbranch_execnz .LBB45_48
.LBB45_46:
	v_mov_b32_e32 v45, 0
	s_and_not1_b32 vcc_lo, exec_lo, s69
	s_delay_alu instid0(VALU_DEP_1) | instskip(NEXT) | instid1(VALU_DEP_1)
	v_mul_u64_e32 v[0:1], s[60:61], v[44:45]
	v_add_nc_u32_e32 v0, v44, v1
	s_delay_alu instid0(VALU_DEP_1) | instskip(NEXT) | instid1(VALU_DEP_1)
	v_lshrrev_b32_e32 v0, s50, v0
	v_mul_lo_u32 v1, v0, s48
	s_delay_alu instid0(VALU_DEP_1) | instskip(NEXT) | instid1(VALU_DEP_1)
	v_sub_nc_u32_e32 v1, v44, v1
	v_mul_lo_u32 v43, v1, s52
	v_mul_lo_u32 v2, v1, s54
	;; [unrolled: 1-line block ×3, first 2 shown]
	s_cbranch_vccnz .LBB45_48
; %bb.47:
	v_mov_b32_e32 v1, v45
	s_delay_alu instid0(VALU_DEP_1) | instskip(NEXT) | instid1(VALU_DEP_1)
	v_mul_u64_e32 v[4:5], s[64:65], v[0:1]
	v_add_nc_u32_e32 v1, v0, v5
	s_delay_alu instid0(VALU_DEP_1) | instskip(NEXT) | instid1(VALU_DEP_1)
	v_lshrrev_b32_e32 v1, s47, v1
	v_mul_lo_u32 v1, v1, s51
	s_delay_alu instid0(VALU_DEP_1) | instskip(NEXT) | instid1(VALU_DEP_1)
	v_sub_nc_u32_e32 v0, v0, v1
	v_mad_u32 v43, v0, s55, v43
	v_mad_u32 v3, v0, s62, v3
	;; [unrolled: 1-line block ×3, first 2 shown]
.LBB45_48:
	global_load_u16 v0, v2, s[56:57]
	s_wait_loadcnt 0x1
	global_load_b32 v40, v3, s[38:39]
	s_and_not1_b32 vcc_lo, exec_lo, s46
	s_wait_loadcnt 0x1
	v_lshlrev_b32_e32 v42, 16, v0
	s_cbranch_vccnz .LBB45_50
; %bb.49:
	s_wait_loadcnt 0x0
	s_delay_alu instid0(VALU_DEP_1) | instskip(SKIP_2) | instid1(SALU_CYCLE_1)
	v_dual_mov_b32 v0, v40 :: v_dual_mov_b32 v1, v42
	s_get_pc_i64 s[0:1]
	s_add_nc_u64 s[0:1], s[0:1], _ZN12_GLOBAL__N_111calc_igammaIfEET_S1_S1_@rel64+4
	s_swap_pc_i64 s[30:31], s[0:1]
	s_cbranch_execz .LBB45_51
	s_branch .LBB45_52
.LBB45_50:
                                        ; implicit-def: $vgpr0
.LBB45_51:
	s_wait_loadcnt 0x0
	s_delay_alu instid0(VALU_DEP_1) | instskip(SKIP_2) | instid1(SALU_CYCLE_1)
	v_dual_mov_b32 v0, v40 :: v_dual_mov_b32 v1, v42
	s_get_pc_i64 s[0:1]
	s_add_nc_u64 s[0:1], s[0:1], _ZN12_GLOBAL__N_112calc_igammacIfEET_S1_S1_@rel64+4
	s_swap_pc_i64 s[30:31], s[0:1]
.LBB45_52:
	v_add_nc_u32_e32 v44, 0x80, v44
	global_store_b32 v43, v0, s[36:37]
	s_wait_xcnt 0x0
	s_or_b32 exec_lo, exec_lo, s49
	s_delay_alu instid0(SALU_CYCLE_1)
	s_mov_b32 s49, exec_lo
	v_cmpx_gt_i32_e64 s71, v44
	s_cbranch_execz .LBB45_69
.LBB45_53:
	s_and_not1_b32 vcc_lo, exec_lo, s67
	s_cbranch_vccnz .LBB45_59
; %bb.54:
	s_and_not1_b32 vcc_lo, exec_lo, s72
	s_cbranch_vccnz .LBB45_60
; %bb.55:
	v_dual_mov_b32 v43, 0 :: v_dual_mov_b32 v0, v44
	v_dual_mov_b32 v3, 0 :: v_dual_mov_b32 v2, 0
	s_add_co_i32 s2, s70, 1
	s_mov_b64 s[0:1], 0xffffffffffffffe8
	s_and_b32 s2, s2, 30
	s_add_nc_u64 s[0:1], s[34:35], s[0:1]
.LBB45_56:                              ; =>This Inner Loop Header: Depth=1
	s_clause 0x1
	s_load_b128 s[4:7], s[0:1], 0x1c
	s_load_b64 s[12:13], s[0:1], 0x2c
	s_add_co_i32 s2, s2, -2
	s_delay_alu instid0(SALU_CYCLE_1) | instskip(SKIP_2) | instid1(VALU_DEP_1)
	s_cmp_eq_u32 s2, 0
	s_wait_kmcnt 0x0
	v_mul_hi_u32 v1, s5, v0
	v_add_nc_u32_e32 v1, v0, v1
	s_delay_alu instid0(VALU_DEP_1) | instskip(NEXT) | instid1(VALU_DEP_1)
	v_lshrrev_b32_e32 v1, s6, v1
	v_mul_hi_u32 v4, s12, v1
	v_mul_lo_u32 v5, v1, s4
	s_clause 0x1
	s_load_b128 s[8:11], s[0:1], 0xdc
	s_load_b64 s[4:5], s[0:1], 0xec
	s_wait_xcnt 0x0
	s_add_nc_u64 s[0:1], s[0:1], 24
	s_delay_alu instid0(VALU_DEP_1) | instskip(NEXT) | instid1(VALU_DEP_1)
	v_dual_add_nc_u32 v4, v1, v4 :: v_dual_sub_nc_u32 v5, v0, v5
	v_lshrrev_b32_e32 v0, s13, v4
	s_wait_kmcnt 0x0
	s_delay_alu instid0(VALU_DEP_2) | instskip(NEXT) | instid1(VALU_DEP_2)
	v_mad_u32 v6, v5, s8, v43
	v_mul_lo_u32 v4, v0, s7
	v_mad_u32 v2, v5, s10, v2
	v_mad_u32 v3, v5, s9, v3
	s_delay_alu instid0(VALU_DEP_3) | instskip(NEXT) | instid1(VALU_DEP_1)
	v_sub_nc_u32_e32 v1, v1, v4
	v_mad_u32 v43, v1, s11, v6
	s_delay_alu instid0(VALU_DEP_4) | instskip(NEXT) | instid1(VALU_DEP_4)
	v_mad_u32 v2, v1, s5, v2
	v_mad_u32 v3, v1, s4, v3
	s_cbranch_scc0 .LBB45_56
; %bb.57:
	s_bitcmp1_b32 s70, 0
	s_cselect_b32 s2, -1, 0
	s_delay_alu instid0(SALU_CYCLE_1)
	s_and_b32 vcc_lo, exec_lo, s2
	s_cbranch_vccnz .LBB45_61
; %bb.58:
	s_clause 0x1
	s_load_b96 s[4:6], s[0:1], 0x1c
	s_load_b96 s[8:10], s[0:1], 0xdc
	s_wait_kmcnt 0x0
	v_mul_hi_u32 v1, s5, v0
	s_delay_alu instid0(VALU_DEP_1) | instskip(NEXT) | instid1(VALU_DEP_1)
	v_add_nc_u32_e32 v1, v0, v1
	v_lshrrev_b32_e32 v1, s6, v1
	s_delay_alu instid0(VALU_DEP_1) | instskip(NEXT) | instid1(VALU_DEP_1)
	v_mul_lo_u32 v1, v1, s4
	v_sub_nc_u32_e32 v0, v0, v1
	s_delay_alu instid0(VALU_DEP_1)
	v_mad_u32 v43, v0, s8, v43
	v_mad_u32 v3, v0, s9, v3
	;; [unrolled: 1-line block ×3, first 2 shown]
	s_branch .LBB45_61
.LBB45_59:
                                        ; implicit-def: $vgpr2
                                        ; implicit-def: $vgpr3
                                        ; implicit-def: $vgpr43
	s_branch .LBB45_62
.LBB45_60:
	v_dual_mov_b32 v2, 0 :: v_dual_mov_b32 v3, 0
	v_mov_b32_e32 v43, 0
.LBB45_61:
	s_cbranch_execnz .LBB45_64
.LBB45_62:
	v_mov_b32_e32 v45, 0
	s_and_not1_b32 vcc_lo, exec_lo, s69
	s_delay_alu instid0(VALU_DEP_1) | instskip(NEXT) | instid1(VALU_DEP_1)
	v_mul_u64_e32 v[0:1], s[60:61], v[44:45]
	v_add_nc_u32_e32 v0, v44, v1
	s_delay_alu instid0(VALU_DEP_1) | instskip(NEXT) | instid1(VALU_DEP_1)
	v_lshrrev_b32_e32 v0, s50, v0
	v_mul_lo_u32 v1, v0, s48
	s_delay_alu instid0(VALU_DEP_1) | instskip(NEXT) | instid1(VALU_DEP_1)
	v_sub_nc_u32_e32 v1, v44, v1
	v_mul_lo_u32 v43, v1, s52
	v_mul_lo_u32 v2, v1, s54
	;; [unrolled: 1-line block ×3, first 2 shown]
	s_cbranch_vccnz .LBB45_64
; %bb.63:
	v_mov_b32_e32 v1, v45
	s_delay_alu instid0(VALU_DEP_1) | instskip(NEXT) | instid1(VALU_DEP_1)
	v_mul_u64_e32 v[4:5], s[64:65], v[0:1]
	v_add_nc_u32_e32 v1, v0, v5
	s_delay_alu instid0(VALU_DEP_1) | instskip(NEXT) | instid1(VALU_DEP_1)
	v_lshrrev_b32_e32 v1, s47, v1
	v_mul_lo_u32 v1, v1, s51
	s_delay_alu instid0(VALU_DEP_1) | instskip(NEXT) | instid1(VALU_DEP_1)
	v_sub_nc_u32_e32 v0, v0, v1
	v_mad_u32 v43, v0, s55, v43
	v_mad_u32 v3, v0, s62, v3
	;; [unrolled: 1-line block ×3, first 2 shown]
.LBB45_64:
	global_load_u16 v0, v2, s[56:57]
	s_wait_loadcnt 0x1
	global_load_b32 v40, v3, s[38:39]
	s_and_not1_b32 vcc_lo, exec_lo, s46
	s_wait_loadcnt 0x1
	v_lshlrev_b32_e32 v42, 16, v0
	s_cbranch_vccnz .LBB45_66
; %bb.65:
	s_wait_loadcnt 0x0
	s_delay_alu instid0(VALU_DEP_1) | instskip(SKIP_2) | instid1(SALU_CYCLE_1)
	v_dual_mov_b32 v0, v40 :: v_dual_mov_b32 v1, v42
	s_get_pc_i64 s[0:1]
	s_add_nc_u64 s[0:1], s[0:1], _ZN12_GLOBAL__N_111calc_igammaIfEET_S1_S1_@rel64+4
	s_swap_pc_i64 s[30:31], s[0:1]
	s_cbranch_execz .LBB45_67
	s_branch .LBB45_68
.LBB45_66:
                                        ; implicit-def: $vgpr0
.LBB45_67:
	s_wait_loadcnt 0x0
	s_delay_alu instid0(VALU_DEP_1) | instskip(SKIP_2) | instid1(SALU_CYCLE_1)
	v_dual_mov_b32 v0, v40 :: v_dual_mov_b32 v1, v42
	s_get_pc_i64 s[0:1]
	s_add_nc_u64 s[0:1], s[0:1], _ZN12_GLOBAL__N_112calc_igammacIfEET_S1_S1_@rel64+4
	s_swap_pc_i64 s[30:31], s[0:1]
.LBB45_68:
	global_store_b32 v43, v0, s[36:37]
.LBB45_69:
	s_wait_xcnt 0x0
	s_or_b32 exec_lo, exec_lo, s49
                                        ; implicit-def: $vgpr0
                                        ; implicit-def: $vgpr44
.LBB45_70:
	s_and_not1_saveexec_b32 s0, s68
	s_cbranch_execz .LBB45_77
; %bb.71:
	v_cndmask_b32_e64 v3, 0, 1, s67
	s_and_not1_b32 vcc_lo, exec_lo, s67
	s_cbranch_vccnz .LBB45_78
; %bb.72:
	s_cmp_lg_u32 s59, 0
	s_mov_b32 s2, 0
	s_cbranch_scc0 .LBB45_82
; %bb.73:
	s_min_u32 s3, s66, 15
	v_dual_mov_b32 v46, 0 :: v_dual_mov_b32 v4, v44
	v_dual_mov_b32 v2, 0 :: v_dual_mov_b32 v1, 0
	s_add_co_i32 s4, s3, 1
	s_mov_b64 s[0:1], 0xffffffffffffffe8
	s_and_b32 s4, s4, 30
	s_add_nc_u64 s[0:1], s[34:35], s[0:1]
.LBB45_74:                              ; =>This Inner Loop Header: Depth=1
	s_clause 0x1
	s_load_b128 s[8:11], s[0:1], 0x1c
	s_load_b64 s[6:7], s[0:1], 0x2c
	s_add_co_i32 s4, s4, -2
	s_delay_alu instid0(SALU_CYCLE_1) | instskip(SKIP_2) | instid1(VALU_DEP_1)
	s_cmp_lg_u32 s4, 0
	s_wait_kmcnt 0x0
	v_mul_hi_u32 v5, s9, v4
	v_add_nc_u32_e32 v5, v4, v5
	s_delay_alu instid0(VALU_DEP_1) | instskip(NEXT) | instid1(VALU_DEP_1)
	v_lshrrev_b32_e32 v5, s10, v5
	v_mul_hi_u32 v6, s6, v5
	v_mul_lo_u32 v7, v5, s8
	s_clause 0x1
	s_load_b128 s[12:15], s[0:1], 0xdc
	s_load_b64 s[8:9], s[0:1], 0xec
	s_wait_xcnt 0x0
	s_add_nc_u64 s[0:1], s[0:1], 24
	s_delay_alu instid0(VALU_DEP_1) | instskip(NEXT) | instid1(VALU_DEP_1)
	v_dual_add_nc_u32 v6, v5, v6 :: v_dual_sub_nc_u32 v7, v4, v7
	v_lshrrev_b32_e32 v4, s7, v6
	s_wait_kmcnt 0x0
	s_delay_alu instid0(VALU_DEP_2) | instskip(NEXT) | instid1(VALU_DEP_2)
	v_mad_u32 v8, v7, s12, v46
	v_mul_lo_u32 v6, v4, s11
	v_mad_u32 v1, v7, s14, v1
	v_mad_u32 v2, v7, s13, v2
	s_delay_alu instid0(VALU_DEP_3) | instskip(NEXT) | instid1(VALU_DEP_1)
	v_sub_nc_u32_e32 v5, v5, v6
	v_mad_u32 v46, v5, s15, v8
	s_delay_alu instid0(VALU_DEP_4) | instskip(NEXT) | instid1(VALU_DEP_4)
	v_mad_u32 v1, v5, s9, v1
	v_mad_u32 v2, v5, s8, v2
	s_cbranch_scc1 .LBB45_74
; %bb.75:
	s_bitcmp1_b32 s3, 0
	s_cselect_b32 s3, -1, 0
	s_delay_alu instid0(SALU_CYCLE_1)
	s_and_b32 vcc_lo, exec_lo, s3
	s_cbranch_vccnz .LBB45_79
; %bb.76:
	s_clause 0x1
	s_load_b96 s[4:6], s[0:1], 0x1c
	s_load_b96 s[8:10], s[0:1], 0xdc
	s_wait_kmcnt 0x0
	v_mul_hi_u32 v5, s5, v4
	s_delay_alu instid0(VALU_DEP_1) | instskip(NEXT) | instid1(VALU_DEP_1)
	v_add_nc_u32_e32 v5, v4, v5
	v_lshrrev_b32_e32 v5, s6, v5
	s_delay_alu instid0(VALU_DEP_1) | instskip(NEXT) | instid1(VALU_DEP_1)
	v_mul_lo_u32 v5, v5, s4
	v_sub_nc_u32_e32 v4, v4, v5
	s_delay_alu instid0(VALU_DEP_1)
	v_mad_u32 v46, v4, s8, v46
	v_mad_u32 v2, v4, s9, v2
	;; [unrolled: 1-line block ×3, first 2 shown]
	s_and_not1_b32 vcc_lo, exec_lo, s2
	s_cbranch_vccz .LBB45_80
	s_branch .LBB45_83
.LBB45_77:
	s_endpgm
.LBB45_78:
	s_mov_b32 s2, -1
                                        ; implicit-def: $vgpr1
                                        ; implicit-def: $vgpr2
                                        ; implicit-def: $vgpr46
.LBB45_79:
	s_delay_alu instid0(SALU_CYCLE_1)
	s_and_not1_b32 vcc_lo, exec_lo, s2
	s_cbranch_vccnz .LBB45_83
.LBB45_80:
	s_clause 0x1
	s_load_b96 s[0:2], s[34:35], 0x4
	s_load_b96 s[4:6], s[34:35], 0xc4
	s_cmp_lt_u32 s59, 2
	s_wait_kmcnt 0x0
	v_mul_hi_u32 v1, s1, v44
	s_delay_alu instid0(VALU_DEP_1) | instskip(NEXT) | instid1(VALU_DEP_1)
	v_add_nc_u32_e32 v1, v44, v1
	v_lshrrev_b32_e32 v4, s2, v1
	s_delay_alu instid0(VALU_DEP_1) | instskip(NEXT) | instid1(VALU_DEP_1)
	v_mul_lo_u32 v1, v4, s0
	v_sub_nc_u32_e32 v2, v44, v1
	s_delay_alu instid0(VALU_DEP_1)
	v_mul_lo_u32 v46, v2, s4
	v_mul_lo_u32 v1, v2, s6
	;; [unrolled: 1-line block ×3, first 2 shown]
	s_cbranch_scc1 .LBB45_83
; %bb.81:
	s_clause 0x1
	s_load_b96 s[0:2], s[34:35], 0x10
	s_load_b96 s[4:6], s[34:35], 0xd0
	s_wait_kmcnt 0x0
	v_mul_hi_u32 v5, s1, v4
	s_delay_alu instid0(VALU_DEP_1) | instskip(NEXT) | instid1(VALU_DEP_1)
	v_add_nc_u32_e32 v5, v4, v5
	v_lshrrev_b32_e32 v5, s2, v5
	s_delay_alu instid0(VALU_DEP_1) | instskip(NEXT) | instid1(VALU_DEP_1)
	v_mul_lo_u32 v5, v5, s0
	v_sub_nc_u32_e32 v4, v4, v5
	s_delay_alu instid0(VALU_DEP_1)
	v_mad_u32 v46, v4, s4, v46
	v_mad_u32 v2, v4, s5, v2
	;; [unrolled: 1-line block ×3, first 2 shown]
	s_branch .LBB45_83
.LBB45_82:
	v_dual_mov_b32 v1, 0 :: v_dual_mov_b32 v2, 0
	v_mov_b32_e32 v46, 0
	s_and_not1_b32 vcc_lo, exec_lo, s2
	s_cbranch_vccz .LBB45_80
.LBB45_83:
	v_cmp_ne_u32_e32 vcc_lo, 1, v3
	v_add_nc_u32_e32 v4, 0x80, v44
	s_cbranch_vccnz .LBB45_89
; %bb.84:
	s_cmp_lg_u32 s59, 0
	s_mov_b32 s2, 0
	s_cbranch_scc0 .LBB45_93
; %bb.85:
	s_min_u32 s3, s66, 15
	v_dual_mov_b32 v47, 0 :: v_dual_mov_b32 v5, v4
	v_dual_mov_b32 v56, 0 :: v_dual_mov_b32 v45, 0
	s_add_co_i32 s4, s3, 1
	s_mov_b64 s[0:1], 0xffffffffffffffe8
	s_and_b32 s4, s4, 30
	s_add_nc_u64 s[0:1], s[34:35], s[0:1]
.LBB45_86:                              ; =>This Inner Loop Header: Depth=1
	s_clause 0x1
	s_load_b128 s[8:11], s[0:1], 0x1c
	s_load_b64 s[6:7], s[0:1], 0x2c
	s_add_co_i32 s4, s4, -2
	s_delay_alu instid0(SALU_CYCLE_1) | instskip(SKIP_2) | instid1(VALU_DEP_1)
	s_cmp_lg_u32 s4, 0
	s_wait_kmcnt 0x0
	v_mul_hi_u32 v6, s9, v5
	v_add_nc_u32_e32 v6, v5, v6
	s_delay_alu instid0(VALU_DEP_1) | instskip(NEXT) | instid1(VALU_DEP_1)
	v_lshrrev_b32_e32 v6, s10, v6
	v_mul_hi_u32 v7, s6, v6
	v_mul_lo_u32 v8, v6, s8
	s_clause 0x1
	s_load_b128 s[12:15], s[0:1], 0xdc
	s_load_b64 s[8:9], s[0:1], 0xec
	s_wait_xcnt 0x0
	s_add_nc_u64 s[0:1], s[0:1], 24
	s_delay_alu instid0(VALU_DEP_1) | instskip(NEXT) | instid1(VALU_DEP_1)
	v_dual_add_nc_u32 v7, v6, v7 :: v_dual_sub_nc_u32 v8, v5, v8
	v_lshrrev_b32_e32 v5, s7, v7
	s_wait_kmcnt 0x0
	s_delay_alu instid0(VALU_DEP_2) | instskip(NEXT) | instid1(VALU_DEP_2)
	v_mad_u32 v9, v8, s12, v47
	v_mul_lo_u32 v7, v5, s11
	v_mad_u32 v10, v8, s14, v45
	v_mad_u32 v8, v8, s13, v56
	s_delay_alu instid0(VALU_DEP_3) | instskip(NEXT) | instid1(VALU_DEP_1)
	v_sub_nc_u32_e32 v6, v6, v7
	v_mad_u32 v47, v6, s15, v9
	s_delay_alu instid0(VALU_DEP_4) | instskip(NEXT) | instid1(VALU_DEP_4)
	v_mad_u32 v45, v6, s9, v10
	v_mad_u32 v56, v6, s8, v8
	s_cbranch_scc1 .LBB45_86
; %bb.87:
	s_bitcmp1_b32 s3, 0
	s_cselect_b32 s3, -1, 0
	s_delay_alu instid0(SALU_CYCLE_1)
	s_and_b32 vcc_lo, exec_lo, s3
	s_cbranch_vccnz .LBB45_90
; %bb.88:
	s_clause 0x1
	s_load_b96 s[4:6], s[0:1], 0x1c
	s_load_b96 s[8:10], s[0:1], 0xdc
	s_wait_kmcnt 0x0
	v_mul_hi_u32 v6, s5, v5
	s_delay_alu instid0(VALU_DEP_1) | instskip(NEXT) | instid1(VALU_DEP_1)
	v_add_nc_u32_e32 v6, v5, v6
	v_lshrrev_b32_e32 v6, s6, v6
	s_delay_alu instid0(VALU_DEP_1) | instskip(NEXT) | instid1(VALU_DEP_1)
	v_mul_lo_u32 v6, v6, s4
	v_sub_nc_u32_e32 v5, v5, v6
	s_delay_alu instid0(VALU_DEP_1)
	v_mad_u32 v47, v5, s8, v47
	v_mad_u32 v56, v5, s9, v56
	;; [unrolled: 1-line block ×3, first 2 shown]
	s_and_not1_b32 vcc_lo, exec_lo, s2
	s_cbranch_vccz .LBB45_91
	s_branch .LBB45_94
.LBB45_89:
	s_mov_b32 s2, -1
                                        ; implicit-def: $vgpr45
                                        ; implicit-def: $vgpr56
                                        ; implicit-def: $vgpr47
.LBB45_90:
	s_delay_alu instid0(SALU_CYCLE_1)
	s_and_not1_b32 vcc_lo, exec_lo, s2
	s_cbranch_vccnz .LBB45_94
.LBB45_91:
	s_clause 0x1
	s_load_b96 s[0:2], s[34:35], 0x4
	s_load_b96 s[4:6], s[34:35], 0xc4
	s_cmp_lt_u32 s59, 2
	s_wait_kmcnt 0x0
	v_mul_hi_u32 v5, s1, v4
	s_delay_alu instid0(VALU_DEP_1) | instskip(NEXT) | instid1(VALU_DEP_1)
	v_add_nc_u32_e32 v5, v4, v5
	v_lshrrev_b32_e32 v5, s2, v5
	s_delay_alu instid0(VALU_DEP_1) | instskip(NEXT) | instid1(VALU_DEP_1)
	v_mul_lo_u32 v6, v5, s0
	v_sub_nc_u32_e32 v4, v4, v6
	s_delay_alu instid0(VALU_DEP_1)
	v_mul_lo_u32 v47, v4, s4
	v_mul_lo_u32 v45, v4, s6
	;; [unrolled: 1-line block ×3, first 2 shown]
	s_cbranch_scc1 .LBB45_94
; %bb.92:
	s_clause 0x1
	s_load_b96 s[0:2], s[34:35], 0x10
	s_load_b96 s[4:6], s[34:35], 0xd0
	s_wait_kmcnt 0x0
	v_mul_hi_u32 v4, s1, v5
	s_delay_alu instid0(VALU_DEP_1) | instskip(NEXT) | instid1(VALU_DEP_1)
	v_add_nc_u32_e32 v4, v5, v4
	v_lshrrev_b32_e32 v4, s2, v4
	s_delay_alu instid0(VALU_DEP_1) | instskip(NEXT) | instid1(VALU_DEP_1)
	v_mul_lo_u32 v4, v4, s0
	v_sub_nc_u32_e32 v4, v5, v4
	s_delay_alu instid0(VALU_DEP_1)
	v_mad_u32 v47, v4, s4, v47
	v_mad_u32 v56, v4, s5, v56
	;; [unrolled: 1-line block ×3, first 2 shown]
	s_branch .LBB45_94
.LBB45_93:
	v_dual_mov_b32 v45, 0 :: v_dual_mov_b32 v56, 0
	v_mov_b32_e32 v47, 0
	s_and_not1_b32 vcc_lo, exec_lo, s2
	s_cbranch_vccz .LBB45_91
.LBB45_94:
	v_cmp_ne_u32_e32 vcc_lo, 1, v3
	v_add_nc_u32_e32 v4, 0x100, v44
	s_cbranch_vccnz .LBB45_100
; %bb.95:
	s_cmp_lg_u32 s59, 0
	s_mov_b32 s2, 0
	s_cbranch_scc0 .LBB45_104
; %bb.96:
	s_min_u32 s3, s66, 15
	v_dual_mov_b32 v57, 0 :: v_dual_mov_b32 v5, v4
	v_dual_mov_b32 v59, 0 :: v_dual_mov_b32 v58, 0
	s_add_co_i32 s4, s3, 1
	s_mov_b64 s[0:1], 0xffffffffffffffe8
	s_and_b32 s4, s4, 30
	s_add_nc_u64 s[0:1], s[34:35], s[0:1]
.LBB45_97:                              ; =>This Inner Loop Header: Depth=1
	s_clause 0x1
	s_load_b128 s[8:11], s[0:1], 0x1c
	s_load_b64 s[6:7], s[0:1], 0x2c
	s_add_co_i32 s4, s4, -2
	s_delay_alu instid0(SALU_CYCLE_1) | instskip(SKIP_2) | instid1(VALU_DEP_1)
	s_cmp_lg_u32 s4, 0
	s_wait_kmcnt 0x0
	v_mul_hi_u32 v6, s9, v5
	v_add_nc_u32_e32 v6, v5, v6
	s_delay_alu instid0(VALU_DEP_1) | instskip(NEXT) | instid1(VALU_DEP_1)
	v_lshrrev_b32_e32 v6, s10, v6
	v_mul_hi_u32 v7, s6, v6
	v_mul_lo_u32 v8, v6, s8
	s_clause 0x1
	s_load_b128 s[12:15], s[0:1], 0xdc
	s_load_b64 s[8:9], s[0:1], 0xec
	s_wait_xcnt 0x0
	s_add_nc_u64 s[0:1], s[0:1], 24
	s_delay_alu instid0(VALU_DEP_1) | instskip(NEXT) | instid1(VALU_DEP_1)
	v_dual_add_nc_u32 v7, v6, v7 :: v_dual_sub_nc_u32 v8, v5, v8
	v_lshrrev_b32_e32 v5, s7, v7
	s_wait_kmcnt 0x0
	s_delay_alu instid0(VALU_DEP_2) | instskip(NEXT) | instid1(VALU_DEP_2)
	v_mad_u32 v9, v8, s12, v57
	v_mul_lo_u32 v7, v5, s11
	v_mad_u32 v10, v8, s14, v58
	v_mad_u32 v8, v8, s13, v59
	s_delay_alu instid0(VALU_DEP_3) | instskip(NEXT) | instid1(VALU_DEP_1)
	v_sub_nc_u32_e32 v6, v6, v7
	v_mad_u32 v57, v6, s15, v9
	s_delay_alu instid0(VALU_DEP_4) | instskip(NEXT) | instid1(VALU_DEP_4)
	v_mad_u32 v58, v6, s9, v10
	v_mad_u32 v59, v6, s8, v8
	s_cbranch_scc1 .LBB45_97
; %bb.98:
	s_bitcmp1_b32 s3, 0
	s_cselect_b32 s3, -1, 0
	s_delay_alu instid0(SALU_CYCLE_1)
	s_and_b32 vcc_lo, exec_lo, s3
	s_cbranch_vccnz .LBB45_101
; %bb.99:
	s_clause 0x1
	s_load_b96 s[4:6], s[0:1], 0x1c
	s_load_b96 s[8:10], s[0:1], 0xdc
	s_wait_kmcnt 0x0
	v_mul_hi_u32 v6, s5, v5
	s_delay_alu instid0(VALU_DEP_1) | instskip(NEXT) | instid1(VALU_DEP_1)
	v_add_nc_u32_e32 v6, v5, v6
	v_lshrrev_b32_e32 v6, s6, v6
	s_delay_alu instid0(VALU_DEP_1) | instskip(NEXT) | instid1(VALU_DEP_1)
	v_mul_lo_u32 v6, v6, s4
	v_sub_nc_u32_e32 v5, v5, v6
	s_delay_alu instid0(VALU_DEP_1)
	v_mad_u32 v57, v5, s8, v57
	v_mad_u32 v59, v5, s9, v59
	;; [unrolled: 1-line block ×3, first 2 shown]
	s_and_not1_b32 vcc_lo, exec_lo, s2
	s_cbranch_vccz .LBB45_102
	s_branch .LBB45_105
.LBB45_100:
	s_mov_b32 s2, -1
                                        ; implicit-def: $vgpr58
                                        ; implicit-def: $vgpr59
                                        ; implicit-def: $vgpr57
.LBB45_101:
	s_delay_alu instid0(SALU_CYCLE_1)
	s_and_not1_b32 vcc_lo, exec_lo, s2
	s_cbranch_vccnz .LBB45_105
.LBB45_102:
	s_clause 0x1
	s_load_b96 s[0:2], s[34:35], 0x4
	s_load_b96 s[4:6], s[34:35], 0xc4
	s_cmp_lt_u32 s59, 2
	s_wait_kmcnt 0x0
	v_mul_hi_u32 v5, s1, v4
	s_delay_alu instid0(VALU_DEP_1) | instskip(NEXT) | instid1(VALU_DEP_1)
	v_add_nc_u32_e32 v5, v4, v5
	v_lshrrev_b32_e32 v5, s2, v5
	s_delay_alu instid0(VALU_DEP_1) | instskip(NEXT) | instid1(VALU_DEP_1)
	v_mul_lo_u32 v6, v5, s0
	v_sub_nc_u32_e32 v4, v4, v6
	s_delay_alu instid0(VALU_DEP_1)
	v_mul_lo_u32 v57, v4, s4
	v_mul_lo_u32 v58, v4, s6
	;; [unrolled: 1-line block ×3, first 2 shown]
	s_cbranch_scc1 .LBB45_105
; %bb.103:
	s_clause 0x1
	s_load_b96 s[0:2], s[34:35], 0x10
	s_load_b96 s[4:6], s[34:35], 0xd0
	s_wait_kmcnt 0x0
	v_mul_hi_u32 v4, s1, v5
	s_delay_alu instid0(VALU_DEP_1) | instskip(NEXT) | instid1(VALU_DEP_1)
	v_add_nc_u32_e32 v4, v5, v4
	v_lshrrev_b32_e32 v4, s2, v4
	s_delay_alu instid0(VALU_DEP_1) | instskip(NEXT) | instid1(VALU_DEP_1)
	v_mul_lo_u32 v4, v4, s0
	v_sub_nc_u32_e32 v4, v5, v4
	s_delay_alu instid0(VALU_DEP_1)
	v_mad_u32 v57, v4, s4, v57
	v_mad_u32 v59, v4, s5, v59
	;; [unrolled: 1-line block ×3, first 2 shown]
	s_branch .LBB45_105
.LBB45_104:
	v_dual_mov_b32 v58, 0 :: v_dual_mov_b32 v59, 0
	v_mov_b32_e32 v57, 0
	s_and_not1_b32 vcc_lo, exec_lo, s2
	s_cbranch_vccz .LBB45_102
.LBB45_105:
	v_cmp_ne_u32_e32 vcc_lo, 1, v3
	s_cbranch_vccnz .LBB45_111
; %bb.106:
	s_cmp_lg_u32 s59, 0
	s_mov_b32 s2, 0
	s_cbranch_scc0 .LBB45_115
; %bb.107:
	s_min_u32 s3, s66, 15
	v_dual_mov_b32 v60, 0 :: v_dual_mov_b32 v3, v0
	v_dual_mov_b32 v62, 0 :: v_dual_mov_b32 v61, 0
	s_add_co_i32 s4, s3, 1
	s_mov_b64 s[0:1], 0xffffffffffffffe8
	s_and_b32 s4, s4, 30
	s_add_nc_u64 s[0:1], s[34:35], s[0:1]
.LBB45_108:                             ; =>This Inner Loop Header: Depth=1
	s_clause 0x1
	s_load_b128 s[8:11], s[0:1], 0x1c
	s_load_b64 s[6:7], s[0:1], 0x2c
	s_add_co_i32 s4, s4, -2
	s_delay_alu instid0(SALU_CYCLE_1) | instskip(SKIP_2) | instid1(VALU_DEP_1)
	s_cmp_lg_u32 s4, 0
	s_wait_kmcnt 0x0
	v_mul_hi_u32 v4, s9, v3
	v_add_nc_u32_e32 v4, v3, v4
	s_delay_alu instid0(VALU_DEP_1) | instskip(NEXT) | instid1(VALU_DEP_1)
	v_lshrrev_b32_e32 v4, s10, v4
	v_mul_hi_u32 v5, s6, v4
	v_mul_lo_u32 v6, v4, s8
	s_clause 0x1
	s_load_b128 s[12:15], s[0:1], 0xdc
	s_load_b64 s[8:9], s[0:1], 0xec
	s_wait_xcnt 0x0
	s_add_nc_u64 s[0:1], s[0:1], 24
	s_delay_alu instid0(VALU_DEP_1) | instskip(NEXT) | instid1(VALU_DEP_1)
	v_dual_add_nc_u32 v5, v4, v5 :: v_dual_sub_nc_u32 v6, v3, v6
	v_lshrrev_b32_e32 v3, s7, v5
	s_wait_kmcnt 0x0
	s_delay_alu instid0(VALU_DEP_2) | instskip(NEXT) | instid1(VALU_DEP_2)
	v_mad_u32 v7, v6, s12, v60
	v_mul_lo_u32 v5, v3, s11
	v_mad_u32 v8, v6, s14, v61
	v_mad_u32 v6, v6, s13, v62
	s_delay_alu instid0(VALU_DEP_3) | instskip(NEXT) | instid1(VALU_DEP_1)
	v_sub_nc_u32_e32 v4, v4, v5
	v_mad_u32 v60, v4, s15, v7
	s_delay_alu instid0(VALU_DEP_4) | instskip(NEXT) | instid1(VALU_DEP_4)
	v_mad_u32 v61, v4, s9, v8
	v_mad_u32 v62, v4, s8, v6
	s_cbranch_scc1 .LBB45_108
; %bb.109:
	s_bitcmp1_b32 s3, 0
	s_cselect_b32 s3, -1, 0
	s_delay_alu instid0(SALU_CYCLE_1)
	s_and_b32 vcc_lo, exec_lo, s3
	s_cbranch_vccnz .LBB45_112
; %bb.110:
	s_clause 0x1
	s_load_b96 s[4:6], s[0:1], 0x1c
	s_load_b96 s[8:10], s[0:1], 0xdc
	s_wait_kmcnt 0x0
	v_mul_hi_u32 v4, s5, v3
	s_delay_alu instid0(VALU_DEP_1) | instskip(NEXT) | instid1(VALU_DEP_1)
	v_add_nc_u32_e32 v4, v3, v4
	v_lshrrev_b32_e32 v4, s6, v4
	s_delay_alu instid0(VALU_DEP_1) | instskip(NEXT) | instid1(VALU_DEP_1)
	v_mul_lo_u32 v4, v4, s4
	v_sub_nc_u32_e32 v3, v3, v4
	s_delay_alu instid0(VALU_DEP_1)
	v_mad_u32 v60, v3, s8, v60
	v_mad_u32 v62, v3, s9, v62
	;; [unrolled: 1-line block ×3, first 2 shown]
	s_and_not1_b32 vcc_lo, exec_lo, s2
	s_cbranch_vccz .LBB45_113
	s_branch .LBB45_116
.LBB45_111:
	s_mov_b32 s2, -1
                                        ; implicit-def: $vgpr61
                                        ; implicit-def: $vgpr62
                                        ; implicit-def: $vgpr60
.LBB45_112:
	s_delay_alu instid0(SALU_CYCLE_1)
	s_and_not1_b32 vcc_lo, exec_lo, s2
	s_cbranch_vccnz .LBB45_116
.LBB45_113:
	s_clause 0x1
	s_load_b96 s[0:2], s[34:35], 0x4
	s_load_b96 s[4:6], s[34:35], 0xc4
	s_cmp_lt_u32 s59, 2
	s_wait_kmcnt 0x0
	v_mul_hi_u32 v3, s1, v0
	s_delay_alu instid0(VALU_DEP_1) | instskip(NEXT) | instid1(VALU_DEP_1)
	v_add_nc_u32_e32 v3, v0, v3
	v_lshrrev_b32_e32 v3, s2, v3
	s_delay_alu instid0(VALU_DEP_1) | instskip(NEXT) | instid1(VALU_DEP_1)
	v_mul_lo_u32 v4, v3, s0
	v_sub_nc_u32_e32 v0, v0, v4
	s_delay_alu instid0(VALU_DEP_1)
	v_mul_lo_u32 v60, v0, s4
	v_mul_lo_u32 v61, v0, s6
	;; [unrolled: 1-line block ×3, first 2 shown]
	s_cbranch_scc1 .LBB45_116
; %bb.114:
	s_clause 0x1
	s_load_b96 s[0:2], s[34:35], 0x10
	s_load_b96 s[4:6], s[34:35], 0xd0
	s_wait_kmcnt 0x0
	v_mul_hi_u32 v0, s1, v3
	s_delay_alu instid0(VALU_DEP_1) | instskip(NEXT) | instid1(VALU_DEP_1)
	v_add_nc_u32_e32 v0, v3, v0
	v_lshrrev_b32_e32 v0, s2, v0
	s_delay_alu instid0(VALU_DEP_1) | instskip(NEXT) | instid1(VALU_DEP_1)
	v_mul_lo_u32 v0, v0, s0
	v_sub_nc_u32_e32 v0, v3, v0
	s_delay_alu instid0(VALU_DEP_1)
	v_mad_u32 v60, v0, s4, v60
	v_mad_u32 v62, v0, s5, v62
	;; [unrolled: 1-line block ×3, first 2 shown]
	s_branch .LBB45_116
.LBB45_115:
	v_dual_mov_b32 v61, 0 :: v_dual_mov_b32 v62, 0
	v_mov_b32_e32 v60, 0
	s_and_not1_b32 vcc_lo, exec_lo, s2
	s_cbranch_vccz .LBB45_113
.LBB45_116:
	s_clause 0x1
	s_load_b96 s[48:50], s[34:35], 0x198
	s_load_b128 s[36:39], s[34:35], 0x188
	s_get_pc_i64 s[46:47]
	s_add_nc_u64 s[46:47], s[46:47], _ZN12_GLOBAL__N_111calc_igammaIfEET_S1_S1_@rel64+4
                                        ; implicit-def: $vgpr42
	s_wait_kmcnt 0x0
	global_load_u16 v0, v1, s[48:49]
	s_wait_loadcnt 0x1
	global_load_b32 v40, v2, s[38:39]
	s_bitcmp1_b32 s50, 0
	s_cselect_b32 s0, -1, 0
	s_delay_alu instid0(SALU_CYCLE_1)
	s_xor_b32 s50, s0, -1
	s_mov_b32 s0, -1
	s_and_b32 vcc_lo, exec_lo, s50
	s_wait_loadcnt 0x1
	v_lshlrev_b32_e32 v43, 16, v0
	s_cbranch_vccz .LBB45_118
; %bb.117:
	s_wait_loadcnt 0x0
	s_wait_xcnt 0x1
	s_delay_alu instid0(VALU_DEP_1) | instskip(SKIP_1) | instid1(VALU_DEP_1)
	v_dual_mov_b32 v0, v40 :: v_dual_mov_b32 v1, v43
	s_swap_pc_i64 s[30:31], s[46:47]
	v_mov_b32_e32 v42, v0
	s_mov_b32 s0, 0
.LBB45_118:
	s_delay_alu instid0(SALU_CYCLE_1)
	s_and_not1_b32 vcc_lo, exec_lo, s0
	s_get_pc_i64 s[34:35]
	s_add_nc_u64 s[34:35], s[34:35], _ZN12_GLOBAL__N_112calc_igammacIfEET_S1_S1_@rel64+4
	s_cbranch_vccnz .LBB45_120
; %bb.119:
	s_wait_loadcnt 0x0
	s_wait_xcnt 0x1
	v_dual_mov_b32 v0, v40 :: v_dual_mov_b32 v1, v43
	s_swap_pc_i64 s[30:31], s[34:35]
	s_delay_alu instid0(VALU_DEP_1)
	v_mov_b32_e32 v42, v0
.LBB45_120:
	global_load_u16 v0, v45, s[48:49]
	s_wait_loadcnt 0x1
	global_load_b32 v40, v56, s[38:39]
	s_and_b32 vcc_lo, exec_lo, s50
	s_wait_loadcnt 0x1
	v_lshlrev_b32_e32 v44, 16, v0
	s_cbranch_vccz .LBB45_122
; %bb.121:
	s_wait_loadcnt 0x0
	s_wait_xcnt 0x3
	s_delay_alu instid0(VALU_DEP_1) | instskip(SKIP_1) | instid1(VALU_DEP_1)
	v_dual_mov_b32 v0, v40 :: v_dual_mov_b32 v1, v44
	s_swap_pc_i64 s[30:31], s[46:47]
	v_mov_b32_e32 v43, v0
	s_cbranch_execz .LBB45_123
	s_branch .LBB45_124
.LBB45_122:
                                        ; implicit-def: $vgpr43
.LBB45_123:
	s_wait_loadcnt 0x0
	s_wait_xcnt 0x3
	s_delay_alu instid0(VALU_DEP_1) | instskip(SKIP_1) | instid1(VALU_DEP_1)
	v_dual_mov_b32 v0, v40 :: v_dual_mov_b32 v1, v44
	s_swap_pc_i64 s[30:31], s[34:35]
	v_mov_b32_e32 v43, v0
.LBB45_124:
	global_load_u16 v0, v58, s[48:49]
	s_wait_loadcnt 0x1
	global_load_b32 v40, v59, s[38:39]
	s_and_b32 vcc_lo, exec_lo, s50
	s_wait_loadcnt 0x1
	s_wait_xcnt 0x3
	v_lshlrev_b32_e32 v45, 16, v0
	s_cbranch_vccz .LBB45_126
; %bb.125:
	s_wait_loadcnt 0x0
	s_delay_alu instid0(VALU_DEP_1) | instskip(SKIP_1) | instid1(VALU_DEP_1)
	v_dual_mov_b32 v0, v40 :: v_dual_mov_b32 v1, v45
	s_swap_pc_i64 s[30:31], s[46:47]
	v_mov_b32_e32 v44, v0
	s_cbranch_execz .LBB45_127
	s_branch .LBB45_128
.LBB45_126:
                                        ; implicit-def: $vgpr44
.LBB45_127:
	s_wait_loadcnt 0x0
	s_delay_alu instid0(VALU_DEP_1) | instskip(SKIP_1) | instid1(VALU_DEP_1)
	v_dual_mov_b32 v0, v40 :: v_dual_mov_b32 v1, v45
	s_swap_pc_i64 s[30:31], s[34:35]
	v_mov_b32_e32 v44, v0
.LBB45_128:
	global_load_u16 v0, v61, s[48:49]
	s_wait_loadcnt 0x1
	global_load_b32 v40, v62, s[38:39]
	s_and_b32 vcc_lo, exec_lo, s50
	s_wait_loadcnt 0x1
	v_lshlrev_b32_e32 v45, 16, v0
	s_cbranch_vccz .LBB45_130
; %bb.129:
	s_wait_loadcnt 0x0
	s_delay_alu instid0(VALU_DEP_1)
	v_dual_mov_b32 v0, v40 :: v_dual_mov_b32 v1, v45
	s_swap_pc_i64 s[30:31], s[46:47]
	s_cbranch_execz .LBB45_131
	s_branch .LBB45_132
.LBB45_130:
                                        ; implicit-def: $vgpr0
.LBB45_131:
	s_wait_loadcnt 0x0
	s_delay_alu instid0(VALU_DEP_1)
	v_dual_mov_b32 v0, v40 :: v_dual_mov_b32 v1, v45
	s_swap_pc_i64 s[30:31], s[34:35]
.LBB45_132:
	s_clause 0x3
	global_store_b32 v46, v42, s[36:37]
	global_store_b32 v47, v43, s[36:37]
	;; [unrolled: 1-line block ×4, first 2 shown]
	s_endpgm
	.section	.rodata,"a",@progbits
	.p2align	6, 0x0
	.amdhsa_kernel _ZN2at6native32elementwise_kernel_manual_unrollILi128ELi4EZNS0_12_GLOBAL__N_142type_specialized_broadcast_kernel_launcherILi0EE5applyIN12_GLOBAL__N_110CalcIgammaIfEESt5arrayIPcLm3EES9_IN3c1010ScalarTypeELm3EE16OffsetCalculatorILi3EjLb0EEEEvlT_T0_T1_T2_EUlibE_EEviSJ_
		.amdhsa_group_segment_fixed_size 0
		.amdhsa_private_segment_fixed_size 144
		.amdhsa_kernarg_size 432
		.amdhsa_user_sgpr_count 2
		.amdhsa_user_sgpr_dispatch_ptr 0
		.amdhsa_user_sgpr_queue_ptr 0
		.amdhsa_user_sgpr_kernarg_segment_ptr 1
		.amdhsa_user_sgpr_dispatch_id 0
		.amdhsa_user_sgpr_kernarg_preload_length 0
		.amdhsa_user_sgpr_kernarg_preload_offset 0
		.amdhsa_user_sgpr_private_segment_size 0
		.amdhsa_wavefront_size32 1
		.amdhsa_uses_dynamic_stack 0
		.amdhsa_enable_private_segment 1
		.amdhsa_system_sgpr_workgroup_id_x 1
		.amdhsa_system_sgpr_workgroup_id_y 0
		.amdhsa_system_sgpr_workgroup_id_z 0
		.amdhsa_system_sgpr_workgroup_info 0
		.amdhsa_system_vgpr_workitem_id 0
		.amdhsa_next_free_vgpr 84
		.amdhsa_next_free_sgpr 73
		.amdhsa_named_barrier_count 0
		.amdhsa_reserve_vcc 1
		.amdhsa_float_round_mode_32 0
		.amdhsa_float_round_mode_16_64 0
		.amdhsa_float_denorm_mode_32 3
		.amdhsa_float_denorm_mode_16_64 3
		.amdhsa_fp16_overflow 0
		.amdhsa_memory_ordered 1
		.amdhsa_forward_progress 1
		.amdhsa_inst_pref_size 48
		.amdhsa_round_robin_scheduling 0
		.amdhsa_exception_fp_ieee_invalid_op 0
		.amdhsa_exception_fp_denorm_src 0
		.amdhsa_exception_fp_ieee_div_zero 0
		.amdhsa_exception_fp_ieee_overflow 0
		.amdhsa_exception_fp_ieee_underflow 0
		.amdhsa_exception_fp_ieee_inexact 0
		.amdhsa_exception_int_div_zero 0
	.end_amdhsa_kernel
	.section	.text._ZN2at6native32elementwise_kernel_manual_unrollILi128ELi4EZNS0_12_GLOBAL__N_142type_specialized_broadcast_kernel_launcherILi0EE5applyIN12_GLOBAL__N_110CalcIgammaIfEESt5arrayIPcLm3EES9_IN3c1010ScalarTypeELm3EE16OffsetCalculatorILi3EjLb0EEEEvlT_T0_T1_T2_EUlibE_EEviSJ_,"axG",@progbits,_ZN2at6native32elementwise_kernel_manual_unrollILi128ELi4EZNS0_12_GLOBAL__N_142type_specialized_broadcast_kernel_launcherILi0EE5applyIN12_GLOBAL__N_110CalcIgammaIfEESt5arrayIPcLm3EES9_IN3c1010ScalarTypeELm3EE16OffsetCalculatorILi3EjLb0EEEEvlT_T0_T1_T2_EUlibE_EEviSJ_,comdat
.Lfunc_end45:
	.size	_ZN2at6native32elementwise_kernel_manual_unrollILi128ELi4EZNS0_12_GLOBAL__N_142type_specialized_broadcast_kernel_launcherILi0EE5applyIN12_GLOBAL__N_110CalcIgammaIfEESt5arrayIPcLm3EES9_IN3c1010ScalarTypeELm3EE16OffsetCalculatorILi3EjLb0EEEEvlT_T0_T1_T2_EUlibE_EEviSJ_, .Lfunc_end45-_ZN2at6native32elementwise_kernel_manual_unrollILi128ELi4EZNS0_12_GLOBAL__N_142type_specialized_broadcast_kernel_launcherILi0EE5applyIN12_GLOBAL__N_110CalcIgammaIfEESt5arrayIPcLm3EES9_IN3c1010ScalarTypeELm3EE16OffsetCalculatorILi3EjLb0EEEEvlT_T0_T1_T2_EUlibE_EEviSJ_
                                        ; -- End function
	.set _ZN2at6native32elementwise_kernel_manual_unrollILi128ELi4EZNS0_12_GLOBAL__N_142type_specialized_broadcast_kernel_launcherILi0EE5applyIN12_GLOBAL__N_110CalcIgammaIfEESt5arrayIPcLm3EES9_IN3c1010ScalarTypeELm3EE16OffsetCalculatorILi3EjLb0EEEEvlT_T0_T1_T2_EUlibE_EEviSJ_.num_vgpr, max(63, .L_ZN12_GLOBAL__N_111calc_igammaIfEET_S1_S1_.num_vgpr, .L_ZN12_GLOBAL__N_112calc_igammacIfEET_S1_S1_.num_vgpr)
	.set _ZN2at6native32elementwise_kernel_manual_unrollILi128ELi4EZNS0_12_GLOBAL__N_142type_specialized_broadcast_kernel_launcherILi0EE5applyIN12_GLOBAL__N_110CalcIgammaIfEESt5arrayIPcLm3EES9_IN3c1010ScalarTypeELm3EE16OffsetCalculatorILi3EjLb0EEEEvlT_T0_T1_T2_EUlibE_EEviSJ_.num_agpr, max(0, .L_ZN12_GLOBAL__N_111calc_igammaIfEET_S1_S1_.num_agpr, .L_ZN12_GLOBAL__N_112calc_igammacIfEET_S1_S1_.num_agpr)
	.set _ZN2at6native32elementwise_kernel_manual_unrollILi128ELi4EZNS0_12_GLOBAL__N_142type_specialized_broadcast_kernel_launcherILi0EE5applyIN12_GLOBAL__N_110CalcIgammaIfEESt5arrayIPcLm3EES9_IN3c1010ScalarTypeELm3EE16OffsetCalculatorILi3EjLb0EEEEvlT_T0_T1_T2_EUlibE_EEviSJ_.numbered_sgpr, max(73, .L_ZN12_GLOBAL__N_111calc_igammaIfEET_S1_S1_.numbered_sgpr, .L_ZN12_GLOBAL__N_112calc_igammacIfEET_S1_S1_.numbered_sgpr)
	.set _ZN2at6native32elementwise_kernel_manual_unrollILi128ELi4EZNS0_12_GLOBAL__N_142type_specialized_broadcast_kernel_launcherILi0EE5applyIN12_GLOBAL__N_110CalcIgammaIfEESt5arrayIPcLm3EES9_IN3c1010ScalarTypeELm3EE16OffsetCalculatorILi3EjLb0EEEEvlT_T0_T1_T2_EUlibE_EEviSJ_.num_named_barrier, max(0, .L_ZN12_GLOBAL__N_111calc_igammaIfEET_S1_S1_.num_named_barrier, .L_ZN12_GLOBAL__N_112calc_igammacIfEET_S1_S1_.num_named_barrier)
	.set _ZN2at6native32elementwise_kernel_manual_unrollILi128ELi4EZNS0_12_GLOBAL__N_142type_specialized_broadcast_kernel_launcherILi0EE5applyIN12_GLOBAL__N_110CalcIgammaIfEESt5arrayIPcLm3EES9_IN3c1010ScalarTypeELm3EE16OffsetCalculatorILi3EjLb0EEEEvlT_T0_T1_T2_EUlibE_EEviSJ_.private_seg_size, 0+max(.L_ZN12_GLOBAL__N_111calc_igammaIfEET_S1_S1_.private_seg_size, .L_ZN12_GLOBAL__N_112calc_igammacIfEET_S1_S1_.private_seg_size)
	.set _ZN2at6native32elementwise_kernel_manual_unrollILi128ELi4EZNS0_12_GLOBAL__N_142type_specialized_broadcast_kernel_launcherILi0EE5applyIN12_GLOBAL__N_110CalcIgammaIfEESt5arrayIPcLm3EES9_IN3c1010ScalarTypeELm3EE16OffsetCalculatorILi3EjLb0EEEEvlT_T0_T1_T2_EUlibE_EEviSJ_.uses_vcc, or(1, .L_ZN12_GLOBAL__N_111calc_igammaIfEET_S1_S1_.uses_vcc, .L_ZN12_GLOBAL__N_112calc_igammacIfEET_S1_S1_.uses_vcc)
	.set _ZN2at6native32elementwise_kernel_manual_unrollILi128ELi4EZNS0_12_GLOBAL__N_142type_specialized_broadcast_kernel_launcherILi0EE5applyIN12_GLOBAL__N_110CalcIgammaIfEESt5arrayIPcLm3EES9_IN3c1010ScalarTypeELm3EE16OffsetCalculatorILi3EjLb0EEEEvlT_T0_T1_T2_EUlibE_EEviSJ_.uses_flat_scratch, or(0, .L_ZN12_GLOBAL__N_111calc_igammaIfEET_S1_S1_.uses_flat_scratch, .L_ZN12_GLOBAL__N_112calc_igammacIfEET_S1_S1_.uses_flat_scratch)
	.set _ZN2at6native32elementwise_kernel_manual_unrollILi128ELi4EZNS0_12_GLOBAL__N_142type_specialized_broadcast_kernel_launcherILi0EE5applyIN12_GLOBAL__N_110CalcIgammaIfEESt5arrayIPcLm3EES9_IN3c1010ScalarTypeELm3EE16OffsetCalculatorILi3EjLb0EEEEvlT_T0_T1_T2_EUlibE_EEviSJ_.has_dyn_sized_stack, or(0, .L_ZN12_GLOBAL__N_111calc_igammaIfEET_S1_S1_.has_dyn_sized_stack, .L_ZN12_GLOBAL__N_112calc_igammacIfEET_S1_S1_.has_dyn_sized_stack)
	.set _ZN2at6native32elementwise_kernel_manual_unrollILi128ELi4EZNS0_12_GLOBAL__N_142type_specialized_broadcast_kernel_launcherILi0EE5applyIN12_GLOBAL__N_110CalcIgammaIfEESt5arrayIPcLm3EES9_IN3c1010ScalarTypeELm3EE16OffsetCalculatorILi3EjLb0EEEEvlT_T0_T1_T2_EUlibE_EEviSJ_.has_recursion, or(0, .L_ZN12_GLOBAL__N_111calc_igammaIfEET_S1_S1_.has_recursion, .L_ZN12_GLOBAL__N_112calc_igammacIfEET_S1_S1_.has_recursion)
	.set _ZN2at6native32elementwise_kernel_manual_unrollILi128ELi4EZNS0_12_GLOBAL__N_142type_specialized_broadcast_kernel_launcherILi0EE5applyIN12_GLOBAL__N_110CalcIgammaIfEESt5arrayIPcLm3EES9_IN3c1010ScalarTypeELm3EE16OffsetCalculatorILi3EjLb0EEEEvlT_T0_T1_T2_EUlibE_EEviSJ_.has_indirect_call, or(0, .L_ZN12_GLOBAL__N_111calc_igammaIfEET_S1_S1_.has_indirect_call, .L_ZN12_GLOBAL__N_112calc_igammacIfEET_S1_S1_.has_indirect_call)
	.section	.AMDGPU.csdata,"",@progbits
; Kernel info:
; codeLenInByte = 6084
; TotalNumSgprs: 75
; NumVgprs: 84
; ScratchSize: 144
; MemoryBound: 0
; FloatMode: 240
; IeeeMode: 1
; LDSByteSize: 0 bytes/workgroup (compile time only)
; SGPRBlocks: 0
; VGPRBlocks: 5
; NumSGPRsForWavesPerEU: 75
; NumVGPRsForWavesPerEU: 84
; NamedBarCnt: 0
; Occupancy: 10
; WaveLimiterHint : 1
; COMPUTE_PGM_RSRC2:SCRATCH_EN: 1
; COMPUTE_PGM_RSRC2:USER_SGPR: 2
; COMPUTE_PGM_RSRC2:TRAP_HANDLER: 0
; COMPUTE_PGM_RSRC2:TGID_X_EN: 1
; COMPUTE_PGM_RSRC2:TGID_Y_EN: 0
; COMPUTE_PGM_RSRC2:TGID_Z_EN: 0
; COMPUTE_PGM_RSRC2:TIDIG_COMP_CNT: 0
	.section	.text._ZN2at6native32elementwise_kernel_manual_unrollILi128ELi4EZNS0_12_GLOBAL__N_142type_specialized_broadcast_kernel_launcherILi1EE5applyIN12_GLOBAL__N_110CalcIgammaIfEESt5arrayIPcLm3EES9_IN3c1010ScalarTypeELm3EE16OffsetCalculatorILi3EjLb0EEEEvlT_T0_T1_T2_EUlibE_EEviSJ_,"axG",@progbits,_ZN2at6native32elementwise_kernel_manual_unrollILi128ELi4EZNS0_12_GLOBAL__N_142type_specialized_broadcast_kernel_launcherILi1EE5applyIN12_GLOBAL__N_110CalcIgammaIfEESt5arrayIPcLm3EES9_IN3c1010ScalarTypeELm3EE16OffsetCalculatorILi3EjLb0EEEEvlT_T0_T1_T2_EUlibE_EEviSJ_,comdat
	.globl	_ZN2at6native32elementwise_kernel_manual_unrollILi128ELi4EZNS0_12_GLOBAL__N_142type_specialized_broadcast_kernel_launcherILi1EE5applyIN12_GLOBAL__N_110CalcIgammaIfEESt5arrayIPcLm3EES9_IN3c1010ScalarTypeELm3EE16OffsetCalculatorILi3EjLb0EEEEvlT_T0_T1_T2_EUlibE_EEviSJ_ ; -- Begin function _ZN2at6native32elementwise_kernel_manual_unrollILi128ELi4EZNS0_12_GLOBAL__N_142type_specialized_broadcast_kernel_launcherILi1EE5applyIN12_GLOBAL__N_110CalcIgammaIfEESt5arrayIPcLm3EES9_IN3c1010ScalarTypeELm3EE16OffsetCalculatorILi3EjLb0EEEEvlT_T0_T1_T2_EUlibE_EEviSJ_
	.p2align	8
	.type	_ZN2at6native32elementwise_kernel_manual_unrollILi128ELi4EZNS0_12_GLOBAL__N_142type_specialized_broadcast_kernel_launcherILi1EE5applyIN12_GLOBAL__N_110CalcIgammaIfEESt5arrayIPcLm3EES9_IN3c1010ScalarTypeELm3EE16OffsetCalculatorILi3EjLb0EEEEvlT_T0_T1_T2_EUlibE_EEviSJ_,@function
_ZN2at6native32elementwise_kernel_manual_unrollILi128ELi4EZNS0_12_GLOBAL__N_142type_specialized_broadcast_kernel_launcherILi1EE5applyIN12_GLOBAL__N_110CalcIgammaIfEESt5arrayIPcLm3EES9_IN3c1010ScalarTypeELm3EE16OffsetCalculatorILi3EjLb0EEEEvlT_T0_T1_T2_EUlibE_EEviSJ_: ; @_ZN2at6native32elementwise_kernel_manual_unrollILi128ELi4EZNS0_12_GLOBAL__N_142type_specialized_broadcast_kernel_launcherILi1EE5applyIN12_GLOBAL__N_110CalcIgammaIfEESt5arrayIPcLm3EES9_IN3c1010ScalarTypeELm3EE16OffsetCalculatorILi3EjLb0EEEEvlT_T0_T1_T2_EUlibE_EEviSJ_
; %bb.0:
	s_clause 0x1
	s_load_b32 s59, s[0:1], 0x8
	s_load_b32 s71, s[0:1], 0x0
	s_bfe_u32 s2, ttmp6, 0x4000c
	s_and_b32 s3, ttmp6, 15
	s_add_co_i32 s2, s2, 1
	s_getreg_b32 s4, hwreg(HW_REG_IB_STS2, 6, 4)
	s_mul_i32 s2, ttmp9, s2
	s_add_nc_u64 s[34:35], s[0:1], 8
	s_add_co_i32 s3, s3, s2
	s_cmp_eq_u32 s4, 0
	s_mov_b32 s61, 0
	s_cselect_b32 s2, ttmp9, s3
	s_mov_b32 s32, 0
	v_lshl_or_b32 v44, s2, 9, v0
	s_wait_xcnt 0x0
	s_mov_b32 s0, exec_lo
	s_delay_alu instid0(VALU_DEP_1) | instskip(SKIP_2) | instid1(SALU_CYCLE_1)
	v_or_b32_e32 v0, 0x180, v44
	s_wait_kmcnt 0x0
	s_add_co_i32 s66, s59, -1
	s_cmp_gt_u32 s66, 1
	s_cselect_b32 s67, -1, 0
	v_cmpx_le_i32_e64 s71, v0
	s_xor_b32 s68, exec_lo, s0
	s_cbranch_execz .LBB46_70
; %bb.1:
	s_clause 0x5
	s_load_b128 s[48:51], s[34:35], 0x4
	s_load_b64 s[46:47], s[34:35], 0x14
	s_load_b96 s[56:58], s[34:35], 0x198
	s_load_b128 s[52:55], s[34:35], 0xc4
	s_load_b64 s[62:63], s[34:35], 0xd4
	s_load_b128 s[36:39], s[34:35], 0x188
	s_cmp_lg_u32 s59, 0
	s_mov_b32 s65, s61
	s_cselect_b32 s72, -1, 0
	s_min_u32 s70, s66, 15
	s_cmp_gt_u32 s59, 1
	s_cselect_b32 s69, -1, 0
	s_wait_kmcnt 0x0
	s_mov_b32 s60, s49
	s_mov_b32 s64, s46
	s_bitcmp1_b32 s58, 0
	s_mov_b32 s49, exec_lo
	s_cselect_b32 s0, -1, 0
	s_delay_alu instid0(SALU_CYCLE_1)
	s_xor_b32 s46, s0, -1
	v_cmpx_gt_i32_e64 s71, v44
	s_cbranch_execnz .LBB46_5
; %bb.2:
	s_or_b32 exec_lo, exec_lo, s49
	s_delay_alu instid0(SALU_CYCLE_1)
	s_mov_b32 s49, exec_lo
	v_cmpx_gt_i32_e64 s71, v44
	s_cbranch_execnz .LBB46_21
.LBB46_3:
	s_or_b32 exec_lo, exec_lo, s49
	s_delay_alu instid0(SALU_CYCLE_1)
	s_mov_b32 s49, exec_lo
	v_cmpx_gt_i32_e64 s71, v44
	s_cbranch_execnz .LBB46_37
.LBB46_4:
	s_or_b32 exec_lo, exec_lo, s49
	s_delay_alu instid0(SALU_CYCLE_1)
	s_mov_b32 s49, exec_lo
	v_cmpx_gt_i32_e64 s71, v44
	s_cbranch_execnz .LBB46_53
	s_branch .LBB46_69
.LBB46_5:
	s_and_not1_b32 vcc_lo, exec_lo, s67
	s_cbranch_vccnz .LBB46_11
; %bb.6:
	s_and_not1_b32 vcc_lo, exec_lo, s72
	s_cbranch_vccnz .LBB46_12
; %bb.7:
	v_dual_mov_b32 v43, 0 :: v_dual_mov_b32 v0, v44
	v_dual_mov_b32 v3, 0 :: v_dual_mov_b32 v2, 0
	s_add_co_i32 s2, s70, 1
	s_mov_b64 s[0:1], 0xffffffffffffffe8
	s_and_b32 s2, s2, 30
	s_add_nc_u64 s[0:1], s[34:35], s[0:1]
.LBB46_8:                               ; =>This Inner Loop Header: Depth=1
	s_clause 0x1
	s_load_b128 s[4:7], s[0:1], 0x1c
	s_load_b64 s[12:13], s[0:1], 0x2c
	s_add_co_i32 s2, s2, -2
	s_delay_alu instid0(SALU_CYCLE_1) | instskip(SKIP_2) | instid1(VALU_DEP_1)
	s_cmp_lg_u32 s2, 0
	s_wait_kmcnt 0x0
	v_mul_hi_u32 v1, s5, v0
	v_add_nc_u32_e32 v1, v0, v1
	s_delay_alu instid0(VALU_DEP_1) | instskip(NEXT) | instid1(VALU_DEP_1)
	v_lshrrev_b32_e32 v1, s6, v1
	v_mul_hi_u32 v4, s12, v1
	v_mul_lo_u32 v5, v1, s4
	s_clause 0x1
	s_load_b128 s[8:11], s[0:1], 0xdc
	s_load_b64 s[4:5], s[0:1], 0xec
	s_wait_xcnt 0x0
	s_add_nc_u64 s[0:1], s[0:1], 24
	s_delay_alu instid0(VALU_DEP_1) | instskip(NEXT) | instid1(VALU_DEP_1)
	v_dual_add_nc_u32 v4, v1, v4 :: v_dual_sub_nc_u32 v5, v0, v5
	v_lshrrev_b32_e32 v0, s13, v4
	s_wait_kmcnt 0x0
	s_delay_alu instid0(VALU_DEP_2) | instskip(NEXT) | instid1(VALU_DEP_2)
	v_mad_u32 v6, v5, s8, v43
	v_mul_lo_u32 v4, v0, s7
	v_mad_u32 v2, v5, s10, v2
	v_mad_u32 v3, v5, s9, v3
	s_delay_alu instid0(VALU_DEP_3) | instskip(NEXT) | instid1(VALU_DEP_1)
	v_sub_nc_u32_e32 v1, v1, v4
	v_mad_u32 v43, v1, s11, v6
	s_delay_alu instid0(VALU_DEP_4) | instskip(NEXT) | instid1(VALU_DEP_4)
	v_mad_u32 v2, v1, s5, v2
	v_mad_u32 v3, v1, s4, v3
	s_cbranch_scc1 .LBB46_8
; %bb.9:
	s_bitcmp1_b32 s70, 0
	s_cselect_b32 s2, -1, 0
	s_delay_alu instid0(SALU_CYCLE_1)
	s_and_b32 vcc_lo, exec_lo, s2
	s_cbranch_vccnz .LBB46_13
; %bb.10:
	s_clause 0x1
	s_load_b96 s[4:6], s[0:1], 0x1c
	s_load_b96 s[8:10], s[0:1], 0xdc
	s_wait_xcnt 0x0
	s_wait_kmcnt 0x0
	v_mul_hi_u32 v1, s5, v0
	s_delay_alu instid0(VALU_DEP_1) | instskip(NEXT) | instid1(VALU_DEP_1)
	v_add_nc_u32_e32 v1, v0, v1
	v_lshrrev_b32_e32 v1, s6, v1
	s_delay_alu instid0(VALU_DEP_1) | instskip(NEXT) | instid1(VALU_DEP_1)
	v_mul_lo_u32 v1, v1, s4
	v_sub_nc_u32_e32 v0, v0, v1
	s_delay_alu instid0(VALU_DEP_1)
	v_mad_u32 v43, v0, s8, v43
	v_mad_u32 v3, v0, s9, v3
	v_mad_u32 v2, v0, s10, v2
	s_cbranch_execz .LBB46_14
	s_branch .LBB46_16
.LBB46_11:
                                        ; implicit-def: $vgpr2
                                        ; implicit-def: $vgpr3
                                        ; implicit-def: $vgpr43
	s_branch .LBB46_14
.LBB46_12:
	v_dual_mov_b32 v2, 0 :: v_dual_mov_b32 v3, 0
	v_mov_b32_e32 v43, 0
.LBB46_13:
	s_cbranch_execnz .LBB46_16
.LBB46_14:
	v_mov_b32_e32 v45, 0
	s_and_not1_b32 vcc_lo, exec_lo, s69
	s_delay_alu instid0(VALU_DEP_1) | instskip(NEXT) | instid1(VALU_DEP_1)
	v_mul_u64_e32 v[0:1], s[60:61], v[44:45]
	v_add_nc_u32_e32 v0, v44, v1
	s_delay_alu instid0(VALU_DEP_1) | instskip(NEXT) | instid1(VALU_DEP_1)
	v_lshrrev_b32_e32 v0, s50, v0
	v_mul_lo_u32 v1, v0, s48
	s_delay_alu instid0(VALU_DEP_1) | instskip(NEXT) | instid1(VALU_DEP_1)
	v_sub_nc_u32_e32 v1, v44, v1
	v_mul_lo_u32 v43, v1, s52
	v_mul_lo_u32 v2, v1, s54
	;; [unrolled: 1-line block ×3, first 2 shown]
	s_cbranch_vccnz .LBB46_16
; %bb.15:
	v_mov_b32_e32 v1, v45
	s_delay_alu instid0(VALU_DEP_1) | instskip(NEXT) | instid1(VALU_DEP_1)
	v_mul_u64_e32 v[4:5], s[64:65], v[0:1]
	v_add_nc_u32_e32 v1, v0, v5
	s_delay_alu instid0(VALU_DEP_1) | instskip(NEXT) | instid1(VALU_DEP_1)
	v_lshrrev_b32_e32 v1, s47, v1
	v_mul_lo_u32 v1, v1, s51
	s_delay_alu instid0(VALU_DEP_1) | instskip(NEXT) | instid1(VALU_DEP_1)
	v_sub_nc_u32_e32 v0, v0, v1
	v_mad_u32 v43, v0, s55, v43
	v_mad_u32 v3, v0, s62, v3
	;; [unrolled: 1-line block ×3, first 2 shown]
.LBB46_16:
	global_load_u16 v0, v3, s[38:39]
	global_load_b32 v40, v2, s[56:57]
	s_and_b32 vcc_lo, exec_lo, s46
	s_wait_loadcnt 0x1
	v_lshlrev_b32_e32 v42, 16, v0
	s_cbranch_vccz .LBB46_18
; %bb.17:
	s_wait_loadcnt 0x0
	s_delay_alu instid0(VALU_DEP_1) | instskip(SKIP_2) | instid1(SALU_CYCLE_1)
	v_dual_mov_b32 v0, v42 :: v_dual_mov_b32 v1, v40
	s_get_pc_i64 s[0:1]
	s_add_nc_u64 s[0:1], s[0:1], _ZN12_GLOBAL__N_111calc_igammaIfEET_S1_S1_@rel64+4
	s_swap_pc_i64 s[30:31], s[0:1]
	s_cbranch_execz .LBB46_19
	s_branch .LBB46_20
.LBB46_18:
                                        ; implicit-def: $vgpr0
.LBB46_19:
	s_wait_loadcnt 0x0
	s_delay_alu instid0(VALU_DEP_1) | instskip(SKIP_2) | instid1(SALU_CYCLE_1)
	v_dual_mov_b32 v0, v42 :: v_dual_mov_b32 v1, v40
	s_get_pc_i64 s[0:1]
	s_add_nc_u64 s[0:1], s[0:1], _ZN12_GLOBAL__N_112calc_igammacIfEET_S1_S1_@rel64+4
	s_swap_pc_i64 s[30:31], s[0:1]
.LBB46_20:
	v_add_nc_u32_e32 v44, 0x80, v44
	global_store_b32 v43, v0, s[36:37]
	s_wait_xcnt 0x0
	s_or_b32 exec_lo, exec_lo, s49
	s_delay_alu instid0(SALU_CYCLE_1)
	s_mov_b32 s49, exec_lo
	v_cmpx_gt_i32_e64 s71, v44
	s_cbranch_execz .LBB46_3
.LBB46_21:
	s_and_not1_b32 vcc_lo, exec_lo, s67
	s_cbranch_vccnz .LBB46_27
; %bb.22:
	s_and_not1_b32 vcc_lo, exec_lo, s72
	s_cbranch_vccnz .LBB46_28
; %bb.23:
	v_dual_mov_b32 v43, 0 :: v_dual_mov_b32 v0, v44
	v_dual_mov_b32 v3, 0 :: v_dual_mov_b32 v2, 0
	s_add_co_i32 s2, s70, 1
	s_mov_b64 s[0:1], 0xffffffffffffffe8
	s_and_b32 s2, s2, 30
	s_add_nc_u64 s[0:1], s[34:35], s[0:1]
.LBB46_24:                              ; =>This Inner Loop Header: Depth=1
	s_clause 0x1
	s_load_b128 s[4:7], s[0:1], 0x1c
	s_load_b64 s[12:13], s[0:1], 0x2c
	s_add_co_i32 s2, s2, -2
	s_delay_alu instid0(SALU_CYCLE_1) | instskip(SKIP_2) | instid1(VALU_DEP_1)
	s_cmp_eq_u32 s2, 0
	s_wait_kmcnt 0x0
	v_mul_hi_u32 v1, s5, v0
	v_add_nc_u32_e32 v1, v0, v1
	s_delay_alu instid0(VALU_DEP_1) | instskip(NEXT) | instid1(VALU_DEP_1)
	v_lshrrev_b32_e32 v1, s6, v1
	v_mul_hi_u32 v4, s12, v1
	v_mul_lo_u32 v5, v1, s4
	s_clause 0x1
	s_load_b128 s[8:11], s[0:1], 0xdc
	s_load_b64 s[4:5], s[0:1], 0xec
	s_wait_xcnt 0x0
	s_add_nc_u64 s[0:1], s[0:1], 24
	s_delay_alu instid0(VALU_DEP_1) | instskip(NEXT) | instid1(VALU_DEP_1)
	v_dual_add_nc_u32 v4, v1, v4 :: v_dual_sub_nc_u32 v5, v0, v5
	v_lshrrev_b32_e32 v0, s13, v4
	s_wait_kmcnt 0x0
	s_delay_alu instid0(VALU_DEP_2) | instskip(NEXT) | instid1(VALU_DEP_2)
	v_mad_u32 v6, v5, s8, v43
	v_mul_lo_u32 v4, v0, s7
	v_mad_u32 v2, v5, s10, v2
	v_mad_u32 v3, v5, s9, v3
	s_delay_alu instid0(VALU_DEP_3) | instskip(NEXT) | instid1(VALU_DEP_1)
	v_sub_nc_u32_e32 v1, v1, v4
	v_mad_u32 v43, v1, s11, v6
	s_delay_alu instid0(VALU_DEP_4) | instskip(NEXT) | instid1(VALU_DEP_4)
	v_mad_u32 v2, v1, s5, v2
	v_mad_u32 v3, v1, s4, v3
	s_cbranch_scc0 .LBB46_24
; %bb.25:
	s_bitcmp1_b32 s70, 0
	s_cselect_b32 s2, -1, 0
	s_delay_alu instid0(SALU_CYCLE_1)
	s_and_b32 vcc_lo, exec_lo, s2
	s_cbranch_vccnz .LBB46_29
; %bb.26:
	s_clause 0x1
	s_load_b96 s[4:6], s[0:1], 0x1c
	s_load_b96 s[8:10], s[0:1], 0xdc
	s_wait_kmcnt 0x0
	v_mul_hi_u32 v1, s5, v0
	s_delay_alu instid0(VALU_DEP_1) | instskip(NEXT) | instid1(VALU_DEP_1)
	v_add_nc_u32_e32 v1, v0, v1
	v_lshrrev_b32_e32 v1, s6, v1
	s_delay_alu instid0(VALU_DEP_1) | instskip(NEXT) | instid1(VALU_DEP_1)
	v_mul_lo_u32 v1, v1, s4
	v_sub_nc_u32_e32 v0, v0, v1
	s_delay_alu instid0(VALU_DEP_1)
	v_mad_u32 v43, v0, s8, v43
	v_mad_u32 v3, v0, s9, v3
	;; [unrolled: 1-line block ×3, first 2 shown]
	s_branch .LBB46_29
.LBB46_27:
                                        ; implicit-def: $vgpr2
                                        ; implicit-def: $vgpr3
                                        ; implicit-def: $vgpr43
	s_branch .LBB46_30
.LBB46_28:
	v_dual_mov_b32 v2, 0 :: v_dual_mov_b32 v3, 0
	v_mov_b32_e32 v43, 0
.LBB46_29:
	s_cbranch_execnz .LBB46_32
.LBB46_30:
	v_mov_b32_e32 v45, 0
	s_and_not1_b32 vcc_lo, exec_lo, s69
	s_delay_alu instid0(VALU_DEP_1) | instskip(NEXT) | instid1(VALU_DEP_1)
	v_mul_u64_e32 v[0:1], s[60:61], v[44:45]
	v_add_nc_u32_e32 v0, v44, v1
	s_delay_alu instid0(VALU_DEP_1) | instskip(NEXT) | instid1(VALU_DEP_1)
	v_lshrrev_b32_e32 v0, s50, v0
	v_mul_lo_u32 v1, v0, s48
	s_delay_alu instid0(VALU_DEP_1) | instskip(NEXT) | instid1(VALU_DEP_1)
	v_sub_nc_u32_e32 v1, v44, v1
	v_mul_lo_u32 v43, v1, s52
	v_mul_lo_u32 v2, v1, s54
	;; [unrolled: 1-line block ×3, first 2 shown]
	s_cbranch_vccnz .LBB46_32
; %bb.31:
	v_mov_b32_e32 v1, v45
	s_delay_alu instid0(VALU_DEP_1) | instskip(NEXT) | instid1(VALU_DEP_1)
	v_mul_u64_e32 v[4:5], s[64:65], v[0:1]
	v_add_nc_u32_e32 v1, v0, v5
	s_delay_alu instid0(VALU_DEP_1) | instskip(NEXT) | instid1(VALU_DEP_1)
	v_lshrrev_b32_e32 v1, s47, v1
	v_mul_lo_u32 v1, v1, s51
	s_delay_alu instid0(VALU_DEP_1) | instskip(NEXT) | instid1(VALU_DEP_1)
	v_sub_nc_u32_e32 v0, v0, v1
	v_mad_u32 v43, v0, s55, v43
	v_mad_u32 v3, v0, s62, v3
	;; [unrolled: 1-line block ×3, first 2 shown]
.LBB46_32:
	global_load_u16 v0, v3, s[38:39]
	s_wait_loadcnt 0x1
	global_load_b32 v40, v2, s[56:57]
	s_and_not1_b32 vcc_lo, exec_lo, s46
	s_wait_loadcnt 0x1
	v_lshlrev_b32_e32 v42, 16, v0
	s_cbranch_vccnz .LBB46_34
; %bb.33:
	s_wait_loadcnt 0x0
	s_delay_alu instid0(VALU_DEP_1) | instskip(SKIP_2) | instid1(SALU_CYCLE_1)
	v_dual_mov_b32 v0, v42 :: v_dual_mov_b32 v1, v40
	s_get_pc_i64 s[0:1]
	s_add_nc_u64 s[0:1], s[0:1], _ZN12_GLOBAL__N_111calc_igammaIfEET_S1_S1_@rel64+4
	s_swap_pc_i64 s[30:31], s[0:1]
	s_cbranch_execz .LBB46_35
	s_branch .LBB46_36
.LBB46_34:
                                        ; implicit-def: $vgpr0
.LBB46_35:
	s_wait_loadcnt 0x0
	s_delay_alu instid0(VALU_DEP_1) | instskip(SKIP_2) | instid1(SALU_CYCLE_1)
	v_dual_mov_b32 v0, v42 :: v_dual_mov_b32 v1, v40
	s_get_pc_i64 s[0:1]
	s_add_nc_u64 s[0:1], s[0:1], _ZN12_GLOBAL__N_112calc_igammacIfEET_S1_S1_@rel64+4
	s_swap_pc_i64 s[30:31], s[0:1]
.LBB46_36:
	v_add_nc_u32_e32 v44, 0x80, v44
	global_store_b32 v43, v0, s[36:37]
	s_wait_xcnt 0x0
	s_or_b32 exec_lo, exec_lo, s49
	s_delay_alu instid0(SALU_CYCLE_1)
	s_mov_b32 s49, exec_lo
	v_cmpx_gt_i32_e64 s71, v44
	s_cbranch_execz .LBB46_4
.LBB46_37:
	s_and_not1_b32 vcc_lo, exec_lo, s67
	s_cbranch_vccnz .LBB46_43
; %bb.38:
	s_and_not1_b32 vcc_lo, exec_lo, s72
	s_cbranch_vccnz .LBB46_44
; %bb.39:
	v_dual_mov_b32 v43, 0 :: v_dual_mov_b32 v0, v44
	v_dual_mov_b32 v3, 0 :: v_dual_mov_b32 v2, 0
	s_add_co_i32 s2, s70, 1
	s_mov_b64 s[0:1], 0xffffffffffffffe8
	s_and_b32 s2, s2, 30
	s_add_nc_u64 s[0:1], s[34:35], s[0:1]
.LBB46_40:                              ; =>This Inner Loop Header: Depth=1
	s_clause 0x1
	s_load_b128 s[4:7], s[0:1], 0x1c
	s_load_b64 s[12:13], s[0:1], 0x2c
	s_add_co_i32 s2, s2, -2
	s_delay_alu instid0(SALU_CYCLE_1) | instskip(SKIP_2) | instid1(VALU_DEP_1)
	s_cmp_eq_u32 s2, 0
	s_wait_kmcnt 0x0
	v_mul_hi_u32 v1, s5, v0
	v_add_nc_u32_e32 v1, v0, v1
	s_delay_alu instid0(VALU_DEP_1) | instskip(NEXT) | instid1(VALU_DEP_1)
	v_lshrrev_b32_e32 v1, s6, v1
	v_mul_hi_u32 v4, s12, v1
	v_mul_lo_u32 v5, v1, s4
	s_clause 0x1
	s_load_b128 s[8:11], s[0:1], 0xdc
	s_load_b64 s[4:5], s[0:1], 0xec
	s_wait_xcnt 0x0
	s_add_nc_u64 s[0:1], s[0:1], 24
	s_delay_alu instid0(VALU_DEP_1) | instskip(NEXT) | instid1(VALU_DEP_1)
	v_dual_add_nc_u32 v4, v1, v4 :: v_dual_sub_nc_u32 v5, v0, v5
	v_lshrrev_b32_e32 v0, s13, v4
	s_wait_kmcnt 0x0
	s_delay_alu instid0(VALU_DEP_2) | instskip(NEXT) | instid1(VALU_DEP_2)
	v_mad_u32 v6, v5, s8, v43
	v_mul_lo_u32 v4, v0, s7
	v_mad_u32 v2, v5, s10, v2
	v_mad_u32 v3, v5, s9, v3
	s_delay_alu instid0(VALU_DEP_3) | instskip(NEXT) | instid1(VALU_DEP_1)
	v_sub_nc_u32_e32 v1, v1, v4
	v_mad_u32 v43, v1, s11, v6
	s_delay_alu instid0(VALU_DEP_4) | instskip(NEXT) | instid1(VALU_DEP_4)
	v_mad_u32 v2, v1, s5, v2
	v_mad_u32 v3, v1, s4, v3
	s_cbranch_scc0 .LBB46_40
; %bb.41:
	s_bitcmp1_b32 s70, 0
	s_cselect_b32 s2, -1, 0
	s_delay_alu instid0(SALU_CYCLE_1)
	s_and_b32 vcc_lo, exec_lo, s2
	s_cbranch_vccnz .LBB46_45
; %bb.42:
	s_clause 0x1
	s_load_b96 s[4:6], s[0:1], 0x1c
	s_load_b96 s[8:10], s[0:1], 0xdc
	s_wait_kmcnt 0x0
	v_mul_hi_u32 v1, s5, v0
	s_delay_alu instid0(VALU_DEP_1) | instskip(NEXT) | instid1(VALU_DEP_1)
	v_add_nc_u32_e32 v1, v0, v1
	v_lshrrev_b32_e32 v1, s6, v1
	s_delay_alu instid0(VALU_DEP_1) | instskip(NEXT) | instid1(VALU_DEP_1)
	v_mul_lo_u32 v1, v1, s4
	v_sub_nc_u32_e32 v0, v0, v1
	s_delay_alu instid0(VALU_DEP_1)
	v_mad_u32 v43, v0, s8, v43
	v_mad_u32 v3, v0, s9, v3
	;; [unrolled: 1-line block ×3, first 2 shown]
	s_branch .LBB46_45
.LBB46_43:
                                        ; implicit-def: $vgpr2
                                        ; implicit-def: $vgpr3
                                        ; implicit-def: $vgpr43
	s_branch .LBB46_46
.LBB46_44:
	v_dual_mov_b32 v2, 0 :: v_dual_mov_b32 v3, 0
	v_mov_b32_e32 v43, 0
.LBB46_45:
	s_cbranch_execnz .LBB46_48
.LBB46_46:
	v_mov_b32_e32 v45, 0
	s_and_not1_b32 vcc_lo, exec_lo, s69
	s_delay_alu instid0(VALU_DEP_1) | instskip(NEXT) | instid1(VALU_DEP_1)
	v_mul_u64_e32 v[0:1], s[60:61], v[44:45]
	v_add_nc_u32_e32 v0, v44, v1
	s_delay_alu instid0(VALU_DEP_1) | instskip(NEXT) | instid1(VALU_DEP_1)
	v_lshrrev_b32_e32 v0, s50, v0
	v_mul_lo_u32 v1, v0, s48
	s_delay_alu instid0(VALU_DEP_1) | instskip(NEXT) | instid1(VALU_DEP_1)
	v_sub_nc_u32_e32 v1, v44, v1
	v_mul_lo_u32 v43, v1, s52
	v_mul_lo_u32 v2, v1, s54
	;; [unrolled: 1-line block ×3, first 2 shown]
	s_cbranch_vccnz .LBB46_48
; %bb.47:
	v_mov_b32_e32 v1, v45
	s_delay_alu instid0(VALU_DEP_1) | instskip(NEXT) | instid1(VALU_DEP_1)
	v_mul_u64_e32 v[4:5], s[64:65], v[0:1]
	v_add_nc_u32_e32 v1, v0, v5
	s_delay_alu instid0(VALU_DEP_1) | instskip(NEXT) | instid1(VALU_DEP_1)
	v_lshrrev_b32_e32 v1, s47, v1
	v_mul_lo_u32 v1, v1, s51
	s_delay_alu instid0(VALU_DEP_1) | instskip(NEXT) | instid1(VALU_DEP_1)
	v_sub_nc_u32_e32 v0, v0, v1
	v_mad_u32 v43, v0, s55, v43
	v_mad_u32 v3, v0, s62, v3
	;; [unrolled: 1-line block ×3, first 2 shown]
.LBB46_48:
	global_load_u16 v0, v3, s[38:39]
	s_wait_loadcnt 0x1
	global_load_b32 v40, v2, s[56:57]
	s_and_not1_b32 vcc_lo, exec_lo, s46
	s_wait_loadcnt 0x1
	v_lshlrev_b32_e32 v42, 16, v0
	s_cbranch_vccnz .LBB46_50
; %bb.49:
	s_wait_loadcnt 0x0
	s_delay_alu instid0(VALU_DEP_1) | instskip(SKIP_2) | instid1(SALU_CYCLE_1)
	v_dual_mov_b32 v0, v42 :: v_dual_mov_b32 v1, v40
	s_get_pc_i64 s[0:1]
	s_add_nc_u64 s[0:1], s[0:1], _ZN12_GLOBAL__N_111calc_igammaIfEET_S1_S1_@rel64+4
	s_swap_pc_i64 s[30:31], s[0:1]
	s_cbranch_execz .LBB46_51
	s_branch .LBB46_52
.LBB46_50:
                                        ; implicit-def: $vgpr0
.LBB46_51:
	s_wait_loadcnt 0x0
	s_delay_alu instid0(VALU_DEP_1) | instskip(SKIP_2) | instid1(SALU_CYCLE_1)
	v_dual_mov_b32 v0, v42 :: v_dual_mov_b32 v1, v40
	s_get_pc_i64 s[0:1]
	s_add_nc_u64 s[0:1], s[0:1], _ZN12_GLOBAL__N_112calc_igammacIfEET_S1_S1_@rel64+4
	s_swap_pc_i64 s[30:31], s[0:1]
.LBB46_52:
	v_add_nc_u32_e32 v44, 0x80, v44
	global_store_b32 v43, v0, s[36:37]
	s_wait_xcnt 0x0
	s_or_b32 exec_lo, exec_lo, s49
	s_delay_alu instid0(SALU_CYCLE_1)
	s_mov_b32 s49, exec_lo
	v_cmpx_gt_i32_e64 s71, v44
	s_cbranch_execz .LBB46_69
.LBB46_53:
	s_and_not1_b32 vcc_lo, exec_lo, s67
	s_cbranch_vccnz .LBB46_59
; %bb.54:
	s_and_not1_b32 vcc_lo, exec_lo, s72
	s_cbranch_vccnz .LBB46_60
; %bb.55:
	v_dual_mov_b32 v43, 0 :: v_dual_mov_b32 v0, v44
	v_dual_mov_b32 v3, 0 :: v_dual_mov_b32 v2, 0
	s_add_co_i32 s2, s70, 1
	s_mov_b64 s[0:1], 0xffffffffffffffe8
	s_and_b32 s2, s2, 30
	s_add_nc_u64 s[0:1], s[34:35], s[0:1]
.LBB46_56:                              ; =>This Inner Loop Header: Depth=1
	s_clause 0x1
	s_load_b128 s[4:7], s[0:1], 0x1c
	s_load_b64 s[12:13], s[0:1], 0x2c
	s_add_co_i32 s2, s2, -2
	s_delay_alu instid0(SALU_CYCLE_1) | instskip(SKIP_2) | instid1(VALU_DEP_1)
	s_cmp_eq_u32 s2, 0
	s_wait_kmcnt 0x0
	v_mul_hi_u32 v1, s5, v0
	v_add_nc_u32_e32 v1, v0, v1
	s_delay_alu instid0(VALU_DEP_1) | instskip(NEXT) | instid1(VALU_DEP_1)
	v_lshrrev_b32_e32 v1, s6, v1
	v_mul_hi_u32 v4, s12, v1
	v_mul_lo_u32 v5, v1, s4
	s_clause 0x1
	s_load_b128 s[8:11], s[0:1], 0xdc
	s_load_b64 s[4:5], s[0:1], 0xec
	s_wait_xcnt 0x0
	s_add_nc_u64 s[0:1], s[0:1], 24
	s_delay_alu instid0(VALU_DEP_1) | instskip(NEXT) | instid1(VALU_DEP_1)
	v_dual_add_nc_u32 v4, v1, v4 :: v_dual_sub_nc_u32 v5, v0, v5
	v_lshrrev_b32_e32 v0, s13, v4
	s_wait_kmcnt 0x0
	s_delay_alu instid0(VALU_DEP_2) | instskip(NEXT) | instid1(VALU_DEP_2)
	v_mad_u32 v6, v5, s8, v43
	v_mul_lo_u32 v4, v0, s7
	v_mad_u32 v2, v5, s10, v2
	v_mad_u32 v3, v5, s9, v3
	s_delay_alu instid0(VALU_DEP_3) | instskip(NEXT) | instid1(VALU_DEP_1)
	v_sub_nc_u32_e32 v1, v1, v4
	v_mad_u32 v43, v1, s11, v6
	s_delay_alu instid0(VALU_DEP_4) | instskip(NEXT) | instid1(VALU_DEP_4)
	v_mad_u32 v2, v1, s5, v2
	v_mad_u32 v3, v1, s4, v3
	s_cbranch_scc0 .LBB46_56
; %bb.57:
	s_bitcmp1_b32 s70, 0
	s_cselect_b32 s2, -1, 0
	s_delay_alu instid0(SALU_CYCLE_1)
	s_and_b32 vcc_lo, exec_lo, s2
	s_cbranch_vccnz .LBB46_61
; %bb.58:
	s_clause 0x1
	s_load_b96 s[4:6], s[0:1], 0x1c
	s_load_b96 s[8:10], s[0:1], 0xdc
	s_wait_kmcnt 0x0
	v_mul_hi_u32 v1, s5, v0
	s_delay_alu instid0(VALU_DEP_1) | instskip(NEXT) | instid1(VALU_DEP_1)
	v_add_nc_u32_e32 v1, v0, v1
	v_lshrrev_b32_e32 v1, s6, v1
	s_delay_alu instid0(VALU_DEP_1) | instskip(NEXT) | instid1(VALU_DEP_1)
	v_mul_lo_u32 v1, v1, s4
	v_sub_nc_u32_e32 v0, v0, v1
	s_delay_alu instid0(VALU_DEP_1)
	v_mad_u32 v43, v0, s8, v43
	v_mad_u32 v3, v0, s9, v3
	v_mad_u32 v2, v0, s10, v2
	s_branch .LBB46_61
.LBB46_59:
                                        ; implicit-def: $vgpr2
                                        ; implicit-def: $vgpr3
                                        ; implicit-def: $vgpr43
	s_branch .LBB46_62
.LBB46_60:
	v_dual_mov_b32 v2, 0 :: v_dual_mov_b32 v3, 0
	v_mov_b32_e32 v43, 0
.LBB46_61:
	s_cbranch_execnz .LBB46_64
.LBB46_62:
	v_mov_b32_e32 v45, 0
	s_and_not1_b32 vcc_lo, exec_lo, s69
	s_delay_alu instid0(VALU_DEP_1) | instskip(NEXT) | instid1(VALU_DEP_1)
	v_mul_u64_e32 v[0:1], s[60:61], v[44:45]
	v_add_nc_u32_e32 v0, v44, v1
	s_delay_alu instid0(VALU_DEP_1) | instskip(NEXT) | instid1(VALU_DEP_1)
	v_lshrrev_b32_e32 v0, s50, v0
	v_mul_lo_u32 v1, v0, s48
	s_delay_alu instid0(VALU_DEP_1) | instskip(NEXT) | instid1(VALU_DEP_1)
	v_sub_nc_u32_e32 v1, v44, v1
	v_mul_lo_u32 v43, v1, s52
	v_mul_lo_u32 v2, v1, s54
	;; [unrolled: 1-line block ×3, first 2 shown]
	s_cbranch_vccnz .LBB46_64
; %bb.63:
	v_mov_b32_e32 v1, v45
	s_delay_alu instid0(VALU_DEP_1) | instskip(NEXT) | instid1(VALU_DEP_1)
	v_mul_u64_e32 v[4:5], s[64:65], v[0:1]
	v_add_nc_u32_e32 v1, v0, v5
	s_delay_alu instid0(VALU_DEP_1) | instskip(NEXT) | instid1(VALU_DEP_1)
	v_lshrrev_b32_e32 v1, s47, v1
	v_mul_lo_u32 v1, v1, s51
	s_delay_alu instid0(VALU_DEP_1) | instskip(NEXT) | instid1(VALU_DEP_1)
	v_sub_nc_u32_e32 v0, v0, v1
	v_mad_u32 v43, v0, s55, v43
	v_mad_u32 v3, v0, s62, v3
	;; [unrolled: 1-line block ×3, first 2 shown]
.LBB46_64:
	global_load_u16 v0, v3, s[38:39]
	s_wait_loadcnt 0x1
	global_load_b32 v40, v2, s[56:57]
	s_and_not1_b32 vcc_lo, exec_lo, s46
	s_wait_loadcnt 0x1
	v_lshlrev_b32_e32 v42, 16, v0
	s_cbranch_vccnz .LBB46_66
; %bb.65:
	s_wait_loadcnt 0x0
	s_delay_alu instid0(VALU_DEP_1) | instskip(SKIP_2) | instid1(SALU_CYCLE_1)
	v_dual_mov_b32 v0, v42 :: v_dual_mov_b32 v1, v40
	s_get_pc_i64 s[0:1]
	s_add_nc_u64 s[0:1], s[0:1], _ZN12_GLOBAL__N_111calc_igammaIfEET_S1_S1_@rel64+4
	s_swap_pc_i64 s[30:31], s[0:1]
	s_cbranch_execz .LBB46_67
	s_branch .LBB46_68
.LBB46_66:
                                        ; implicit-def: $vgpr0
.LBB46_67:
	s_wait_loadcnt 0x0
	s_delay_alu instid0(VALU_DEP_1) | instskip(SKIP_2) | instid1(SALU_CYCLE_1)
	v_dual_mov_b32 v0, v42 :: v_dual_mov_b32 v1, v40
	s_get_pc_i64 s[0:1]
	s_add_nc_u64 s[0:1], s[0:1], _ZN12_GLOBAL__N_112calc_igammacIfEET_S1_S1_@rel64+4
	s_swap_pc_i64 s[30:31], s[0:1]
.LBB46_68:
	global_store_b32 v43, v0, s[36:37]
.LBB46_69:
	s_wait_xcnt 0x0
	s_or_b32 exec_lo, exec_lo, s49
                                        ; implicit-def: $vgpr0
                                        ; implicit-def: $vgpr44
.LBB46_70:
	s_and_not1_saveexec_b32 s0, s68
	s_cbranch_execz .LBB46_77
; %bb.71:
	v_cndmask_b32_e64 v3, 0, 1, s67
	s_and_not1_b32 vcc_lo, exec_lo, s67
	s_cbranch_vccnz .LBB46_78
; %bb.72:
	s_cmp_lg_u32 s59, 0
	s_mov_b32 s2, 0
	s_cbranch_scc0 .LBB46_82
; %bb.73:
	s_min_u32 s3, s66, 15
	v_dual_mov_b32 v46, 0 :: v_dual_mov_b32 v4, v44
	v_dual_mov_b32 v2, 0 :: v_dual_mov_b32 v1, 0
	s_add_co_i32 s4, s3, 1
	s_mov_b64 s[0:1], 0xffffffffffffffe8
	s_and_b32 s4, s4, 30
	s_add_nc_u64 s[0:1], s[34:35], s[0:1]
.LBB46_74:                              ; =>This Inner Loop Header: Depth=1
	s_clause 0x1
	s_load_b128 s[8:11], s[0:1], 0x1c
	s_load_b64 s[6:7], s[0:1], 0x2c
	s_add_co_i32 s4, s4, -2
	s_delay_alu instid0(SALU_CYCLE_1) | instskip(SKIP_2) | instid1(VALU_DEP_1)
	s_cmp_lg_u32 s4, 0
	s_wait_kmcnt 0x0
	v_mul_hi_u32 v5, s9, v4
	v_add_nc_u32_e32 v5, v4, v5
	s_delay_alu instid0(VALU_DEP_1) | instskip(NEXT) | instid1(VALU_DEP_1)
	v_lshrrev_b32_e32 v5, s10, v5
	v_mul_hi_u32 v6, s6, v5
	v_mul_lo_u32 v7, v5, s8
	s_clause 0x1
	s_load_b128 s[12:15], s[0:1], 0xdc
	s_load_b64 s[8:9], s[0:1], 0xec
	s_wait_xcnt 0x0
	s_add_nc_u64 s[0:1], s[0:1], 24
	s_delay_alu instid0(VALU_DEP_1) | instskip(NEXT) | instid1(VALU_DEP_1)
	v_dual_add_nc_u32 v6, v5, v6 :: v_dual_sub_nc_u32 v7, v4, v7
	v_lshrrev_b32_e32 v4, s7, v6
	s_wait_kmcnt 0x0
	s_delay_alu instid0(VALU_DEP_2) | instskip(NEXT) | instid1(VALU_DEP_2)
	v_mad_u32 v8, v7, s12, v46
	v_mul_lo_u32 v6, v4, s11
	v_mad_u32 v1, v7, s14, v1
	v_mad_u32 v2, v7, s13, v2
	s_delay_alu instid0(VALU_DEP_3) | instskip(NEXT) | instid1(VALU_DEP_1)
	v_sub_nc_u32_e32 v5, v5, v6
	v_mad_u32 v46, v5, s15, v8
	s_delay_alu instid0(VALU_DEP_4) | instskip(NEXT) | instid1(VALU_DEP_4)
	v_mad_u32 v1, v5, s9, v1
	v_mad_u32 v2, v5, s8, v2
	s_cbranch_scc1 .LBB46_74
; %bb.75:
	s_bitcmp1_b32 s3, 0
	s_cselect_b32 s3, -1, 0
	s_delay_alu instid0(SALU_CYCLE_1)
	s_and_b32 vcc_lo, exec_lo, s3
	s_cbranch_vccnz .LBB46_79
; %bb.76:
	s_clause 0x1
	s_load_b96 s[4:6], s[0:1], 0x1c
	s_load_b96 s[8:10], s[0:1], 0xdc
	s_wait_kmcnt 0x0
	v_mul_hi_u32 v5, s5, v4
	s_delay_alu instid0(VALU_DEP_1) | instskip(NEXT) | instid1(VALU_DEP_1)
	v_add_nc_u32_e32 v5, v4, v5
	v_lshrrev_b32_e32 v5, s6, v5
	s_delay_alu instid0(VALU_DEP_1) | instskip(NEXT) | instid1(VALU_DEP_1)
	v_mul_lo_u32 v5, v5, s4
	v_sub_nc_u32_e32 v4, v4, v5
	s_delay_alu instid0(VALU_DEP_1)
	v_mad_u32 v46, v4, s8, v46
	v_mad_u32 v2, v4, s9, v2
	;; [unrolled: 1-line block ×3, first 2 shown]
	s_and_not1_b32 vcc_lo, exec_lo, s2
	s_cbranch_vccz .LBB46_80
	s_branch .LBB46_83
.LBB46_77:
	s_endpgm
.LBB46_78:
	s_mov_b32 s2, -1
                                        ; implicit-def: $vgpr1
                                        ; implicit-def: $vgpr2
                                        ; implicit-def: $vgpr46
.LBB46_79:
	s_delay_alu instid0(SALU_CYCLE_1)
	s_and_not1_b32 vcc_lo, exec_lo, s2
	s_cbranch_vccnz .LBB46_83
.LBB46_80:
	s_clause 0x1
	s_load_b96 s[0:2], s[34:35], 0x4
	s_load_b96 s[4:6], s[34:35], 0xc4
	s_cmp_lt_u32 s59, 2
	s_wait_kmcnt 0x0
	v_mul_hi_u32 v1, s1, v44
	s_delay_alu instid0(VALU_DEP_1) | instskip(NEXT) | instid1(VALU_DEP_1)
	v_add_nc_u32_e32 v1, v44, v1
	v_lshrrev_b32_e32 v4, s2, v1
	s_delay_alu instid0(VALU_DEP_1) | instskip(NEXT) | instid1(VALU_DEP_1)
	v_mul_lo_u32 v1, v4, s0
	v_sub_nc_u32_e32 v2, v44, v1
	s_delay_alu instid0(VALU_DEP_1)
	v_mul_lo_u32 v46, v2, s4
	v_mul_lo_u32 v1, v2, s6
	;; [unrolled: 1-line block ×3, first 2 shown]
	s_cbranch_scc1 .LBB46_83
; %bb.81:
	s_clause 0x1
	s_load_b96 s[0:2], s[34:35], 0x10
	s_load_b96 s[4:6], s[34:35], 0xd0
	s_wait_kmcnt 0x0
	v_mul_hi_u32 v5, s1, v4
	s_delay_alu instid0(VALU_DEP_1) | instskip(NEXT) | instid1(VALU_DEP_1)
	v_add_nc_u32_e32 v5, v4, v5
	v_lshrrev_b32_e32 v5, s2, v5
	s_delay_alu instid0(VALU_DEP_1) | instskip(NEXT) | instid1(VALU_DEP_1)
	v_mul_lo_u32 v5, v5, s0
	v_sub_nc_u32_e32 v4, v4, v5
	s_delay_alu instid0(VALU_DEP_1)
	v_mad_u32 v46, v4, s4, v46
	v_mad_u32 v2, v4, s5, v2
	;; [unrolled: 1-line block ×3, first 2 shown]
	s_branch .LBB46_83
.LBB46_82:
	v_dual_mov_b32 v1, 0 :: v_dual_mov_b32 v2, 0
	v_mov_b32_e32 v46, 0
	s_and_not1_b32 vcc_lo, exec_lo, s2
	s_cbranch_vccz .LBB46_80
.LBB46_83:
	v_cmp_ne_u32_e32 vcc_lo, 1, v3
	v_add_nc_u32_e32 v4, 0x80, v44
	s_cbranch_vccnz .LBB46_89
; %bb.84:
	s_cmp_lg_u32 s59, 0
	s_mov_b32 s2, 0
	s_cbranch_scc0 .LBB46_93
; %bb.85:
	s_min_u32 s3, s66, 15
	v_dual_mov_b32 v47, 0 :: v_dual_mov_b32 v5, v4
	v_dual_mov_b32 v56, 0 :: v_dual_mov_b32 v45, 0
	s_add_co_i32 s4, s3, 1
	s_mov_b64 s[0:1], 0xffffffffffffffe8
	s_and_b32 s4, s4, 30
	s_add_nc_u64 s[0:1], s[34:35], s[0:1]
.LBB46_86:                              ; =>This Inner Loop Header: Depth=1
	s_clause 0x1
	s_load_b128 s[8:11], s[0:1], 0x1c
	s_load_b64 s[6:7], s[0:1], 0x2c
	s_add_co_i32 s4, s4, -2
	s_delay_alu instid0(SALU_CYCLE_1) | instskip(SKIP_2) | instid1(VALU_DEP_1)
	s_cmp_lg_u32 s4, 0
	s_wait_kmcnt 0x0
	v_mul_hi_u32 v6, s9, v5
	v_add_nc_u32_e32 v6, v5, v6
	s_delay_alu instid0(VALU_DEP_1) | instskip(NEXT) | instid1(VALU_DEP_1)
	v_lshrrev_b32_e32 v6, s10, v6
	v_mul_hi_u32 v7, s6, v6
	v_mul_lo_u32 v8, v6, s8
	s_clause 0x1
	s_load_b128 s[12:15], s[0:1], 0xdc
	s_load_b64 s[8:9], s[0:1], 0xec
	s_wait_xcnt 0x0
	s_add_nc_u64 s[0:1], s[0:1], 24
	s_delay_alu instid0(VALU_DEP_1) | instskip(NEXT) | instid1(VALU_DEP_1)
	v_dual_add_nc_u32 v7, v6, v7 :: v_dual_sub_nc_u32 v8, v5, v8
	v_lshrrev_b32_e32 v5, s7, v7
	s_wait_kmcnt 0x0
	s_delay_alu instid0(VALU_DEP_2) | instskip(NEXT) | instid1(VALU_DEP_2)
	v_mad_u32 v9, v8, s12, v47
	v_mul_lo_u32 v7, v5, s11
	v_mad_u32 v10, v8, s14, v45
	v_mad_u32 v8, v8, s13, v56
	s_delay_alu instid0(VALU_DEP_3) | instskip(NEXT) | instid1(VALU_DEP_1)
	v_sub_nc_u32_e32 v6, v6, v7
	v_mad_u32 v47, v6, s15, v9
	s_delay_alu instid0(VALU_DEP_4) | instskip(NEXT) | instid1(VALU_DEP_4)
	v_mad_u32 v45, v6, s9, v10
	v_mad_u32 v56, v6, s8, v8
	s_cbranch_scc1 .LBB46_86
; %bb.87:
	s_bitcmp1_b32 s3, 0
	s_cselect_b32 s3, -1, 0
	s_delay_alu instid0(SALU_CYCLE_1)
	s_and_b32 vcc_lo, exec_lo, s3
	s_cbranch_vccnz .LBB46_90
; %bb.88:
	s_clause 0x1
	s_load_b96 s[4:6], s[0:1], 0x1c
	s_load_b96 s[8:10], s[0:1], 0xdc
	s_wait_kmcnt 0x0
	v_mul_hi_u32 v6, s5, v5
	s_delay_alu instid0(VALU_DEP_1) | instskip(NEXT) | instid1(VALU_DEP_1)
	v_add_nc_u32_e32 v6, v5, v6
	v_lshrrev_b32_e32 v6, s6, v6
	s_delay_alu instid0(VALU_DEP_1) | instskip(NEXT) | instid1(VALU_DEP_1)
	v_mul_lo_u32 v6, v6, s4
	v_sub_nc_u32_e32 v5, v5, v6
	s_delay_alu instid0(VALU_DEP_1)
	v_mad_u32 v47, v5, s8, v47
	v_mad_u32 v56, v5, s9, v56
	;; [unrolled: 1-line block ×3, first 2 shown]
	s_and_not1_b32 vcc_lo, exec_lo, s2
	s_cbranch_vccz .LBB46_91
	s_branch .LBB46_94
.LBB46_89:
	s_mov_b32 s2, -1
                                        ; implicit-def: $vgpr45
                                        ; implicit-def: $vgpr56
                                        ; implicit-def: $vgpr47
.LBB46_90:
	s_delay_alu instid0(SALU_CYCLE_1)
	s_and_not1_b32 vcc_lo, exec_lo, s2
	s_cbranch_vccnz .LBB46_94
.LBB46_91:
	s_clause 0x1
	s_load_b96 s[0:2], s[34:35], 0x4
	s_load_b96 s[4:6], s[34:35], 0xc4
	s_cmp_lt_u32 s59, 2
	s_wait_kmcnt 0x0
	v_mul_hi_u32 v5, s1, v4
	s_delay_alu instid0(VALU_DEP_1) | instskip(NEXT) | instid1(VALU_DEP_1)
	v_add_nc_u32_e32 v5, v4, v5
	v_lshrrev_b32_e32 v5, s2, v5
	s_delay_alu instid0(VALU_DEP_1) | instskip(NEXT) | instid1(VALU_DEP_1)
	v_mul_lo_u32 v6, v5, s0
	v_sub_nc_u32_e32 v4, v4, v6
	s_delay_alu instid0(VALU_DEP_1)
	v_mul_lo_u32 v47, v4, s4
	v_mul_lo_u32 v45, v4, s6
	v_mul_lo_u32 v56, v4, s5
	s_cbranch_scc1 .LBB46_94
; %bb.92:
	s_clause 0x1
	s_load_b96 s[0:2], s[34:35], 0x10
	s_load_b96 s[4:6], s[34:35], 0xd0
	s_wait_kmcnt 0x0
	v_mul_hi_u32 v4, s1, v5
	s_delay_alu instid0(VALU_DEP_1) | instskip(NEXT) | instid1(VALU_DEP_1)
	v_add_nc_u32_e32 v4, v5, v4
	v_lshrrev_b32_e32 v4, s2, v4
	s_delay_alu instid0(VALU_DEP_1) | instskip(NEXT) | instid1(VALU_DEP_1)
	v_mul_lo_u32 v4, v4, s0
	v_sub_nc_u32_e32 v4, v5, v4
	s_delay_alu instid0(VALU_DEP_1)
	v_mad_u32 v47, v4, s4, v47
	v_mad_u32 v56, v4, s5, v56
	;; [unrolled: 1-line block ×3, first 2 shown]
	s_branch .LBB46_94
.LBB46_93:
	v_dual_mov_b32 v45, 0 :: v_dual_mov_b32 v56, 0
	v_mov_b32_e32 v47, 0
	s_and_not1_b32 vcc_lo, exec_lo, s2
	s_cbranch_vccz .LBB46_91
.LBB46_94:
	v_cmp_ne_u32_e32 vcc_lo, 1, v3
	v_add_nc_u32_e32 v4, 0x100, v44
	s_cbranch_vccnz .LBB46_100
; %bb.95:
	s_cmp_lg_u32 s59, 0
	s_mov_b32 s2, 0
	s_cbranch_scc0 .LBB46_104
; %bb.96:
	s_min_u32 s3, s66, 15
	v_dual_mov_b32 v57, 0 :: v_dual_mov_b32 v5, v4
	v_dual_mov_b32 v59, 0 :: v_dual_mov_b32 v58, 0
	s_add_co_i32 s4, s3, 1
	s_mov_b64 s[0:1], 0xffffffffffffffe8
	s_and_b32 s4, s4, 30
	s_add_nc_u64 s[0:1], s[34:35], s[0:1]
.LBB46_97:                              ; =>This Inner Loop Header: Depth=1
	s_clause 0x1
	s_load_b128 s[8:11], s[0:1], 0x1c
	s_load_b64 s[6:7], s[0:1], 0x2c
	s_add_co_i32 s4, s4, -2
	s_delay_alu instid0(SALU_CYCLE_1) | instskip(SKIP_2) | instid1(VALU_DEP_1)
	s_cmp_lg_u32 s4, 0
	s_wait_kmcnt 0x0
	v_mul_hi_u32 v6, s9, v5
	v_add_nc_u32_e32 v6, v5, v6
	s_delay_alu instid0(VALU_DEP_1) | instskip(NEXT) | instid1(VALU_DEP_1)
	v_lshrrev_b32_e32 v6, s10, v6
	v_mul_hi_u32 v7, s6, v6
	v_mul_lo_u32 v8, v6, s8
	s_clause 0x1
	s_load_b128 s[12:15], s[0:1], 0xdc
	s_load_b64 s[8:9], s[0:1], 0xec
	s_wait_xcnt 0x0
	s_add_nc_u64 s[0:1], s[0:1], 24
	s_delay_alu instid0(VALU_DEP_1) | instskip(NEXT) | instid1(VALU_DEP_1)
	v_dual_add_nc_u32 v7, v6, v7 :: v_dual_sub_nc_u32 v8, v5, v8
	v_lshrrev_b32_e32 v5, s7, v7
	s_wait_kmcnt 0x0
	s_delay_alu instid0(VALU_DEP_2) | instskip(NEXT) | instid1(VALU_DEP_2)
	v_mad_u32 v9, v8, s12, v57
	v_mul_lo_u32 v7, v5, s11
	v_mad_u32 v10, v8, s14, v58
	v_mad_u32 v8, v8, s13, v59
	s_delay_alu instid0(VALU_DEP_3) | instskip(NEXT) | instid1(VALU_DEP_1)
	v_sub_nc_u32_e32 v6, v6, v7
	v_mad_u32 v57, v6, s15, v9
	s_delay_alu instid0(VALU_DEP_4) | instskip(NEXT) | instid1(VALU_DEP_4)
	v_mad_u32 v58, v6, s9, v10
	v_mad_u32 v59, v6, s8, v8
	s_cbranch_scc1 .LBB46_97
; %bb.98:
	s_bitcmp1_b32 s3, 0
	s_cselect_b32 s3, -1, 0
	s_delay_alu instid0(SALU_CYCLE_1)
	s_and_b32 vcc_lo, exec_lo, s3
	s_cbranch_vccnz .LBB46_101
; %bb.99:
	s_clause 0x1
	s_load_b96 s[4:6], s[0:1], 0x1c
	s_load_b96 s[8:10], s[0:1], 0xdc
	s_wait_kmcnt 0x0
	v_mul_hi_u32 v6, s5, v5
	s_delay_alu instid0(VALU_DEP_1) | instskip(NEXT) | instid1(VALU_DEP_1)
	v_add_nc_u32_e32 v6, v5, v6
	v_lshrrev_b32_e32 v6, s6, v6
	s_delay_alu instid0(VALU_DEP_1) | instskip(NEXT) | instid1(VALU_DEP_1)
	v_mul_lo_u32 v6, v6, s4
	v_sub_nc_u32_e32 v5, v5, v6
	s_delay_alu instid0(VALU_DEP_1)
	v_mad_u32 v57, v5, s8, v57
	v_mad_u32 v59, v5, s9, v59
	;; [unrolled: 1-line block ×3, first 2 shown]
	s_and_not1_b32 vcc_lo, exec_lo, s2
	s_cbranch_vccz .LBB46_102
	s_branch .LBB46_105
.LBB46_100:
	s_mov_b32 s2, -1
                                        ; implicit-def: $vgpr58
                                        ; implicit-def: $vgpr59
                                        ; implicit-def: $vgpr57
.LBB46_101:
	s_delay_alu instid0(SALU_CYCLE_1)
	s_and_not1_b32 vcc_lo, exec_lo, s2
	s_cbranch_vccnz .LBB46_105
.LBB46_102:
	s_clause 0x1
	s_load_b96 s[0:2], s[34:35], 0x4
	s_load_b96 s[4:6], s[34:35], 0xc4
	s_cmp_lt_u32 s59, 2
	s_wait_kmcnt 0x0
	v_mul_hi_u32 v5, s1, v4
	s_delay_alu instid0(VALU_DEP_1) | instskip(NEXT) | instid1(VALU_DEP_1)
	v_add_nc_u32_e32 v5, v4, v5
	v_lshrrev_b32_e32 v5, s2, v5
	s_delay_alu instid0(VALU_DEP_1) | instskip(NEXT) | instid1(VALU_DEP_1)
	v_mul_lo_u32 v6, v5, s0
	v_sub_nc_u32_e32 v4, v4, v6
	s_delay_alu instid0(VALU_DEP_1)
	v_mul_lo_u32 v57, v4, s4
	v_mul_lo_u32 v58, v4, s6
	;; [unrolled: 1-line block ×3, first 2 shown]
	s_cbranch_scc1 .LBB46_105
; %bb.103:
	s_clause 0x1
	s_load_b96 s[0:2], s[34:35], 0x10
	s_load_b96 s[4:6], s[34:35], 0xd0
	s_wait_kmcnt 0x0
	v_mul_hi_u32 v4, s1, v5
	s_delay_alu instid0(VALU_DEP_1) | instskip(NEXT) | instid1(VALU_DEP_1)
	v_add_nc_u32_e32 v4, v5, v4
	v_lshrrev_b32_e32 v4, s2, v4
	s_delay_alu instid0(VALU_DEP_1) | instskip(NEXT) | instid1(VALU_DEP_1)
	v_mul_lo_u32 v4, v4, s0
	v_sub_nc_u32_e32 v4, v5, v4
	s_delay_alu instid0(VALU_DEP_1)
	v_mad_u32 v57, v4, s4, v57
	v_mad_u32 v59, v4, s5, v59
	;; [unrolled: 1-line block ×3, first 2 shown]
	s_branch .LBB46_105
.LBB46_104:
	v_dual_mov_b32 v58, 0 :: v_dual_mov_b32 v59, 0
	v_mov_b32_e32 v57, 0
	s_and_not1_b32 vcc_lo, exec_lo, s2
	s_cbranch_vccz .LBB46_102
.LBB46_105:
	v_cmp_ne_u32_e32 vcc_lo, 1, v3
	s_cbranch_vccnz .LBB46_111
; %bb.106:
	s_cmp_lg_u32 s59, 0
	s_mov_b32 s2, 0
	s_cbranch_scc0 .LBB46_115
; %bb.107:
	s_min_u32 s3, s66, 15
	v_dual_mov_b32 v60, 0 :: v_dual_mov_b32 v3, v0
	v_dual_mov_b32 v62, 0 :: v_dual_mov_b32 v61, 0
	s_add_co_i32 s4, s3, 1
	s_mov_b64 s[0:1], 0xffffffffffffffe8
	s_and_b32 s4, s4, 30
	s_add_nc_u64 s[0:1], s[34:35], s[0:1]
.LBB46_108:                             ; =>This Inner Loop Header: Depth=1
	s_clause 0x1
	s_load_b128 s[8:11], s[0:1], 0x1c
	s_load_b64 s[6:7], s[0:1], 0x2c
	s_add_co_i32 s4, s4, -2
	s_delay_alu instid0(SALU_CYCLE_1) | instskip(SKIP_2) | instid1(VALU_DEP_1)
	s_cmp_lg_u32 s4, 0
	s_wait_kmcnt 0x0
	v_mul_hi_u32 v4, s9, v3
	v_add_nc_u32_e32 v4, v3, v4
	s_delay_alu instid0(VALU_DEP_1) | instskip(NEXT) | instid1(VALU_DEP_1)
	v_lshrrev_b32_e32 v4, s10, v4
	v_mul_hi_u32 v5, s6, v4
	v_mul_lo_u32 v6, v4, s8
	s_clause 0x1
	s_load_b128 s[12:15], s[0:1], 0xdc
	s_load_b64 s[8:9], s[0:1], 0xec
	s_wait_xcnt 0x0
	s_add_nc_u64 s[0:1], s[0:1], 24
	s_delay_alu instid0(VALU_DEP_1) | instskip(NEXT) | instid1(VALU_DEP_1)
	v_dual_add_nc_u32 v5, v4, v5 :: v_dual_sub_nc_u32 v6, v3, v6
	v_lshrrev_b32_e32 v3, s7, v5
	s_wait_kmcnt 0x0
	s_delay_alu instid0(VALU_DEP_2) | instskip(NEXT) | instid1(VALU_DEP_2)
	v_mad_u32 v7, v6, s12, v60
	v_mul_lo_u32 v5, v3, s11
	v_mad_u32 v8, v6, s14, v61
	v_mad_u32 v6, v6, s13, v62
	s_delay_alu instid0(VALU_DEP_3) | instskip(NEXT) | instid1(VALU_DEP_1)
	v_sub_nc_u32_e32 v4, v4, v5
	v_mad_u32 v60, v4, s15, v7
	s_delay_alu instid0(VALU_DEP_4) | instskip(NEXT) | instid1(VALU_DEP_4)
	v_mad_u32 v61, v4, s9, v8
	v_mad_u32 v62, v4, s8, v6
	s_cbranch_scc1 .LBB46_108
; %bb.109:
	s_bitcmp1_b32 s3, 0
	s_cselect_b32 s3, -1, 0
	s_delay_alu instid0(SALU_CYCLE_1)
	s_and_b32 vcc_lo, exec_lo, s3
	s_cbranch_vccnz .LBB46_112
; %bb.110:
	s_clause 0x1
	s_load_b96 s[4:6], s[0:1], 0x1c
	s_load_b96 s[8:10], s[0:1], 0xdc
	s_wait_kmcnt 0x0
	v_mul_hi_u32 v4, s5, v3
	s_delay_alu instid0(VALU_DEP_1) | instskip(NEXT) | instid1(VALU_DEP_1)
	v_add_nc_u32_e32 v4, v3, v4
	v_lshrrev_b32_e32 v4, s6, v4
	s_delay_alu instid0(VALU_DEP_1) | instskip(NEXT) | instid1(VALU_DEP_1)
	v_mul_lo_u32 v4, v4, s4
	v_sub_nc_u32_e32 v3, v3, v4
	s_delay_alu instid0(VALU_DEP_1)
	v_mad_u32 v60, v3, s8, v60
	v_mad_u32 v62, v3, s9, v62
	;; [unrolled: 1-line block ×3, first 2 shown]
	s_and_not1_b32 vcc_lo, exec_lo, s2
	s_cbranch_vccz .LBB46_113
	s_branch .LBB46_116
.LBB46_111:
	s_mov_b32 s2, -1
                                        ; implicit-def: $vgpr61
                                        ; implicit-def: $vgpr62
                                        ; implicit-def: $vgpr60
.LBB46_112:
	s_delay_alu instid0(SALU_CYCLE_1)
	s_and_not1_b32 vcc_lo, exec_lo, s2
	s_cbranch_vccnz .LBB46_116
.LBB46_113:
	s_clause 0x1
	s_load_b96 s[0:2], s[34:35], 0x4
	s_load_b96 s[4:6], s[34:35], 0xc4
	s_cmp_lt_u32 s59, 2
	s_wait_kmcnt 0x0
	v_mul_hi_u32 v3, s1, v0
	s_delay_alu instid0(VALU_DEP_1) | instskip(NEXT) | instid1(VALU_DEP_1)
	v_add_nc_u32_e32 v3, v0, v3
	v_lshrrev_b32_e32 v3, s2, v3
	s_delay_alu instid0(VALU_DEP_1) | instskip(NEXT) | instid1(VALU_DEP_1)
	v_mul_lo_u32 v4, v3, s0
	v_sub_nc_u32_e32 v0, v0, v4
	s_delay_alu instid0(VALU_DEP_1)
	v_mul_lo_u32 v60, v0, s4
	v_mul_lo_u32 v61, v0, s6
	;; [unrolled: 1-line block ×3, first 2 shown]
	s_cbranch_scc1 .LBB46_116
; %bb.114:
	s_clause 0x1
	s_load_b96 s[0:2], s[34:35], 0x10
	s_load_b96 s[4:6], s[34:35], 0xd0
	s_wait_kmcnt 0x0
	v_mul_hi_u32 v0, s1, v3
	s_delay_alu instid0(VALU_DEP_1) | instskip(NEXT) | instid1(VALU_DEP_1)
	v_add_nc_u32_e32 v0, v3, v0
	v_lshrrev_b32_e32 v0, s2, v0
	s_delay_alu instid0(VALU_DEP_1) | instskip(NEXT) | instid1(VALU_DEP_1)
	v_mul_lo_u32 v0, v0, s0
	v_sub_nc_u32_e32 v0, v3, v0
	s_delay_alu instid0(VALU_DEP_1)
	v_mad_u32 v60, v0, s4, v60
	v_mad_u32 v62, v0, s5, v62
	;; [unrolled: 1-line block ×3, first 2 shown]
	s_branch .LBB46_116
.LBB46_115:
	v_dual_mov_b32 v61, 0 :: v_dual_mov_b32 v62, 0
	v_mov_b32_e32 v60, 0
	s_and_not1_b32 vcc_lo, exec_lo, s2
	s_cbranch_vccz .LBB46_113
.LBB46_116:
	s_clause 0x1
	s_load_b128 s[36:39], s[34:35], 0x188
	s_load_b96 s[48:50], s[34:35], 0x198
	s_get_pc_i64 s[46:47]
	s_add_nc_u64 s[46:47], s[46:47], _ZN12_GLOBAL__N_111calc_igammaIfEET_S1_S1_@rel64+4
                                        ; implicit-def: $vgpr42
	s_wait_kmcnt 0x0
	global_load_u16 v0, v2, s[38:39]
	s_wait_loadcnt 0x1
	global_load_b32 v40, v1, s[48:49]
	s_bitcmp1_b32 s50, 0
	s_cselect_b32 s0, -1, 0
	s_delay_alu instid0(SALU_CYCLE_1)
	s_xor_b32 s50, s0, -1
	s_mov_b32 s0, -1
	s_and_b32 vcc_lo, exec_lo, s50
	s_wait_loadcnt 0x1
	v_lshlrev_b32_e32 v43, 16, v0
	s_cbranch_vccz .LBB46_118
; %bb.117:
	s_wait_loadcnt 0x0
	s_delay_alu instid0(VALU_DEP_1) | instskip(SKIP_1) | instid1(VALU_DEP_1)
	v_dual_mov_b32 v0, v43 :: v_dual_mov_b32 v1, v40
	s_swap_pc_i64 s[30:31], s[46:47]
	v_mov_b32_e32 v42, v0
	s_mov_b32 s0, 0
.LBB46_118:
	s_delay_alu instid0(SALU_CYCLE_1)
	s_and_not1_b32 vcc_lo, exec_lo, s0
	s_get_pc_i64 s[34:35]
	s_add_nc_u64 s[34:35], s[34:35], _ZN12_GLOBAL__N_112calc_igammacIfEET_S1_S1_@rel64+4
	s_cbranch_vccnz .LBB46_120
; %bb.119:
	s_wait_loadcnt 0x0
	v_dual_mov_b32 v0, v43 :: v_dual_mov_b32 v1, v40
	s_swap_pc_i64 s[30:31], s[34:35]
	s_delay_alu instid0(VALU_DEP_1)
	v_mov_b32_e32 v42, v0
.LBB46_120:
	global_load_u16 v0, v56, s[38:39]
	s_wait_loadcnt 0x1
	global_load_b32 v40, v45, s[48:49]
	s_and_b32 vcc_lo, exec_lo, s50
	s_wait_loadcnt 0x1
	v_lshlrev_b32_e32 v44, 16, v0
	s_cbranch_vccz .LBB46_122
; %bb.121:
	s_wait_loadcnt 0x0
	s_wait_xcnt 0x2
	s_delay_alu instid0(VALU_DEP_1) | instskip(SKIP_1) | instid1(VALU_DEP_1)
	v_dual_mov_b32 v0, v44 :: v_dual_mov_b32 v1, v40
	s_swap_pc_i64 s[30:31], s[46:47]
	v_mov_b32_e32 v43, v0
	s_cbranch_execz .LBB46_123
	s_branch .LBB46_124
.LBB46_122:
                                        ; implicit-def: $vgpr43
.LBB46_123:
	s_wait_loadcnt 0x0
	s_wait_xcnt 0x2
	s_delay_alu instid0(VALU_DEP_1) | instskip(SKIP_1) | instid1(VALU_DEP_1)
	v_dual_mov_b32 v0, v44 :: v_dual_mov_b32 v1, v40
	s_swap_pc_i64 s[30:31], s[34:35]
	v_mov_b32_e32 v43, v0
.LBB46_124:
	global_load_u16 v0, v59, s[38:39]
	s_wait_loadcnt 0x1
	global_load_b32 v40, v58, s[48:49]
	s_and_b32 vcc_lo, exec_lo, s50
	s_wait_loadcnt 0x1
	s_wait_xcnt 0x2
	v_lshlrev_b32_e32 v45, 16, v0
	s_cbranch_vccz .LBB46_126
; %bb.125:
	s_wait_loadcnt 0x0
	s_delay_alu instid0(VALU_DEP_1) | instskip(SKIP_1) | instid1(VALU_DEP_1)
	v_dual_mov_b32 v0, v45 :: v_dual_mov_b32 v1, v40
	s_swap_pc_i64 s[30:31], s[46:47]
	v_mov_b32_e32 v44, v0
	s_cbranch_execz .LBB46_127
	s_branch .LBB46_128
.LBB46_126:
                                        ; implicit-def: $vgpr44
.LBB46_127:
	s_wait_loadcnt 0x0
	s_delay_alu instid0(VALU_DEP_1) | instskip(SKIP_1) | instid1(VALU_DEP_1)
	v_dual_mov_b32 v0, v45 :: v_dual_mov_b32 v1, v40
	s_swap_pc_i64 s[30:31], s[34:35]
	v_mov_b32_e32 v44, v0
.LBB46_128:
	global_load_u16 v0, v62, s[38:39]
	s_wait_loadcnt 0x1
	global_load_b32 v40, v61, s[48:49]
	s_and_b32 vcc_lo, exec_lo, s50
	s_wait_loadcnt 0x1
	v_lshlrev_b32_e32 v45, 16, v0
	s_cbranch_vccz .LBB46_130
; %bb.129:
	s_wait_loadcnt 0x0
	s_delay_alu instid0(VALU_DEP_1)
	v_dual_mov_b32 v0, v45 :: v_dual_mov_b32 v1, v40
	s_swap_pc_i64 s[30:31], s[46:47]
	s_cbranch_execz .LBB46_131
	s_branch .LBB46_132
.LBB46_130:
                                        ; implicit-def: $vgpr0
.LBB46_131:
	s_wait_loadcnt 0x0
	s_delay_alu instid0(VALU_DEP_1)
	v_dual_mov_b32 v0, v45 :: v_dual_mov_b32 v1, v40
	s_swap_pc_i64 s[30:31], s[34:35]
.LBB46_132:
	s_clause 0x3
	global_store_b32 v46, v42, s[36:37]
	global_store_b32 v47, v43, s[36:37]
	;; [unrolled: 1-line block ×4, first 2 shown]
	s_endpgm
	.section	.rodata,"a",@progbits
	.p2align	6, 0x0
	.amdhsa_kernel _ZN2at6native32elementwise_kernel_manual_unrollILi128ELi4EZNS0_12_GLOBAL__N_142type_specialized_broadcast_kernel_launcherILi1EE5applyIN12_GLOBAL__N_110CalcIgammaIfEESt5arrayIPcLm3EES9_IN3c1010ScalarTypeELm3EE16OffsetCalculatorILi3EjLb0EEEEvlT_T0_T1_T2_EUlibE_EEviSJ_
		.amdhsa_group_segment_fixed_size 0
		.amdhsa_private_segment_fixed_size 144
		.amdhsa_kernarg_size 432
		.amdhsa_user_sgpr_count 2
		.amdhsa_user_sgpr_dispatch_ptr 0
		.amdhsa_user_sgpr_queue_ptr 0
		.amdhsa_user_sgpr_kernarg_segment_ptr 1
		.amdhsa_user_sgpr_dispatch_id 0
		.amdhsa_user_sgpr_kernarg_preload_length 0
		.amdhsa_user_sgpr_kernarg_preload_offset 0
		.amdhsa_user_sgpr_private_segment_size 0
		.amdhsa_wavefront_size32 1
		.amdhsa_uses_dynamic_stack 0
		.amdhsa_enable_private_segment 1
		.amdhsa_system_sgpr_workgroup_id_x 1
		.amdhsa_system_sgpr_workgroup_id_y 0
		.amdhsa_system_sgpr_workgroup_id_z 0
		.amdhsa_system_sgpr_workgroup_info 0
		.amdhsa_system_vgpr_workitem_id 0
		.amdhsa_next_free_vgpr 84
		.amdhsa_next_free_sgpr 73
		.amdhsa_named_barrier_count 0
		.amdhsa_reserve_vcc 1
		.amdhsa_float_round_mode_32 0
		.amdhsa_float_round_mode_16_64 0
		.amdhsa_float_denorm_mode_32 3
		.amdhsa_float_denorm_mode_16_64 3
		.amdhsa_fp16_overflow 0
		.amdhsa_memory_ordered 1
		.amdhsa_forward_progress 1
		.amdhsa_inst_pref_size 48
		.amdhsa_round_robin_scheduling 0
		.amdhsa_exception_fp_ieee_invalid_op 0
		.amdhsa_exception_fp_denorm_src 0
		.amdhsa_exception_fp_ieee_div_zero 0
		.amdhsa_exception_fp_ieee_overflow 0
		.amdhsa_exception_fp_ieee_underflow 0
		.amdhsa_exception_fp_ieee_inexact 0
		.amdhsa_exception_int_div_zero 0
	.end_amdhsa_kernel
	.section	.text._ZN2at6native32elementwise_kernel_manual_unrollILi128ELi4EZNS0_12_GLOBAL__N_142type_specialized_broadcast_kernel_launcherILi1EE5applyIN12_GLOBAL__N_110CalcIgammaIfEESt5arrayIPcLm3EES9_IN3c1010ScalarTypeELm3EE16OffsetCalculatorILi3EjLb0EEEEvlT_T0_T1_T2_EUlibE_EEviSJ_,"axG",@progbits,_ZN2at6native32elementwise_kernel_manual_unrollILi128ELi4EZNS0_12_GLOBAL__N_142type_specialized_broadcast_kernel_launcherILi1EE5applyIN12_GLOBAL__N_110CalcIgammaIfEESt5arrayIPcLm3EES9_IN3c1010ScalarTypeELm3EE16OffsetCalculatorILi3EjLb0EEEEvlT_T0_T1_T2_EUlibE_EEviSJ_,comdat
.Lfunc_end46:
	.size	_ZN2at6native32elementwise_kernel_manual_unrollILi128ELi4EZNS0_12_GLOBAL__N_142type_specialized_broadcast_kernel_launcherILi1EE5applyIN12_GLOBAL__N_110CalcIgammaIfEESt5arrayIPcLm3EES9_IN3c1010ScalarTypeELm3EE16OffsetCalculatorILi3EjLb0EEEEvlT_T0_T1_T2_EUlibE_EEviSJ_, .Lfunc_end46-_ZN2at6native32elementwise_kernel_manual_unrollILi128ELi4EZNS0_12_GLOBAL__N_142type_specialized_broadcast_kernel_launcherILi1EE5applyIN12_GLOBAL__N_110CalcIgammaIfEESt5arrayIPcLm3EES9_IN3c1010ScalarTypeELm3EE16OffsetCalculatorILi3EjLb0EEEEvlT_T0_T1_T2_EUlibE_EEviSJ_
                                        ; -- End function
	.set _ZN2at6native32elementwise_kernel_manual_unrollILi128ELi4EZNS0_12_GLOBAL__N_142type_specialized_broadcast_kernel_launcherILi1EE5applyIN12_GLOBAL__N_110CalcIgammaIfEESt5arrayIPcLm3EES9_IN3c1010ScalarTypeELm3EE16OffsetCalculatorILi3EjLb0EEEEvlT_T0_T1_T2_EUlibE_EEviSJ_.num_vgpr, max(63, .L_ZN12_GLOBAL__N_111calc_igammaIfEET_S1_S1_.num_vgpr, .L_ZN12_GLOBAL__N_112calc_igammacIfEET_S1_S1_.num_vgpr)
	.set _ZN2at6native32elementwise_kernel_manual_unrollILi128ELi4EZNS0_12_GLOBAL__N_142type_specialized_broadcast_kernel_launcherILi1EE5applyIN12_GLOBAL__N_110CalcIgammaIfEESt5arrayIPcLm3EES9_IN3c1010ScalarTypeELm3EE16OffsetCalculatorILi3EjLb0EEEEvlT_T0_T1_T2_EUlibE_EEviSJ_.num_agpr, max(0, .L_ZN12_GLOBAL__N_111calc_igammaIfEET_S1_S1_.num_agpr, .L_ZN12_GLOBAL__N_112calc_igammacIfEET_S1_S1_.num_agpr)
	.set _ZN2at6native32elementwise_kernel_manual_unrollILi128ELi4EZNS0_12_GLOBAL__N_142type_specialized_broadcast_kernel_launcherILi1EE5applyIN12_GLOBAL__N_110CalcIgammaIfEESt5arrayIPcLm3EES9_IN3c1010ScalarTypeELm3EE16OffsetCalculatorILi3EjLb0EEEEvlT_T0_T1_T2_EUlibE_EEviSJ_.numbered_sgpr, max(73, .L_ZN12_GLOBAL__N_111calc_igammaIfEET_S1_S1_.numbered_sgpr, .L_ZN12_GLOBAL__N_112calc_igammacIfEET_S1_S1_.numbered_sgpr)
	.set _ZN2at6native32elementwise_kernel_manual_unrollILi128ELi4EZNS0_12_GLOBAL__N_142type_specialized_broadcast_kernel_launcherILi1EE5applyIN12_GLOBAL__N_110CalcIgammaIfEESt5arrayIPcLm3EES9_IN3c1010ScalarTypeELm3EE16OffsetCalculatorILi3EjLb0EEEEvlT_T0_T1_T2_EUlibE_EEviSJ_.num_named_barrier, max(0, .L_ZN12_GLOBAL__N_111calc_igammaIfEET_S1_S1_.num_named_barrier, .L_ZN12_GLOBAL__N_112calc_igammacIfEET_S1_S1_.num_named_barrier)
	.set _ZN2at6native32elementwise_kernel_manual_unrollILi128ELi4EZNS0_12_GLOBAL__N_142type_specialized_broadcast_kernel_launcherILi1EE5applyIN12_GLOBAL__N_110CalcIgammaIfEESt5arrayIPcLm3EES9_IN3c1010ScalarTypeELm3EE16OffsetCalculatorILi3EjLb0EEEEvlT_T0_T1_T2_EUlibE_EEviSJ_.private_seg_size, 0+max(.L_ZN12_GLOBAL__N_111calc_igammaIfEET_S1_S1_.private_seg_size, .L_ZN12_GLOBAL__N_112calc_igammacIfEET_S1_S1_.private_seg_size)
	.set _ZN2at6native32elementwise_kernel_manual_unrollILi128ELi4EZNS0_12_GLOBAL__N_142type_specialized_broadcast_kernel_launcherILi1EE5applyIN12_GLOBAL__N_110CalcIgammaIfEESt5arrayIPcLm3EES9_IN3c1010ScalarTypeELm3EE16OffsetCalculatorILi3EjLb0EEEEvlT_T0_T1_T2_EUlibE_EEviSJ_.uses_vcc, or(1, .L_ZN12_GLOBAL__N_111calc_igammaIfEET_S1_S1_.uses_vcc, .L_ZN12_GLOBAL__N_112calc_igammacIfEET_S1_S1_.uses_vcc)
	.set _ZN2at6native32elementwise_kernel_manual_unrollILi128ELi4EZNS0_12_GLOBAL__N_142type_specialized_broadcast_kernel_launcherILi1EE5applyIN12_GLOBAL__N_110CalcIgammaIfEESt5arrayIPcLm3EES9_IN3c1010ScalarTypeELm3EE16OffsetCalculatorILi3EjLb0EEEEvlT_T0_T1_T2_EUlibE_EEviSJ_.uses_flat_scratch, or(0, .L_ZN12_GLOBAL__N_111calc_igammaIfEET_S1_S1_.uses_flat_scratch, .L_ZN12_GLOBAL__N_112calc_igammacIfEET_S1_S1_.uses_flat_scratch)
	.set _ZN2at6native32elementwise_kernel_manual_unrollILi128ELi4EZNS0_12_GLOBAL__N_142type_specialized_broadcast_kernel_launcherILi1EE5applyIN12_GLOBAL__N_110CalcIgammaIfEESt5arrayIPcLm3EES9_IN3c1010ScalarTypeELm3EE16OffsetCalculatorILi3EjLb0EEEEvlT_T0_T1_T2_EUlibE_EEviSJ_.has_dyn_sized_stack, or(0, .L_ZN12_GLOBAL__N_111calc_igammaIfEET_S1_S1_.has_dyn_sized_stack, .L_ZN12_GLOBAL__N_112calc_igammacIfEET_S1_S1_.has_dyn_sized_stack)
	.set _ZN2at6native32elementwise_kernel_manual_unrollILi128ELi4EZNS0_12_GLOBAL__N_142type_specialized_broadcast_kernel_launcherILi1EE5applyIN12_GLOBAL__N_110CalcIgammaIfEESt5arrayIPcLm3EES9_IN3c1010ScalarTypeELm3EE16OffsetCalculatorILi3EjLb0EEEEvlT_T0_T1_T2_EUlibE_EEviSJ_.has_recursion, or(0, .L_ZN12_GLOBAL__N_111calc_igammaIfEET_S1_S1_.has_recursion, .L_ZN12_GLOBAL__N_112calc_igammacIfEET_S1_S1_.has_recursion)
	.set _ZN2at6native32elementwise_kernel_manual_unrollILi128ELi4EZNS0_12_GLOBAL__N_142type_specialized_broadcast_kernel_launcherILi1EE5applyIN12_GLOBAL__N_110CalcIgammaIfEESt5arrayIPcLm3EES9_IN3c1010ScalarTypeELm3EE16OffsetCalculatorILi3EjLb0EEEEvlT_T0_T1_T2_EUlibE_EEviSJ_.has_indirect_call, or(0, .L_ZN12_GLOBAL__N_111calc_igammaIfEET_S1_S1_.has_indirect_call, .L_ZN12_GLOBAL__N_112calc_igammacIfEET_S1_S1_.has_indirect_call)
	.section	.AMDGPU.csdata,"",@progbits
; Kernel info:
; codeLenInByte = 6076
; TotalNumSgprs: 75
; NumVgprs: 84
; ScratchSize: 144
; MemoryBound: 0
; FloatMode: 240
; IeeeMode: 1
; LDSByteSize: 0 bytes/workgroup (compile time only)
; SGPRBlocks: 0
; VGPRBlocks: 5
; NumSGPRsForWavesPerEU: 75
; NumVGPRsForWavesPerEU: 84
; NamedBarCnt: 0
; Occupancy: 10
; WaveLimiterHint : 1
; COMPUTE_PGM_RSRC2:SCRATCH_EN: 1
; COMPUTE_PGM_RSRC2:USER_SGPR: 2
; COMPUTE_PGM_RSRC2:TRAP_HANDLER: 0
; COMPUTE_PGM_RSRC2:TGID_X_EN: 1
; COMPUTE_PGM_RSRC2:TGID_Y_EN: 0
; COMPUTE_PGM_RSRC2:TGID_Z_EN: 0
; COMPUTE_PGM_RSRC2:TIDIG_COMP_CNT: 0
	.section	.text._ZN2at6native32elementwise_kernel_manual_unrollILi128ELi4EZNS0_12_GLOBAL__N_142type_specialized_broadcast_kernel_launcherILi2EE5applyIN12_GLOBAL__N_110CalcIgammaIfEESt5arrayIPcLm3EES9_IN3c1010ScalarTypeELm3EE16OffsetCalculatorILi3EjLb0EEEEvlT_T0_T1_T2_EUlibE_EEviSJ_,"axG",@progbits,_ZN2at6native32elementwise_kernel_manual_unrollILi128ELi4EZNS0_12_GLOBAL__N_142type_specialized_broadcast_kernel_launcherILi2EE5applyIN12_GLOBAL__N_110CalcIgammaIfEESt5arrayIPcLm3EES9_IN3c1010ScalarTypeELm3EE16OffsetCalculatorILi3EjLb0EEEEvlT_T0_T1_T2_EUlibE_EEviSJ_,comdat
	.globl	_ZN2at6native32elementwise_kernel_manual_unrollILi128ELi4EZNS0_12_GLOBAL__N_142type_specialized_broadcast_kernel_launcherILi2EE5applyIN12_GLOBAL__N_110CalcIgammaIfEESt5arrayIPcLm3EES9_IN3c1010ScalarTypeELm3EE16OffsetCalculatorILi3EjLb0EEEEvlT_T0_T1_T2_EUlibE_EEviSJ_ ; -- Begin function _ZN2at6native32elementwise_kernel_manual_unrollILi128ELi4EZNS0_12_GLOBAL__N_142type_specialized_broadcast_kernel_launcherILi2EE5applyIN12_GLOBAL__N_110CalcIgammaIfEESt5arrayIPcLm3EES9_IN3c1010ScalarTypeELm3EE16OffsetCalculatorILi3EjLb0EEEEvlT_T0_T1_T2_EUlibE_EEviSJ_
	.p2align	8
	.type	_ZN2at6native32elementwise_kernel_manual_unrollILi128ELi4EZNS0_12_GLOBAL__N_142type_specialized_broadcast_kernel_launcherILi2EE5applyIN12_GLOBAL__N_110CalcIgammaIfEESt5arrayIPcLm3EES9_IN3c1010ScalarTypeELm3EE16OffsetCalculatorILi3EjLb0EEEEvlT_T0_T1_T2_EUlibE_EEviSJ_,@function
_ZN2at6native32elementwise_kernel_manual_unrollILi128ELi4EZNS0_12_GLOBAL__N_142type_specialized_broadcast_kernel_launcherILi2EE5applyIN12_GLOBAL__N_110CalcIgammaIfEESt5arrayIPcLm3EES9_IN3c1010ScalarTypeELm3EE16OffsetCalculatorILi3EjLb0EEEEvlT_T0_T1_T2_EUlibE_EEviSJ_: ; @_ZN2at6native32elementwise_kernel_manual_unrollILi128ELi4EZNS0_12_GLOBAL__N_142type_specialized_broadcast_kernel_launcherILi2EE5applyIN12_GLOBAL__N_110CalcIgammaIfEESt5arrayIPcLm3EES9_IN3c1010ScalarTypeELm3EE16OffsetCalculatorILi3EjLb0EEEEvlT_T0_T1_T2_EUlibE_EEviSJ_
; %bb.0:
	s_clause 0x1
	s_load_b32 s59, s[0:1], 0x8
	s_load_b32 s71, s[0:1], 0x0
	s_bfe_u32 s2, ttmp6, 0x4000c
	s_and_b32 s3, ttmp6, 15
	s_add_co_i32 s2, s2, 1
	s_getreg_b32 s4, hwreg(HW_REG_IB_STS2, 6, 4)
	s_mul_i32 s2, ttmp9, s2
	s_add_nc_u64 s[34:35], s[0:1], 8
	s_add_co_i32 s3, s3, s2
	s_cmp_eq_u32 s4, 0
	s_mov_b32 s61, 0
	s_cselect_b32 s2, ttmp9, s3
	s_mov_b32 s32, 0
	v_lshl_or_b32 v44, s2, 9, v0
	s_wait_xcnt 0x0
	s_mov_b32 s0, exec_lo
	s_delay_alu instid0(VALU_DEP_1) | instskip(SKIP_2) | instid1(SALU_CYCLE_1)
	v_or_b32_e32 v0, 0x180, v44
	s_wait_kmcnt 0x0
	s_add_co_i32 s66, s59, -1
	s_cmp_gt_u32 s66, 1
	s_cselect_b32 s67, -1, 0
	v_cmpx_le_i32_e64 s71, v0
	s_xor_b32 s68, exec_lo, s0
	s_cbranch_execz .LBB47_70
; %bb.1:
	s_clause 0x5
	s_load_b128 s[48:51], s[34:35], 0x4
	s_load_b64 s[46:47], s[34:35], 0x14
	s_load_b96 s[56:58], s[34:35], 0x198
	s_load_b128 s[52:55], s[34:35], 0xc4
	s_load_b64 s[62:63], s[34:35], 0xd4
	s_load_b128 s[36:39], s[34:35], 0x188
	s_cmp_lg_u32 s59, 0
	s_mov_b32 s65, s61
	s_cselect_b32 s72, -1, 0
	s_min_u32 s70, s66, 15
	s_cmp_gt_u32 s59, 1
	s_cselect_b32 s69, -1, 0
	s_wait_kmcnt 0x0
	s_mov_b32 s60, s49
	s_mov_b32 s64, s46
	s_bitcmp1_b32 s58, 0
	s_mov_b32 s49, exec_lo
	s_cselect_b32 s0, -1, 0
	s_delay_alu instid0(SALU_CYCLE_1)
	s_xor_b32 s46, s0, -1
	v_cmpx_gt_i32_e64 s71, v44
	s_cbranch_execnz .LBB47_5
; %bb.2:
	s_or_b32 exec_lo, exec_lo, s49
	s_delay_alu instid0(SALU_CYCLE_1)
	s_mov_b32 s49, exec_lo
	v_cmpx_gt_i32_e64 s71, v44
	s_cbranch_execnz .LBB47_21
.LBB47_3:
	s_or_b32 exec_lo, exec_lo, s49
	s_delay_alu instid0(SALU_CYCLE_1)
	s_mov_b32 s49, exec_lo
	v_cmpx_gt_i32_e64 s71, v44
	s_cbranch_execnz .LBB47_37
.LBB47_4:
	s_or_b32 exec_lo, exec_lo, s49
	s_delay_alu instid0(SALU_CYCLE_1)
	s_mov_b32 s49, exec_lo
	v_cmpx_gt_i32_e64 s71, v44
	s_cbranch_execnz .LBB47_53
	s_branch .LBB47_69
.LBB47_5:
	s_and_not1_b32 vcc_lo, exec_lo, s67
	s_cbranch_vccnz .LBB47_11
; %bb.6:
	s_and_not1_b32 vcc_lo, exec_lo, s72
	s_cbranch_vccnz .LBB47_12
; %bb.7:
	v_dual_mov_b32 v43, 0 :: v_dual_mov_b32 v0, v44
	v_dual_mov_b32 v3, 0 :: v_dual_mov_b32 v2, 0
	s_add_co_i32 s2, s70, 1
	s_mov_b64 s[0:1], 0xffffffffffffffe8
	s_and_b32 s2, s2, 30
	s_add_nc_u64 s[0:1], s[34:35], s[0:1]
.LBB47_8:                               ; =>This Inner Loop Header: Depth=1
	s_clause 0x1
	s_load_b128 s[4:7], s[0:1], 0x1c
	s_load_b64 s[12:13], s[0:1], 0x2c
	s_add_co_i32 s2, s2, -2
	s_delay_alu instid0(SALU_CYCLE_1) | instskip(SKIP_2) | instid1(VALU_DEP_1)
	s_cmp_lg_u32 s2, 0
	s_wait_kmcnt 0x0
	v_mul_hi_u32 v1, s5, v0
	v_add_nc_u32_e32 v1, v0, v1
	s_delay_alu instid0(VALU_DEP_1) | instskip(NEXT) | instid1(VALU_DEP_1)
	v_lshrrev_b32_e32 v1, s6, v1
	v_mul_hi_u32 v4, s12, v1
	v_mul_lo_u32 v5, v1, s4
	s_clause 0x1
	s_load_b128 s[8:11], s[0:1], 0xdc
	s_load_b64 s[4:5], s[0:1], 0xec
	s_wait_xcnt 0x0
	s_add_nc_u64 s[0:1], s[0:1], 24
	s_delay_alu instid0(VALU_DEP_1) | instskip(NEXT) | instid1(VALU_DEP_1)
	v_dual_add_nc_u32 v4, v1, v4 :: v_dual_sub_nc_u32 v5, v0, v5
	v_lshrrev_b32_e32 v0, s13, v4
	s_wait_kmcnt 0x0
	s_delay_alu instid0(VALU_DEP_2) | instskip(NEXT) | instid1(VALU_DEP_2)
	v_mad_u32 v6, v5, s8, v43
	v_mul_lo_u32 v4, v0, s7
	v_mad_u32 v2, v5, s10, v2
	v_mad_u32 v3, v5, s9, v3
	s_delay_alu instid0(VALU_DEP_3) | instskip(NEXT) | instid1(VALU_DEP_1)
	v_sub_nc_u32_e32 v1, v1, v4
	v_mad_u32 v43, v1, s11, v6
	s_delay_alu instid0(VALU_DEP_4) | instskip(NEXT) | instid1(VALU_DEP_4)
	v_mad_u32 v2, v1, s5, v2
	v_mad_u32 v3, v1, s4, v3
	s_cbranch_scc1 .LBB47_8
; %bb.9:
	s_bitcmp1_b32 s70, 0
	s_cselect_b32 s2, -1, 0
	s_delay_alu instid0(SALU_CYCLE_1)
	s_and_b32 vcc_lo, exec_lo, s2
	s_cbranch_vccnz .LBB47_13
; %bb.10:
	s_clause 0x1
	s_load_b96 s[4:6], s[0:1], 0x1c
	s_load_b96 s[8:10], s[0:1], 0xdc
	s_wait_xcnt 0x0
	s_wait_kmcnt 0x0
	v_mul_hi_u32 v1, s5, v0
	s_delay_alu instid0(VALU_DEP_1) | instskip(NEXT) | instid1(VALU_DEP_1)
	v_add_nc_u32_e32 v1, v0, v1
	v_lshrrev_b32_e32 v1, s6, v1
	s_delay_alu instid0(VALU_DEP_1) | instskip(NEXT) | instid1(VALU_DEP_1)
	v_mul_lo_u32 v1, v1, s4
	v_sub_nc_u32_e32 v0, v0, v1
	s_delay_alu instid0(VALU_DEP_1)
	v_mad_u32 v43, v0, s8, v43
	v_mad_u32 v3, v0, s9, v3
	;; [unrolled: 1-line block ×3, first 2 shown]
	s_cbranch_execz .LBB47_14
	s_branch .LBB47_16
.LBB47_11:
                                        ; implicit-def: $vgpr2
                                        ; implicit-def: $vgpr3
                                        ; implicit-def: $vgpr43
	s_branch .LBB47_14
.LBB47_12:
	v_dual_mov_b32 v2, 0 :: v_dual_mov_b32 v3, 0
	v_mov_b32_e32 v43, 0
.LBB47_13:
	s_cbranch_execnz .LBB47_16
.LBB47_14:
	v_mov_b32_e32 v45, 0
	s_and_not1_b32 vcc_lo, exec_lo, s69
	s_delay_alu instid0(VALU_DEP_1) | instskip(NEXT) | instid1(VALU_DEP_1)
	v_mul_u64_e32 v[0:1], s[60:61], v[44:45]
	v_add_nc_u32_e32 v0, v44, v1
	s_delay_alu instid0(VALU_DEP_1) | instskip(NEXT) | instid1(VALU_DEP_1)
	v_lshrrev_b32_e32 v0, s50, v0
	v_mul_lo_u32 v1, v0, s48
	s_delay_alu instid0(VALU_DEP_1) | instskip(NEXT) | instid1(VALU_DEP_1)
	v_sub_nc_u32_e32 v1, v44, v1
	v_mul_lo_u32 v43, v1, s52
	v_mul_lo_u32 v2, v1, s54
	;; [unrolled: 1-line block ×3, first 2 shown]
	s_cbranch_vccnz .LBB47_16
; %bb.15:
	v_mov_b32_e32 v1, v45
	s_delay_alu instid0(VALU_DEP_1) | instskip(NEXT) | instid1(VALU_DEP_1)
	v_mul_u64_e32 v[4:5], s[64:65], v[0:1]
	v_add_nc_u32_e32 v1, v0, v5
	s_delay_alu instid0(VALU_DEP_1) | instskip(NEXT) | instid1(VALU_DEP_1)
	v_lshrrev_b32_e32 v1, s47, v1
	v_mul_lo_u32 v1, v1, s51
	s_delay_alu instid0(VALU_DEP_1) | instskip(NEXT) | instid1(VALU_DEP_1)
	v_sub_nc_u32_e32 v0, v0, v1
	v_mad_u32 v43, v0, s55, v43
	v_mad_u32 v3, v0, s62, v3
	;; [unrolled: 1-line block ×3, first 2 shown]
.LBB47_16:
	global_load_u16 v0, v3, s[38:39]
	global_load_b32 v40, v2, s[56:57]
	s_and_b32 vcc_lo, exec_lo, s46
	s_wait_loadcnt 0x1
	v_lshlrev_b32_e32 v42, 16, v0
	s_cbranch_vccz .LBB47_18
; %bb.17:
	s_wait_loadcnt 0x0
	s_delay_alu instid0(VALU_DEP_1) | instskip(SKIP_2) | instid1(SALU_CYCLE_1)
	v_dual_mov_b32 v0, v42 :: v_dual_mov_b32 v1, v40
	s_get_pc_i64 s[0:1]
	s_add_nc_u64 s[0:1], s[0:1], _ZN12_GLOBAL__N_111calc_igammaIfEET_S1_S1_@rel64+4
	s_swap_pc_i64 s[30:31], s[0:1]
	s_cbranch_execz .LBB47_19
	s_branch .LBB47_20
.LBB47_18:
                                        ; implicit-def: $vgpr0
.LBB47_19:
	s_wait_loadcnt 0x0
	s_delay_alu instid0(VALU_DEP_1) | instskip(SKIP_2) | instid1(SALU_CYCLE_1)
	v_dual_mov_b32 v0, v42 :: v_dual_mov_b32 v1, v40
	s_get_pc_i64 s[0:1]
	s_add_nc_u64 s[0:1], s[0:1], _ZN12_GLOBAL__N_112calc_igammacIfEET_S1_S1_@rel64+4
	s_swap_pc_i64 s[30:31], s[0:1]
.LBB47_20:
	s_delay_alu instid0(VALU_DEP_1) | instskip(SKIP_2) | instid1(VALU_DEP_3)
	v_bfe_u32 v1, v0, 16, 1
	v_cmp_o_f32_e32 vcc_lo, v0, v0
	v_add_nc_u32_e32 v44, 0x80, v44
	v_add3_u32 v1, v0, v1, 0x7fff
	s_delay_alu instid0(VALU_DEP_1) | instskip(NEXT) | instid1(VALU_DEP_1)
	v_lshrrev_b32_e32 v1, 16, v1
	v_cndmask_b32_e32 v0, 0x7fc0, v1, vcc_lo
	global_store_b16 v43, v0, s[36:37]
	s_wait_xcnt 0x0
	s_or_b32 exec_lo, exec_lo, s49
	s_delay_alu instid0(SALU_CYCLE_1)
	s_mov_b32 s49, exec_lo
	v_cmpx_gt_i32_e64 s71, v44
	s_cbranch_execz .LBB47_3
.LBB47_21:
	s_and_not1_b32 vcc_lo, exec_lo, s67
	s_cbranch_vccnz .LBB47_27
; %bb.22:
	s_and_not1_b32 vcc_lo, exec_lo, s72
	s_cbranch_vccnz .LBB47_28
; %bb.23:
	v_dual_mov_b32 v43, 0 :: v_dual_mov_b32 v0, v44
	v_dual_mov_b32 v3, 0 :: v_dual_mov_b32 v2, 0
	s_add_co_i32 s2, s70, 1
	s_mov_b64 s[0:1], 0xffffffffffffffe8
	s_and_b32 s2, s2, 30
	s_add_nc_u64 s[0:1], s[34:35], s[0:1]
.LBB47_24:                              ; =>This Inner Loop Header: Depth=1
	s_clause 0x1
	s_load_b128 s[4:7], s[0:1], 0x1c
	s_load_b64 s[12:13], s[0:1], 0x2c
	s_add_co_i32 s2, s2, -2
	s_delay_alu instid0(SALU_CYCLE_1) | instskip(SKIP_2) | instid1(VALU_DEP_1)
	s_cmp_eq_u32 s2, 0
	s_wait_kmcnt 0x0
	v_mul_hi_u32 v1, s5, v0
	v_add_nc_u32_e32 v1, v0, v1
	s_delay_alu instid0(VALU_DEP_1) | instskip(NEXT) | instid1(VALU_DEP_1)
	v_lshrrev_b32_e32 v1, s6, v1
	v_mul_hi_u32 v4, s12, v1
	v_mul_lo_u32 v5, v1, s4
	s_clause 0x1
	s_load_b128 s[8:11], s[0:1], 0xdc
	s_load_b64 s[4:5], s[0:1], 0xec
	s_wait_xcnt 0x0
	s_add_nc_u64 s[0:1], s[0:1], 24
	s_delay_alu instid0(VALU_DEP_1) | instskip(NEXT) | instid1(VALU_DEP_1)
	v_dual_add_nc_u32 v4, v1, v4 :: v_dual_sub_nc_u32 v5, v0, v5
	v_lshrrev_b32_e32 v0, s13, v4
	s_wait_kmcnt 0x0
	s_delay_alu instid0(VALU_DEP_2) | instskip(NEXT) | instid1(VALU_DEP_2)
	v_mad_u32 v6, v5, s8, v43
	v_mul_lo_u32 v4, v0, s7
	v_mad_u32 v2, v5, s10, v2
	v_mad_u32 v3, v5, s9, v3
	s_delay_alu instid0(VALU_DEP_3) | instskip(NEXT) | instid1(VALU_DEP_1)
	v_sub_nc_u32_e32 v1, v1, v4
	v_mad_u32 v43, v1, s11, v6
	s_delay_alu instid0(VALU_DEP_4) | instskip(NEXT) | instid1(VALU_DEP_4)
	v_mad_u32 v2, v1, s5, v2
	v_mad_u32 v3, v1, s4, v3
	s_cbranch_scc0 .LBB47_24
; %bb.25:
	s_bitcmp1_b32 s70, 0
	s_cselect_b32 s2, -1, 0
	s_delay_alu instid0(SALU_CYCLE_1)
	s_and_b32 vcc_lo, exec_lo, s2
	s_cbranch_vccnz .LBB47_29
; %bb.26:
	s_clause 0x1
	s_load_b96 s[4:6], s[0:1], 0x1c
	s_load_b96 s[8:10], s[0:1], 0xdc
	s_wait_kmcnt 0x0
	v_mul_hi_u32 v1, s5, v0
	s_delay_alu instid0(VALU_DEP_1) | instskip(NEXT) | instid1(VALU_DEP_1)
	v_add_nc_u32_e32 v1, v0, v1
	v_lshrrev_b32_e32 v1, s6, v1
	s_delay_alu instid0(VALU_DEP_1) | instskip(NEXT) | instid1(VALU_DEP_1)
	v_mul_lo_u32 v1, v1, s4
	v_sub_nc_u32_e32 v0, v0, v1
	s_delay_alu instid0(VALU_DEP_1)
	v_mad_u32 v43, v0, s8, v43
	v_mad_u32 v3, v0, s9, v3
	;; [unrolled: 1-line block ×3, first 2 shown]
	s_branch .LBB47_29
.LBB47_27:
                                        ; implicit-def: $vgpr2
                                        ; implicit-def: $vgpr3
                                        ; implicit-def: $vgpr43
	s_branch .LBB47_30
.LBB47_28:
	v_dual_mov_b32 v2, 0 :: v_dual_mov_b32 v3, 0
	v_mov_b32_e32 v43, 0
.LBB47_29:
	s_cbranch_execnz .LBB47_32
.LBB47_30:
	v_mov_b32_e32 v45, 0
	s_and_not1_b32 vcc_lo, exec_lo, s69
	s_delay_alu instid0(VALU_DEP_1) | instskip(NEXT) | instid1(VALU_DEP_1)
	v_mul_u64_e32 v[0:1], s[60:61], v[44:45]
	v_add_nc_u32_e32 v0, v44, v1
	s_delay_alu instid0(VALU_DEP_1) | instskip(NEXT) | instid1(VALU_DEP_1)
	v_lshrrev_b32_e32 v0, s50, v0
	v_mul_lo_u32 v1, v0, s48
	s_delay_alu instid0(VALU_DEP_1) | instskip(NEXT) | instid1(VALU_DEP_1)
	v_sub_nc_u32_e32 v1, v44, v1
	v_mul_lo_u32 v43, v1, s52
	v_mul_lo_u32 v2, v1, s54
	;; [unrolled: 1-line block ×3, first 2 shown]
	s_cbranch_vccnz .LBB47_32
; %bb.31:
	v_mov_b32_e32 v1, v45
	s_delay_alu instid0(VALU_DEP_1) | instskip(NEXT) | instid1(VALU_DEP_1)
	v_mul_u64_e32 v[4:5], s[64:65], v[0:1]
	v_add_nc_u32_e32 v1, v0, v5
	s_delay_alu instid0(VALU_DEP_1) | instskip(NEXT) | instid1(VALU_DEP_1)
	v_lshrrev_b32_e32 v1, s47, v1
	v_mul_lo_u32 v1, v1, s51
	s_delay_alu instid0(VALU_DEP_1) | instskip(NEXT) | instid1(VALU_DEP_1)
	v_sub_nc_u32_e32 v0, v0, v1
	v_mad_u32 v43, v0, s55, v43
	v_mad_u32 v3, v0, s62, v3
	v_mad_u32 v2, v0, s63, v2
.LBB47_32:
	global_load_u16 v0, v3, s[38:39]
	s_wait_loadcnt 0x1
	global_load_b32 v40, v2, s[56:57]
	s_and_not1_b32 vcc_lo, exec_lo, s46
	s_wait_loadcnt 0x1
	v_lshlrev_b32_e32 v42, 16, v0
	s_cbranch_vccnz .LBB47_34
; %bb.33:
	s_wait_loadcnt 0x0
	s_delay_alu instid0(VALU_DEP_1) | instskip(SKIP_2) | instid1(SALU_CYCLE_1)
	v_dual_mov_b32 v0, v42 :: v_dual_mov_b32 v1, v40
	s_get_pc_i64 s[0:1]
	s_add_nc_u64 s[0:1], s[0:1], _ZN12_GLOBAL__N_111calc_igammaIfEET_S1_S1_@rel64+4
	s_swap_pc_i64 s[30:31], s[0:1]
	s_cbranch_execz .LBB47_35
	s_branch .LBB47_36
.LBB47_34:
                                        ; implicit-def: $vgpr0
.LBB47_35:
	s_wait_loadcnt 0x0
	s_delay_alu instid0(VALU_DEP_1) | instskip(SKIP_2) | instid1(SALU_CYCLE_1)
	v_dual_mov_b32 v0, v42 :: v_dual_mov_b32 v1, v40
	s_get_pc_i64 s[0:1]
	s_add_nc_u64 s[0:1], s[0:1], _ZN12_GLOBAL__N_112calc_igammacIfEET_S1_S1_@rel64+4
	s_swap_pc_i64 s[30:31], s[0:1]
.LBB47_36:
	s_delay_alu instid0(VALU_DEP_1) | instskip(SKIP_2) | instid1(VALU_DEP_3)
	v_bfe_u32 v1, v0, 16, 1
	v_cmp_o_f32_e32 vcc_lo, v0, v0
	v_add_nc_u32_e32 v44, 0x80, v44
	v_add3_u32 v1, v0, v1, 0x7fff
	s_delay_alu instid0(VALU_DEP_1) | instskip(NEXT) | instid1(VALU_DEP_1)
	v_lshrrev_b32_e32 v1, 16, v1
	v_cndmask_b32_e32 v0, 0x7fc0, v1, vcc_lo
	global_store_b16 v43, v0, s[36:37]
	s_wait_xcnt 0x0
	s_or_b32 exec_lo, exec_lo, s49
	s_delay_alu instid0(SALU_CYCLE_1)
	s_mov_b32 s49, exec_lo
	v_cmpx_gt_i32_e64 s71, v44
	s_cbranch_execz .LBB47_4
.LBB47_37:
	s_and_not1_b32 vcc_lo, exec_lo, s67
	s_cbranch_vccnz .LBB47_43
; %bb.38:
	s_and_not1_b32 vcc_lo, exec_lo, s72
	s_cbranch_vccnz .LBB47_44
; %bb.39:
	v_dual_mov_b32 v43, 0 :: v_dual_mov_b32 v0, v44
	v_dual_mov_b32 v3, 0 :: v_dual_mov_b32 v2, 0
	s_add_co_i32 s2, s70, 1
	s_mov_b64 s[0:1], 0xffffffffffffffe8
	s_and_b32 s2, s2, 30
	s_add_nc_u64 s[0:1], s[34:35], s[0:1]
.LBB47_40:                              ; =>This Inner Loop Header: Depth=1
	s_clause 0x1
	s_load_b128 s[4:7], s[0:1], 0x1c
	s_load_b64 s[12:13], s[0:1], 0x2c
	s_add_co_i32 s2, s2, -2
	s_delay_alu instid0(SALU_CYCLE_1) | instskip(SKIP_2) | instid1(VALU_DEP_1)
	s_cmp_eq_u32 s2, 0
	s_wait_kmcnt 0x0
	v_mul_hi_u32 v1, s5, v0
	v_add_nc_u32_e32 v1, v0, v1
	s_delay_alu instid0(VALU_DEP_1) | instskip(NEXT) | instid1(VALU_DEP_1)
	v_lshrrev_b32_e32 v1, s6, v1
	v_mul_hi_u32 v4, s12, v1
	v_mul_lo_u32 v5, v1, s4
	s_clause 0x1
	s_load_b128 s[8:11], s[0:1], 0xdc
	s_load_b64 s[4:5], s[0:1], 0xec
	s_wait_xcnt 0x0
	s_add_nc_u64 s[0:1], s[0:1], 24
	s_delay_alu instid0(VALU_DEP_1) | instskip(NEXT) | instid1(VALU_DEP_1)
	v_dual_add_nc_u32 v4, v1, v4 :: v_dual_sub_nc_u32 v5, v0, v5
	v_lshrrev_b32_e32 v0, s13, v4
	s_wait_kmcnt 0x0
	s_delay_alu instid0(VALU_DEP_2) | instskip(NEXT) | instid1(VALU_DEP_2)
	v_mad_u32 v6, v5, s8, v43
	v_mul_lo_u32 v4, v0, s7
	v_mad_u32 v2, v5, s10, v2
	v_mad_u32 v3, v5, s9, v3
	s_delay_alu instid0(VALU_DEP_3) | instskip(NEXT) | instid1(VALU_DEP_1)
	v_sub_nc_u32_e32 v1, v1, v4
	v_mad_u32 v43, v1, s11, v6
	s_delay_alu instid0(VALU_DEP_4) | instskip(NEXT) | instid1(VALU_DEP_4)
	v_mad_u32 v2, v1, s5, v2
	v_mad_u32 v3, v1, s4, v3
	s_cbranch_scc0 .LBB47_40
; %bb.41:
	s_bitcmp1_b32 s70, 0
	s_cselect_b32 s2, -1, 0
	s_delay_alu instid0(SALU_CYCLE_1)
	s_and_b32 vcc_lo, exec_lo, s2
	s_cbranch_vccnz .LBB47_45
; %bb.42:
	s_clause 0x1
	s_load_b96 s[4:6], s[0:1], 0x1c
	s_load_b96 s[8:10], s[0:1], 0xdc
	s_wait_kmcnt 0x0
	v_mul_hi_u32 v1, s5, v0
	s_delay_alu instid0(VALU_DEP_1) | instskip(NEXT) | instid1(VALU_DEP_1)
	v_add_nc_u32_e32 v1, v0, v1
	v_lshrrev_b32_e32 v1, s6, v1
	s_delay_alu instid0(VALU_DEP_1) | instskip(NEXT) | instid1(VALU_DEP_1)
	v_mul_lo_u32 v1, v1, s4
	v_sub_nc_u32_e32 v0, v0, v1
	s_delay_alu instid0(VALU_DEP_1)
	v_mad_u32 v43, v0, s8, v43
	v_mad_u32 v3, v0, s9, v3
	;; [unrolled: 1-line block ×3, first 2 shown]
	s_branch .LBB47_45
.LBB47_43:
                                        ; implicit-def: $vgpr2
                                        ; implicit-def: $vgpr3
                                        ; implicit-def: $vgpr43
	s_branch .LBB47_46
.LBB47_44:
	v_dual_mov_b32 v2, 0 :: v_dual_mov_b32 v3, 0
	v_mov_b32_e32 v43, 0
.LBB47_45:
	s_cbranch_execnz .LBB47_48
.LBB47_46:
	v_mov_b32_e32 v45, 0
	s_and_not1_b32 vcc_lo, exec_lo, s69
	s_delay_alu instid0(VALU_DEP_1) | instskip(NEXT) | instid1(VALU_DEP_1)
	v_mul_u64_e32 v[0:1], s[60:61], v[44:45]
	v_add_nc_u32_e32 v0, v44, v1
	s_delay_alu instid0(VALU_DEP_1) | instskip(NEXT) | instid1(VALU_DEP_1)
	v_lshrrev_b32_e32 v0, s50, v0
	v_mul_lo_u32 v1, v0, s48
	s_delay_alu instid0(VALU_DEP_1) | instskip(NEXT) | instid1(VALU_DEP_1)
	v_sub_nc_u32_e32 v1, v44, v1
	v_mul_lo_u32 v43, v1, s52
	v_mul_lo_u32 v2, v1, s54
	;; [unrolled: 1-line block ×3, first 2 shown]
	s_cbranch_vccnz .LBB47_48
; %bb.47:
	v_mov_b32_e32 v1, v45
	s_delay_alu instid0(VALU_DEP_1) | instskip(NEXT) | instid1(VALU_DEP_1)
	v_mul_u64_e32 v[4:5], s[64:65], v[0:1]
	v_add_nc_u32_e32 v1, v0, v5
	s_delay_alu instid0(VALU_DEP_1) | instskip(NEXT) | instid1(VALU_DEP_1)
	v_lshrrev_b32_e32 v1, s47, v1
	v_mul_lo_u32 v1, v1, s51
	s_delay_alu instid0(VALU_DEP_1) | instskip(NEXT) | instid1(VALU_DEP_1)
	v_sub_nc_u32_e32 v0, v0, v1
	v_mad_u32 v43, v0, s55, v43
	v_mad_u32 v3, v0, s62, v3
	;; [unrolled: 1-line block ×3, first 2 shown]
.LBB47_48:
	global_load_u16 v0, v3, s[38:39]
	s_wait_loadcnt 0x1
	global_load_b32 v40, v2, s[56:57]
	s_and_not1_b32 vcc_lo, exec_lo, s46
	s_wait_loadcnt 0x1
	v_lshlrev_b32_e32 v42, 16, v0
	s_cbranch_vccnz .LBB47_50
; %bb.49:
	s_wait_loadcnt 0x0
	s_delay_alu instid0(VALU_DEP_1) | instskip(SKIP_2) | instid1(SALU_CYCLE_1)
	v_dual_mov_b32 v0, v42 :: v_dual_mov_b32 v1, v40
	s_get_pc_i64 s[0:1]
	s_add_nc_u64 s[0:1], s[0:1], _ZN12_GLOBAL__N_111calc_igammaIfEET_S1_S1_@rel64+4
	s_swap_pc_i64 s[30:31], s[0:1]
	s_cbranch_execz .LBB47_51
	s_branch .LBB47_52
.LBB47_50:
                                        ; implicit-def: $vgpr0
.LBB47_51:
	s_wait_loadcnt 0x0
	s_delay_alu instid0(VALU_DEP_1) | instskip(SKIP_2) | instid1(SALU_CYCLE_1)
	v_dual_mov_b32 v0, v42 :: v_dual_mov_b32 v1, v40
	s_get_pc_i64 s[0:1]
	s_add_nc_u64 s[0:1], s[0:1], _ZN12_GLOBAL__N_112calc_igammacIfEET_S1_S1_@rel64+4
	s_swap_pc_i64 s[30:31], s[0:1]
.LBB47_52:
	s_delay_alu instid0(VALU_DEP_1) | instskip(SKIP_2) | instid1(VALU_DEP_3)
	v_bfe_u32 v1, v0, 16, 1
	v_cmp_o_f32_e32 vcc_lo, v0, v0
	v_add_nc_u32_e32 v44, 0x80, v44
	v_add3_u32 v1, v0, v1, 0x7fff
	s_delay_alu instid0(VALU_DEP_1) | instskip(NEXT) | instid1(VALU_DEP_1)
	v_lshrrev_b32_e32 v1, 16, v1
	v_cndmask_b32_e32 v0, 0x7fc0, v1, vcc_lo
	global_store_b16 v43, v0, s[36:37]
	s_wait_xcnt 0x0
	s_or_b32 exec_lo, exec_lo, s49
	s_delay_alu instid0(SALU_CYCLE_1)
	s_mov_b32 s49, exec_lo
	v_cmpx_gt_i32_e64 s71, v44
	s_cbranch_execz .LBB47_69
.LBB47_53:
	s_and_not1_b32 vcc_lo, exec_lo, s67
	s_cbranch_vccnz .LBB47_59
; %bb.54:
	s_and_not1_b32 vcc_lo, exec_lo, s72
	s_cbranch_vccnz .LBB47_60
; %bb.55:
	v_dual_mov_b32 v43, 0 :: v_dual_mov_b32 v0, v44
	v_dual_mov_b32 v3, 0 :: v_dual_mov_b32 v2, 0
	s_add_co_i32 s2, s70, 1
	s_mov_b64 s[0:1], 0xffffffffffffffe8
	s_and_b32 s2, s2, 30
	s_add_nc_u64 s[0:1], s[34:35], s[0:1]
.LBB47_56:                              ; =>This Inner Loop Header: Depth=1
	s_clause 0x1
	s_load_b128 s[4:7], s[0:1], 0x1c
	s_load_b64 s[12:13], s[0:1], 0x2c
	s_add_co_i32 s2, s2, -2
	s_delay_alu instid0(SALU_CYCLE_1) | instskip(SKIP_2) | instid1(VALU_DEP_1)
	s_cmp_eq_u32 s2, 0
	s_wait_kmcnt 0x0
	v_mul_hi_u32 v1, s5, v0
	v_add_nc_u32_e32 v1, v0, v1
	s_delay_alu instid0(VALU_DEP_1) | instskip(NEXT) | instid1(VALU_DEP_1)
	v_lshrrev_b32_e32 v1, s6, v1
	v_mul_hi_u32 v4, s12, v1
	v_mul_lo_u32 v5, v1, s4
	s_clause 0x1
	s_load_b128 s[8:11], s[0:1], 0xdc
	s_load_b64 s[4:5], s[0:1], 0xec
	s_wait_xcnt 0x0
	s_add_nc_u64 s[0:1], s[0:1], 24
	s_delay_alu instid0(VALU_DEP_1) | instskip(NEXT) | instid1(VALU_DEP_1)
	v_dual_add_nc_u32 v4, v1, v4 :: v_dual_sub_nc_u32 v5, v0, v5
	v_lshrrev_b32_e32 v0, s13, v4
	s_wait_kmcnt 0x0
	s_delay_alu instid0(VALU_DEP_2) | instskip(NEXT) | instid1(VALU_DEP_2)
	v_mad_u32 v6, v5, s8, v43
	v_mul_lo_u32 v4, v0, s7
	v_mad_u32 v2, v5, s10, v2
	v_mad_u32 v3, v5, s9, v3
	s_delay_alu instid0(VALU_DEP_3) | instskip(NEXT) | instid1(VALU_DEP_1)
	v_sub_nc_u32_e32 v1, v1, v4
	v_mad_u32 v43, v1, s11, v6
	s_delay_alu instid0(VALU_DEP_4) | instskip(NEXT) | instid1(VALU_DEP_4)
	v_mad_u32 v2, v1, s5, v2
	v_mad_u32 v3, v1, s4, v3
	s_cbranch_scc0 .LBB47_56
; %bb.57:
	s_bitcmp1_b32 s70, 0
	s_cselect_b32 s2, -1, 0
	s_delay_alu instid0(SALU_CYCLE_1)
	s_and_b32 vcc_lo, exec_lo, s2
	s_cbranch_vccnz .LBB47_61
; %bb.58:
	s_clause 0x1
	s_load_b96 s[4:6], s[0:1], 0x1c
	s_load_b96 s[8:10], s[0:1], 0xdc
	s_wait_kmcnt 0x0
	v_mul_hi_u32 v1, s5, v0
	s_delay_alu instid0(VALU_DEP_1) | instskip(NEXT) | instid1(VALU_DEP_1)
	v_add_nc_u32_e32 v1, v0, v1
	v_lshrrev_b32_e32 v1, s6, v1
	s_delay_alu instid0(VALU_DEP_1) | instskip(NEXT) | instid1(VALU_DEP_1)
	v_mul_lo_u32 v1, v1, s4
	v_sub_nc_u32_e32 v0, v0, v1
	s_delay_alu instid0(VALU_DEP_1)
	v_mad_u32 v43, v0, s8, v43
	v_mad_u32 v3, v0, s9, v3
	;; [unrolled: 1-line block ×3, first 2 shown]
	s_branch .LBB47_61
.LBB47_59:
                                        ; implicit-def: $vgpr2
                                        ; implicit-def: $vgpr3
                                        ; implicit-def: $vgpr43
	s_branch .LBB47_62
.LBB47_60:
	v_dual_mov_b32 v2, 0 :: v_dual_mov_b32 v3, 0
	v_mov_b32_e32 v43, 0
.LBB47_61:
	s_cbranch_execnz .LBB47_64
.LBB47_62:
	v_mov_b32_e32 v45, 0
	s_and_not1_b32 vcc_lo, exec_lo, s69
	s_delay_alu instid0(VALU_DEP_1) | instskip(NEXT) | instid1(VALU_DEP_1)
	v_mul_u64_e32 v[0:1], s[60:61], v[44:45]
	v_add_nc_u32_e32 v0, v44, v1
	s_delay_alu instid0(VALU_DEP_1) | instskip(NEXT) | instid1(VALU_DEP_1)
	v_lshrrev_b32_e32 v0, s50, v0
	v_mul_lo_u32 v1, v0, s48
	s_delay_alu instid0(VALU_DEP_1) | instskip(NEXT) | instid1(VALU_DEP_1)
	v_sub_nc_u32_e32 v1, v44, v1
	v_mul_lo_u32 v43, v1, s52
	v_mul_lo_u32 v2, v1, s54
	v_mul_lo_u32 v3, v1, s53
	s_cbranch_vccnz .LBB47_64
; %bb.63:
	v_mov_b32_e32 v1, v45
	s_delay_alu instid0(VALU_DEP_1) | instskip(NEXT) | instid1(VALU_DEP_1)
	v_mul_u64_e32 v[4:5], s[64:65], v[0:1]
	v_add_nc_u32_e32 v1, v0, v5
	s_delay_alu instid0(VALU_DEP_1) | instskip(NEXT) | instid1(VALU_DEP_1)
	v_lshrrev_b32_e32 v1, s47, v1
	v_mul_lo_u32 v1, v1, s51
	s_delay_alu instid0(VALU_DEP_1) | instskip(NEXT) | instid1(VALU_DEP_1)
	v_sub_nc_u32_e32 v0, v0, v1
	v_mad_u32 v43, v0, s55, v43
	v_mad_u32 v3, v0, s62, v3
	;; [unrolled: 1-line block ×3, first 2 shown]
.LBB47_64:
	global_load_u16 v0, v3, s[38:39]
	s_wait_loadcnt 0x1
	global_load_b32 v40, v2, s[56:57]
	s_and_not1_b32 vcc_lo, exec_lo, s46
	s_wait_loadcnt 0x1
	v_lshlrev_b32_e32 v42, 16, v0
	s_cbranch_vccnz .LBB47_66
; %bb.65:
	s_wait_loadcnt 0x0
	s_delay_alu instid0(VALU_DEP_1) | instskip(SKIP_2) | instid1(SALU_CYCLE_1)
	v_dual_mov_b32 v0, v42 :: v_dual_mov_b32 v1, v40
	s_get_pc_i64 s[0:1]
	s_add_nc_u64 s[0:1], s[0:1], _ZN12_GLOBAL__N_111calc_igammaIfEET_S1_S1_@rel64+4
	s_swap_pc_i64 s[30:31], s[0:1]
	s_cbranch_execz .LBB47_67
	s_branch .LBB47_68
.LBB47_66:
                                        ; implicit-def: $vgpr0
.LBB47_67:
	s_wait_loadcnt 0x0
	s_delay_alu instid0(VALU_DEP_1) | instskip(SKIP_2) | instid1(SALU_CYCLE_1)
	v_dual_mov_b32 v0, v42 :: v_dual_mov_b32 v1, v40
	s_get_pc_i64 s[0:1]
	s_add_nc_u64 s[0:1], s[0:1], _ZN12_GLOBAL__N_112calc_igammacIfEET_S1_S1_@rel64+4
	s_swap_pc_i64 s[30:31], s[0:1]
.LBB47_68:
	s_delay_alu instid0(VALU_DEP_1) | instskip(SKIP_1) | instid1(VALU_DEP_2)
	v_bfe_u32 v1, v0, 16, 1
	v_cmp_o_f32_e32 vcc_lo, v0, v0
	v_add3_u32 v1, v0, v1, 0x7fff
	s_delay_alu instid0(VALU_DEP_1) | instskip(NEXT) | instid1(VALU_DEP_1)
	v_lshrrev_b32_e32 v1, 16, v1
	v_cndmask_b32_e32 v0, 0x7fc0, v1, vcc_lo
	global_store_b16 v43, v0, s[36:37]
.LBB47_69:
	s_wait_xcnt 0x0
	s_or_b32 exec_lo, exec_lo, s49
                                        ; implicit-def: $vgpr0
                                        ; implicit-def: $vgpr44
.LBB47_70:
	s_and_not1_saveexec_b32 s0, s68
	s_cbranch_execz .LBB47_77
; %bb.71:
	v_cndmask_b32_e64 v3, 0, 1, s67
	s_and_not1_b32 vcc_lo, exec_lo, s67
	s_cbranch_vccnz .LBB47_78
; %bb.72:
	s_cmp_lg_u32 s59, 0
	s_mov_b32 s2, 0
	s_cbranch_scc0 .LBB47_82
; %bb.73:
	s_min_u32 s3, s66, 15
	v_dual_mov_b32 v46, 0 :: v_dual_mov_b32 v4, v44
	v_dual_mov_b32 v2, 0 :: v_dual_mov_b32 v1, 0
	s_add_co_i32 s4, s3, 1
	s_mov_b64 s[0:1], 0xffffffffffffffe8
	s_and_b32 s4, s4, 30
	s_add_nc_u64 s[0:1], s[34:35], s[0:1]
.LBB47_74:                              ; =>This Inner Loop Header: Depth=1
	s_clause 0x1
	s_load_b128 s[8:11], s[0:1], 0x1c
	s_load_b64 s[6:7], s[0:1], 0x2c
	s_add_co_i32 s4, s4, -2
	s_delay_alu instid0(SALU_CYCLE_1) | instskip(SKIP_2) | instid1(VALU_DEP_1)
	s_cmp_lg_u32 s4, 0
	s_wait_kmcnt 0x0
	v_mul_hi_u32 v5, s9, v4
	v_add_nc_u32_e32 v5, v4, v5
	s_delay_alu instid0(VALU_DEP_1) | instskip(NEXT) | instid1(VALU_DEP_1)
	v_lshrrev_b32_e32 v5, s10, v5
	v_mul_hi_u32 v6, s6, v5
	v_mul_lo_u32 v7, v5, s8
	s_clause 0x1
	s_load_b128 s[12:15], s[0:1], 0xdc
	s_load_b64 s[8:9], s[0:1], 0xec
	s_wait_xcnt 0x0
	s_add_nc_u64 s[0:1], s[0:1], 24
	s_delay_alu instid0(VALU_DEP_1) | instskip(NEXT) | instid1(VALU_DEP_1)
	v_dual_add_nc_u32 v6, v5, v6 :: v_dual_sub_nc_u32 v7, v4, v7
	v_lshrrev_b32_e32 v4, s7, v6
	s_wait_kmcnt 0x0
	s_delay_alu instid0(VALU_DEP_2) | instskip(NEXT) | instid1(VALU_DEP_2)
	v_mad_u32 v8, v7, s12, v46
	v_mul_lo_u32 v6, v4, s11
	v_mad_u32 v1, v7, s14, v1
	v_mad_u32 v2, v7, s13, v2
	s_delay_alu instid0(VALU_DEP_3) | instskip(NEXT) | instid1(VALU_DEP_1)
	v_sub_nc_u32_e32 v5, v5, v6
	v_mad_u32 v46, v5, s15, v8
	s_delay_alu instid0(VALU_DEP_4) | instskip(NEXT) | instid1(VALU_DEP_4)
	v_mad_u32 v1, v5, s9, v1
	v_mad_u32 v2, v5, s8, v2
	s_cbranch_scc1 .LBB47_74
; %bb.75:
	s_bitcmp1_b32 s3, 0
	s_cselect_b32 s3, -1, 0
	s_delay_alu instid0(SALU_CYCLE_1)
	s_and_b32 vcc_lo, exec_lo, s3
	s_cbranch_vccnz .LBB47_79
; %bb.76:
	s_clause 0x1
	s_load_b96 s[4:6], s[0:1], 0x1c
	s_load_b96 s[8:10], s[0:1], 0xdc
	s_wait_kmcnt 0x0
	v_mul_hi_u32 v5, s5, v4
	s_delay_alu instid0(VALU_DEP_1) | instskip(NEXT) | instid1(VALU_DEP_1)
	v_add_nc_u32_e32 v5, v4, v5
	v_lshrrev_b32_e32 v5, s6, v5
	s_delay_alu instid0(VALU_DEP_1) | instskip(NEXT) | instid1(VALU_DEP_1)
	v_mul_lo_u32 v5, v5, s4
	v_sub_nc_u32_e32 v4, v4, v5
	s_delay_alu instid0(VALU_DEP_1)
	v_mad_u32 v46, v4, s8, v46
	v_mad_u32 v2, v4, s9, v2
	;; [unrolled: 1-line block ×3, first 2 shown]
	s_and_not1_b32 vcc_lo, exec_lo, s2
	s_cbranch_vccz .LBB47_80
	s_branch .LBB47_83
.LBB47_77:
	s_endpgm
.LBB47_78:
	s_mov_b32 s2, -1
                                        ; implicit-def: $vgpr1
                                        ; implicit-def: $vgpr2
                                        ; implicit-def: $vgpr46
.LBB47_79:
	s_delay_alu instid0(SALU_CYCLE_1)
	s_and_not1_b32 vcc_lo, exec_lo, s2
	s_cbranch_vccnz .LBB47_83
.LBB47_80:
	s_clause 0x1
	s_load_b96 s[0:2], s[34:35], 0x4
	s_load_b96 s[4:6], s[34:35], 0xc4
	s_cmp_lt_u32 s59, 2
	s_wait_kmcnt 0x0
	v_mul_hi_u32 v1, s1, v44
	s_delay_alu instid0(VALU_DEP_1) | instskip(NEXT) | instid1(VALU_DEP_1)
	v_add_nc_u32_e32 v1, v44, v1
	v_lshrrev_b32_e32 v4, s2, v1
	s_delay_alu instid0(VALU_DEP_1) | instskip(NEXT) | instid1(VALU_DEP_1)
	v_mul_lo_u32 v1, v4, s0
	v_sub_nc_u32_e32 v2, v44, v1
	s_delay_alu instid0(VALU_DEP_1)
	v_mul_lo_u32 v46, v2, s4
	v_mul_lo_u32 v1, v2, s6
	;; [unrolled: 1-line block ×3, first 2 shown]
	s_cbranch_scc1 .LBB47_83
; %bb.81:
	s_clause 0x1
	s_load_b96 s[0:2], s[34:35], 0x10
	s_load_b96 s[4:6], s[34:35], 0xd0
	s_wait_kmcnt 0x0
	v_mul_hi_u32 v5, s1, v4
	s_delay_alu instid0(VALU_DEP_1) | instskip(NEXT) | instid1(VALU_DEP_1)
	v_add_nc_u32_e32 v5, v4, v5
	v_lshrrev_b32_e32 v5, s2, v5
	s_delay_alu instid0(VALU_DEP_1) | instskip(NEXT) | instid1(VALU_DEP_1)
	v_mul_lo_u32 v5, v5, s0
	v_sub_nc_u32_e32 v4, v4, v5
	s_delay_alu instid0(VALU_DEP_1)
	v_mad_u32 v46, v4, s4, v46
	v_mad_u32 v2, v4, s5, v2
	;; [unrolled: 1-line block ×3, first 2 shown]
	s_branch .LBB47_83
.LBB47_82:
	v_dual_mov_b32 v1, 0 :: v_dual_mov_b32 v2, 0
	v_mov_b32_e32 v46, 0
	s_and_not1_b32 vcc_lo, exec_lo, s2
	s_cbranch_vccz .LBB47_80
.LBB47_83:
	v_cmp_ne_u32_e32 vcc_lo, 1, v3
	v_add_nc_u32_e32 v4, 0x80, v44
	s_cbranch_vccnz .LBB47_89
; %bb.84:
	s_cmp_lg_u32 s59, 0
	s_mov_b32 s2, 0
	s_cbranch_scc0 .LBB47_93
; %bb.85:
	s_min_u32 s3, s66, 15
	v_dual_mov_b32 v47, 0 :: v_dual_mov_b32 v5, v4
	v_dual_mov_b32 v56, 0 :: v_dual_mov_b32 v45, 0
	s_add_co_i32 s4, s3, 1
	s_mov_b64 s[0:1], 0xffffffffffffffe8
	s_and_b32 s4, s4, 30
	s_add_nc_u64 s[0:1], s[34:35], s[0:1]
.LBB47_86:                              ; =>This Inner Loop Header: Depth=1
	s_clause 0x1
	s_load_b128 s[8:11], s[0:1], 0x1c
	s_load_b64 s[6:7], s[0:1], 0x2c
	s_add_co_i32 s4, s4, -2
	s_delay_alu instid0(SALU_CYCLE_1) | instskip(SKIP_2) | instid1(VALU_DEP_1)
	s_cmp_lg_u32 s4, 0
	s_wait_kmcnt 0x0
	v_mul_hi_u32 v6, s9, v5
	v_add_nc_u32_e32 v6, v5, v6
	s_delay_alu instid0(VALU_DEP_1) | instskip(NEXT) | instid1(VALU_DEP_1)
	v_lshrrev_b32_e32 v6, s10, v6
	v_mul_hi_u32 v7, s6, v6
	v_mul_lo_u32 v8, v6, s8
	s_clause 0x1
	s_load_b128 s[12:15], s[0:1], 0xdc
	s_load_b64 s[8:9], s[0:1], 0xec
	s_wait_xcnt 0x0
	s_add_nc_u64 s[0:1], s[0:1], 24
	s_delay_alu instid0(VALU_DEP_1) | instskip(NEXT) | instid1(VALU_DEP_1)
	v_dual_add_nc_u32 v7, v6, v7 :: v_dual_sub_nc_u32 v8, v5, v8
	v_lshrrev_b32_e32 v5, s7, v7
	s_wait_kmcnt 0x0
	s_delay_alu instid0(VALU_DEP_2) | instskip(NEXT) | instid1(VALU_DEP_2)
	v_mad_u32 v9, v8, s12, v47
	v_mul_lo_u32 v7, v5, s11
	v_mad_u32 v10, v8, s14, v45
	v_mad_u32 v8, v8, s13, v56
	s_delay_alu instid0(VALU_DEP_3) | instskip(NEXT) | instid1(VALU_DEP_1)
	v_sub_nc_u32_e32 v6, v6, v7
	v_mad_u32 v47, v6, s15, v9
	s_delay_alu instid0(VALU_DEP_4) | instskip(NEXT) | instid1(VALU_DEP_4)
	v_mad_u32 v45, v6, s9, v10
	v_mad_u32 v56, v6, s8, v8
	s_cbranch_scc1 .LBB47_86
; %bb.87:
	s_bitcmp1_b32 s3, 0
	s_cselect_b32 s3, -1, 0
	s_delay_alu instid0(SALU_CYCLE_1)
	s_and_b32 vcc_lo, exec_lo, s3
	s_cbranch_vccnz .LBB47_90
; %bb.88:
	s_clause 0x1
	s_load_b96 s[4:6], s[0:1], 0x1c
	s_load_b96 s[8:10], s[0:1], 0xdc
	s_wait_kmcnt 0x0
	v_mul_hi_u32 v6, s5, v5
	s_delay_alu instid0(VALU_DEP_1) | instskip(NEXT) | instid1(VALU_DEP_1)
	v_add_nc_u32_e32 v6, v5, v6
	v_lshrrev_b32_e32 v6, s6, v6
	s_delay_alu instid0(VALU_DEP_1) | instskip(NEXT) | instid1(VALU_DEP_1)
	v_mul_lo_u32 v6, v6, s4
	v_sub_nc_u32_e32 v5, v5, v6
	s_delay_alu instid0(VALU_DEP_1)
	v_mad_u32 v47, v5, s8, v47
	v_mad_u32 v56, v5, s9, v56
	;; [unrolled: 1-line block ×3, first 2 shown]
	s_and_not1_b32 vcc_lo, exec_lo, s2
	s_cbranch_vccz .LBB47_91
	s_branch .LBB47_94
.LBB47_89:
	s_mov_b32 s2, -1
                                        ; implicit-def: $vgpr45
                                        ; implicit-def: $vgpr56
                                        ; implicit-def: $vgpr47
.LBB47_90:
	s_delay_alu instid0(SALU_CYCLE_1)
	s_and_not1_b32 vcc_lo, exec_lo, s2
	s_cbranch_vccnz .LBB47_94
.LBB47_91:
	s_clause 0x1
	s_load_b96 s[0:2], s[34:35], 0x4
	s_load_b96 s[4:6], s[34:35], 0xc4
	s_cmp_lt_u32 s59, 2
	s_wait_kmcnt 0x0
	v_mul_hi_u32 v5, s1, v4
	s_delay_alu instid0(VALU_DEP_1) | instskip(NEXT) | instid1(VALU_DEP_1)
	v_add_nc_u32_e32 v5, v4, v5
	v_lshrrev_b32_e32 v5, s2, v5
	s_delay_alu instid0(VALU_DEP_1) | instskip(NEXT) | instid1(VALU_DEP_1)
	v_mul_lo_u32 v6, v5, s0
	v_sub_nc_u32_e32 v4, v4, v6
	s_delay_alu instid0(VALU_DEP_1)
	v_mul_lo_u32 v47, v4, s4
	v_mul_lo_u32 v45, v4, s6
	;; [unrolled: 1-line block ×3, first 2 shown]
	s_cbranch_scc1 .LBB47_94
; %bb.92:
	s_clause 0x1
	s_load_b96 s[0:2], s[34:35], 0x10
	s_load_b96 s[4:6], s[34:35], 0xd0
	s_wait_kmcnt 0x0
	v_mul_hi_u32 v4, s1, v5
	s_delay_alu instid0(VALU_DEP_1) | instskip(NEXT) | instid1(VALU_DEP_1)
	v_add_nc_u32_e32 v4, v5, v4
	v_lshrrev_b32_e32 v4, s2, v4
	s_delay_alu instid0(VALU_DEP_1) | instskip(NEXT) | instid1(VALU_DEP_1)
	v_mul_lo_u32 v4, v4, s0
	v_sub_nc_u32_e32 v4, v5, v4
	s_delay_alu instid0(VALU_DEP_1)
	v_mad_u32 v47, v4, s4, v47
	v_mad_u32 v56, v4, s5, v56
	;; [unrolled: 1-line block ×3, first 2 shown]
	s_branch .LBB47_94
.LBB47_93:
	v_dual_mov_b32 v45, 0 :: v_dual_mov_b32 v56, 0
	v_mov_b32_e32 v47, 0
	s_and_not1_b32 vcc_lo, exec_lo, s2
	s_cbranch_vccz .LBB47_91
.LBB47_94:
	v_cmp_ne_u32_e32 vcc_lo, 1, v3
	v_add_nc_u32_e32 v4, 0x100, v44
	s_cbranch_vccnz .LBB47_100
; %bb.95:
	s_cmp_lg_u32 s59, 0
	s_mov_b32 s2, 0
	s_cbranch_scc0 .LBB47_104
; %bb.96:
	s_min_u32 s3, s66, 15
	v_dual_mov_b32 v57, 0 :: v_dual_mov_b32 v5, v4
	v_dual_mov_b32 v59, 0 :: v_dual_mov_b32 v58, 0
	s_add_co_i32 s4, s3, 1
	s_mov_b64 s[0:1], 0xffffffffffffffe8
	s_and_b32 s4, s4, 30
	s_add_nc_u64 s[0:1], s[34:35], s[0:1]
.LBB47_97:                              ; =>This Inner Loop Header: Depth=1
	s_clause 0x1
	s_load_b128 s[8:11], s[0:1], 0x1c
	s_load_b64 s[6:7], s[0:1], 0x2c
	s_add_co_i32 s4, s4, -2
	s_delay_alu instid0(SALU_CYCLE_1) | instskip(SKIP_2) | instid1(VALU_DEP_1)
	s_cmp_lg_u32 s4, 0
	s_wait_kmcnt 0x0
	v_mul_hi_u32 v6, s9, v5
	v_add_nc_u32_e32 v6, v5, v6
	s_delay_alu instid0(VALU_DEP_1) | instskip(NEXT) | instid1(VALU_DEP_1)
	v_lshrrev_b32_e32 v6, s10, v6
	v_mul_hi_u32 v7, s6, v6
	v_mul_lo_u32 v8, v6, s8
	s_clause 0x1
	s_load_b128 s[12:15], s[0:1], 0xdc
	s_load_b64 s[8:9], s[0:1], 0xec
	s_wait_xcnt 0x0
	s_add_nc_u64 s[0:1], s[0:1], 24
	s_delay_alu instid0(VALU_DEP_1) | instskip(NEXT) | instid1(VALU_DEP_1)
	v_dual_add_nc_u32 v7, v6, v7 :: v_dual_sub_nc_u32 v8, v5, v8
	v_lshrrev_b32_e32 v5, s7, v7
	s_wait_kmcnt 0x0
	s_delay_alu instid0(VALU_DEP_2) | instskip(NEXT) | instid1(VALU_DEP_2)
	v_mad_u32 v9, v8, s12, v57
	v_mul_lo_u32 v7, v5, s11
	v_mad_u32 v10, v8, s14, v58
	v_mad_u32 v8, v8, s13, v59
	s_delay_alu instid0(VALU_DEP_3) | instskip(NEXT) | instid1(VALU_DEP_1)
	v_sub_nc_u32_e32 v6, v6, v7
	v_mad_u32 v57, v6, s15, v9
	s_delay_alu instid0(VALU_DEP_4) | instskip(NEXT) | instid1(VALU_DEP_4)
	v_mad_u32 v58, v6, s9, v10
	v_mad_u32 v59, v6, s8, v8
	s_cbranch_scc1 .LBB47_97
; %bb.98:
	s_bitcmp1_b32 s3, 0
	s_cselect_b32 s3, -1, 0
	s_delay_alu instid0(SALU_CYCLE_1)
	s_and_b32 vcc_lo, exec_lo, s3
	s_cbranch_vccnz .LBB47_101
; %bb.99:
	s_clause 0x1
	s_load_b96 s[4:6], s[0:1], 0x1c
	s_load_b96 s[8:10], s[0:1], 0xdc
	s_wait_kmcnt 0x0
	v_mul_hi_u32 v6, s5, v5
	s_delay_alu instid0(VALU_DEP_1) | instskip(NEXT) | instid1(VALU_DEP_1)
	v_add_nc_u32_e32 v6, v5, v6
	v_lshrrev_b32_e32 v6, s6, v6
	s_delay_alu instid0(VALU_DEP_1) | instskip(NEXT) | instid1(VALU_DEP_1)
	v_mul_lo_u32 v6, v6, s4
	v_sub_nc_u32_e32 v5, v5, v6
	s_delay_alu instid0(VALU_DEP_1)
	v_mad_u32 v57, v5, s8, v57
	v_mad_u32 v59, v5, s9, v59
	;; [unrolled: 1-line block ×3, first 2 shown]
	s_and_not1_b32 vcc_lo, exec_lo, s2
	s_cbranch_vccz .LBB47_102
	s_branch .LBB47_105
.LBB47_100:
	s_mov_b32 s2, -1
                                        ; implicit-def: $vgpr58
                                        ; implicit-def: $vgpr59
                                        ; implicit-def: $vgpr57
.LBB47_101:
	s_delay_alu instid0(SALU_CYCLE_1)
	s_and_not1_b32 vcc_lo, exec_lo, s2
	s_cbranch_vccnz .LBB47_105
.LBB47_102:
	s_clause 0x1
	s_load_b96 s[0:2], s[34:35], 0x4
	s_load_b96 s[4:6], s[34:35], 0xc4
	s_cmp_lt_u32 s59, 2
	s_wait_kmcnt 0x0
	v_mul_hi_u32 v5, s1, v4
	s_delay_alu instid0(VALU_DEP_1) | instskip(NEXT) | instid1(VALU_DEP_1)
	v_add_nc_u32_e32 v5, v4, v5
	v_lshrrev_b32_e32 v5, s2, v5
	s_delay_alu instid0(VALU_DEP_1) | instskip(NEXT) | instid1(VALU_DEP_1)
	v_mul_lo_u32 v6, v5, s0
	v_sub_nc_u32_e32 v4, v4, v6
	s_delay_alu instid0(VALU_DEP_1)
	v_mul_lo_u32 v57, v4, s4
	v_mul_lo_u32 v58, v4, s6
	;; [unrolled: 1-line block ×3, first 2 shown]
	s_cbranch_scc1 .LBB47_105
; %bb.103:
	s_clause 0x1
	s_load_b96 s[0:2], s[34:35], 0x10
	s_load_b96 s[4:6], s[34:35], 0xd0
	s_wait_kmcnt 0x0
	v_mul_hi_u32 v4, s1, v5
	s_delay_alu instid0(VALU_DEP_1) | instskip(NEXT) | instid1(VALU_DEP_1)
	v_add_nc_u32_e32 v4, v5, v4
	v_lshrrev_b32_e32 v4, s2, v4
	s_delay_alu instid0(VALU_DEP_1) | instskip(NEXT) | instid1(VALU_DEP_1)
	v_mul_lo_u32 v4, v4, s0
	v_sub_nc_u32_e32 v4, v5, v4
	s_delay_alu instid0(VALU_DEP_1)
	v_mad_u32 v57, v4, s4, v57
	v_mad_u32 v59, v4, s5, v59
	;; [unrolled: 1-line block ×3, first 2 shown]
	s_branch .LBB47_105
.LBB47_104:
	v_dual_mov_b32 v58, 0 :: v_dual_mov_b32 v59, 0
	v_mov_b32_e32 v57, 0
	s_and_not1_b32 vcc_lo, exec_lo, s2
	s_cbranch_vccz .LBB47_102
.LBB47_105:
	v_cmp_ne_u32_e32 vcc_lo, 1, v3
	s_cbranch_vccnz .LBB47_111
; %bb.106:
	s_cmp_lg_u32 s59, 0
	s_mov_b32 s2, 0
	s_cbranch_scc0 .LBB47_115
; %bb.107:
	s_min_u32 s3, s66, 15
	v_dual_mov_b32 v60, 0 :: v_dual_mov_b32 v3, v0
	v_dual_mov_b32 v62, 0 :: v_dual_mov_b32 v61, 0
	s_add_co_i32 s4, s3, 1
	s_mov_b64 s[0:1], 0xffffffffffffffe8
	s_and_b32 s4, s4, 30
	s_add_nc_u64 s[0:1], s[34:35], s[0:1]
.LBB47_108:                             ; =>This Inner Loop Header: Depth=1
	s_clause 0x1
	s_load_b128 s[8:11], s[0:1], 0x1c
	s_load_b64 s[6:7], s[0:1], 0x2c
	s_add_co_i32 s4, s4, -2
	s_delay_alu instid0(SALU_CYCLE_1) | instskip(SKIP_2) | instid1(VALU_DEP_1)
	s_cmp_lg_u32 s4, 0
	s_wait_kmcnt 0x0
	v_mul_hi_u32 v4, s9, v3
	v_add_nc_u32_e32 v4, v3, v4
	s_delay_alu instid0(VALU_DEP_1) | instskip(NEXT) | instid1(VALU_DEP_1)
	v_lshrrev_b32_e32 v4, s10, v4
	v_mul_hi_u32 v5, s6, v4
	v_mul_lo_u32 v6, v4, s8
	s_clause 0x1
	s_load_b128 s[12:15], s[0:1], 0xdc
	s_load_b64 s[8:9], s[0:1], 0xec
	s_wait_xcnt 0x0
	s_add_nc_u64 s[0:1], s[0:1], 24
	s_delay_alu instid0(VALU_DEP_1) | instskip(NEXT) | instid1(VALU_DEP_1)
	v_dual_add_nc_u32 v5, v4, v5 :: v_dual_sub_nc_u32 v6, v3, v6
	v_lshrrev_b32_e32 v3, s7, v5
	s_wait_kmcnt 0x0
	s_delay_alu instid0(VALU_DEP_2) | instskip(NEXT) | instid1(VALU_DEP_2)
	v_mad_u32 v7, v6, s12, v60
	v_mul_lo_u32 v5, v3, s11
	v_mad_u32 v8, v6, s14, v61
	v_mad_u32 v6, v6, s13, v62
	s_delay_alu instid0(VALU_DEP_3) | instskip(NEXT) | instid1(VALU_DEP_1)
	v_sub_nc_u32_e32 v4, v4, v5
	v_mad_u32 v60, v4, s15, v7
	s_delay_alu instid0(VALU_DEP_4) | instskip(NEXT) | instid1(VALU_DEP_4)
	v_mad_u32 v61, v4, s9, v8
	v_mad_u32 v62, v4, s8, v6
	s_cbranch_scc1 .LBB47_108
; %bb.109:
	s_bitcmp1_b32 s3, 0
	s_cselect_b32 s3, -1, 0
	s_delay_alu instid0(SALU_CYCLE_1)
	s_and_b32 vcc_lo, exec_lo, s3
	s_cbranch_vccnz .LBB47_112
; %bb.110:
	s_clause 0x1
	s_load_b96 s[4:6], s[0:1], 0x1c
	s_load_b96 s[8:10], s[0:1], 0xdc
	s_wait_kmcnt 0x0
	v_mul_hi_u32 v4, s5, v3
	s_delay_alu instid0(VALU_DEP_1) | instskip(NEXT) | instid1(VALU_DEP_1)
	v_add_nc_u32_e32 v4, v3, v4
	v_lshrrev_b32_e32 v4, s6, v4
	s_delay_alu instid0(VALU_DEP_1) | instskip(NEXT) | instid1(VALU_DEP_1)
	v_mul_lo_u32 v4, v4, s4
	v_sub_nc_u32_e32 v3, v3, v4
	s_delay_alu instid0(VALU_DEP_1)
	v_mad_u32 v60, v3, s8, v60
	v_mad_u32 v62, v3, s9, v62
	;; [unrolled: 1-line block ×3, first 2 shown]
	s_and_not1_b32 vcc_lo, exec_lo, s2
	s_cbranch_vccz .LBB47_113
	s_branch .LBB47_116
.LBB47_111:
	s_mov_b32 s2, -1
                                        ; implicit-def: $vgpr61
                                        ; implicit-def: $vgpr62
                                        ; implicit-def: $vgpr60
.LBB47_112:
	s_delay_alu instid0(SALU_CYCLE_1)
	s_and_not1_b32 vcc_lo, exec_lo, s2
	s_cbranch_vccnz .LBB47_116
.LBB47_113:
	s_clause 0x1
	s_load_b96 s[0:2], s[34:35], 0x4
	s_load_b96 s[4:6], s[34:35], 0xc4
	s_cmp_lt_u32 s59, 2
	s_wait_kmcnt 0x0
	v_mul_hi_u32 v3, s1, v0
	s_delay_alu instid0(VALU_DEP_1) | instskip(NEXT) | instid1(VALU_DEP_1)
	v_add_nc_u32_e32 v3, v0, v3
	v_lshrrev_b32_e32 v3, s2, v3
	s_delay_alu instid0(VALU_DEP_1) | instskip(NEXT) | instid1(VALU_DEP_1)
	v_mul_lo_u32 v4, v3, s0
	v_sub_nc_u32_e32 v0, v0, v4
	s_delay_alu instid0(VALU_DEP_1)
	v_mul_lo_u32 v60, v0, s4
	v_mul_lo_u32 v61, v0, s6
	;; [unrolled: 1-line block ×3, first 2 shown]
	s_cbranch_scc1 .LBB47_116
; %bb.114:
	s_clause 0x1
	s_load_b96 s[0:2], s[34:35], 0x10
	s_load_b96 s[4:6], s[34:35], 0xd0
	s_wait_kmcnt 0x0
	v_mul_hi_u32 v0, s1, v3
	s_delay_alu instid0(VALU_DEP_1) | instskip(NEXT) | instid1(VALU_DEP_1)
	v_add_nc_u32_e32 v0, v3, v0
	v_lshrrev_b32_e32 v0, s2, v0
	s_delay_alu instid0(VALU_DEP_1) | instskip(NEXT) | instid1(VALU_DEP_1)
	v_mul_lo_u32 v0, v0, s0
	v_sub_nc_u32_e32 v0, v3, v0
	s_delay_alu instid0(VALU_DEP_1)
	v_mad_u32 v60, v0, s4, v60
	v_mad_u32 v62, v0, s5, v62
	;; [unrolled: 1-line block ×3, first 2 shown]
	s_branch .LBB47_116
.LBB47_115:
	v_dual_mov_b32 v61, 0 :: v_dual_mov_b32 v62, 0
	v_mov_b32_e32 v60, 0
	s_and_not1_b32 vcc_lo, exec_lo, s2
	s_cbranch_vccz .LBB47_113
.LBB47_116:
	s_clause 0x1
	s_load_b128 s[36:39], s[34:35], 0x188
	s_load_b96 s[48:50], s[34:35], 0x198
	s_get_pc_i64 s[46:47]
	s_add_nc_u64 s[46:47], s[46:47], _ZN12_GLOBAL__N_111calc_igammaIfEET_S1_S1_@rel64+4
                                        ; implicit-def: $vgpr42
	s_wait_kmcnt 0x0
	global_load_u16 v0, v2, s[38:39]
	s_wait_loadcnt 0x1
	global_load_b32 v40, v1, s[48:49]
	s_bitcmp1_b32 s50, 0
	s_cselect_b32 s0, -1, 0
	s_delay_alu instid0(SALU_CYCLE_1)
	s_xor_b32 s50, s0, -1
	s_mov_b32 s0, -1
	s_and_b32 vcc_lo, exec_lo, s50
	s_wait_loadcnt 0x1
	v_lshlrev_b32_e32 v43, 16, v0
	s_cbranch_vccz .LBB47_118
; %bb.117:
	s_wait_loadcnt 0x0
	s_delay_alu instid0(VALU_DEP_1) | instskip(SKIP_1) | instid1(VALU_DEP_1)
	v_dual_mov_b32 v0, v43 :: v_dual_mov_b32 v1, v40
	s_swap_pc_i64 s[30:31], s[46:47]
	v_mov_b32_e32 v42, v0
	s_mov_b32 s0, 0
.LBB47_118:
	s_delay_alu instid0(SALU_CYCLE_1)
	s_and_not1_b32 vcc_lo, exec_lo, s0
	s_get_pc_i64 s[34:35]
	s_add_nc_u64 s[34:35], s[34:35], _ZN12_GLOBAL__N_112calc_igammacIfEET_S1_S1_@rel64+4
	s_cbranch_vccnz .LBB47_120
; %bb.119:
	s_wait_loadcnt 0x0
	v_dual_mov_b32 v0, v43 :: v_dual_mov_b32 v1, v40
	s_swap_pc_i64 s[30:31], s[34:35]
	s_delay_alu instid0(VALU_DEP_1)
	v_mov_b32_e32 v42, v0
.LBB47_120:
	global_load_u16 v0, v56, s[38:39]
	s_wait_loadcnt 0x1
	global_load_b32 v40, v45, s[48:49]
	s_and_b32 vcc_lo, exec_lo, s50
	s_wait_loadcnt 0x1
	v_lshlrev_b32_e32 v44, 16, v0
	s_cbranch_vccz .LBB47_122
; %bb.121:
	s_wait_loadcnt 0x0
	s_wait_xcnt 0x2
	s_delay_alu instid0(VALU_DEP_1) | instskip(SKIP_1) | instid1(VALU_DEP_1)
	v_dual_mov_b32 v0, v44 :: v_dual_mov_b32 v1, v40
	s_swap_pc_i64 s[30:31], s[46:47]
	v_mov_b32_e32 v43, v0
	s_cbranch_execz .LBB47_123
	s_branch .LBB47_124
.LBB47_122:
                                        ; implicit-def: $vgpr43
.LBB47_123:
	s_wait_loadcnt 0x0
	s_wait_xcnt 0x2
	s_delay_alu instid0(VALU_DEP_1) | instskip(SKIP_1) | instid1(VALU_DEP_1)
	v_dual_mov_b32 v0, v44 :: v_dual_mov_b32 v1, v40
	s_swap_pc_i64 s[30:31], s[34:35]
	v_mov_b32_e32 v43, v0
.LBB47_124:
	global_load_u16 v0, v59, s[38:39]
	s_wait_loadcnt 0x1
	global_load_b32 v40, v58, s[48:49]
	s_and_b32 vcc_lo, exec_lo, s50
	s_wait_loadcnt 0x1
	s_wait_xcnt 0x2
	v_lshlrev_b32_e32 v45, 16, v0
	s_cbranch_vccz .LBB47_126
; %bb.125:
	s_wait_loadcnt 0x0
	s_delay_alu instid0(VALU_DEP_1) | instskip(SKIP_1) | instid1(VALU_DEP_1)
	v_dual_mov_b32 v0, v45 :: v_dual_mov_b32 v1, v40
	s_swap_pc_i64 s[30:31], s[46:47]
	v_mov_b32_e32 v44, v0
	s_cbranch_execz .LBB47_127
	s_branch .LBB47_128
.LBB47_126:
                                        ; implicit-def: $vgpr44
.LBB47_127:
	s_wait_loadcnt 0x0
	s_delay_alu instid0(VALU_DEP_1) | instskip(SKIP_1) | instid1(VALU_DEP_1)
	v_dual_mov_b32 v0, v45 :: v_dual_mov_b32 v1, v40
	s_swap_pc_i64 s[30:31], s[34:35]
	v_mov_b32_e32 v44, v0
.LBB47_128:
	global_load_u16 v0, v62, s[38:39]
	s_wait_loadcnt 0x1
	global_load_b32 v40, v61, s[48:49]
	s_and_b32 vcc_lo, exec_lo, s50
	s_wait_loadcnt 0x1
	v_lshlrev_b32_e32 v45, 16, v0
	s_cbranch_vccz .LBB47_130
; %bb.129:
	s_wait_loadcnt 0x0
	s_delay_alu instid0(VALU_DEP_1)
	v_dual_mov_b32 v0, v45 :: v_dual_mov_b32 v1, v40
	s_swap_pc_i64 s[30:31], s[46:47]
	s_cbranch_execz .LBB47_131
	s_branch .LBB47_132
.LBB47_130:
                                        ; implicit-def: $vgpr0
.LBB47_131:
	s_wait_loadcnt 0x0
	s_delay_alu instid0(VALU_DEP_1)
	v_dual_mov_b32 v0, v45 :: v_dual_mov_b32 v1, v40
	s_swap_pc_i64 s[30:31], s[34:35]
.LBB47_132:
	v_bfe_u32 v1, v42, 16, 1
	v_bfe_u32 v2, v43, 16, 1
	;; [unrolled: 1-line block ×3, first 2 shown]
	v_cmp_o_f32_e32 vcc_lo, v42, v42
	v_bfe_u32 v4, v0, 16, 1
	v_add3_u32 v1, v42, v1, 0x7fff
	v_add3_u32 v2, v43, v2, 0x7fff
	;; [unrolled: 1-line block ×3, first 2 shown]
	s_delay_alu instid0(VALU_DEP_4) | instskip(NEXT) | instid1(VALU_DEP_3)
	v_add3_u32 v4, v0, v4, 0x7fff
	v_dual_lshrrev_b32 v1, 16, v1 :: v_dual_lshrrev_b32 v2, 16, v2
	s_delay_alu instid0(VALU_DEP_2) | instskip(NEXT) | instid1(VALU_DEP_2)
	v_dual_lshrrev_b32 v3, 16, v3 :: v_dual_lshrrev_b32 v4, 16, v4
	v_cndmask_b32_e32 v1, 0x7fc0, v1, vcc_lo
	v_cmp_o_f32_e32 vcc_lo, v43, v43
	s_delay_alu instid0(VALU_DEP_4)
	v_cndmask_b32_e32 v2, 0x7fc0, v2, vcc_lo
	v_cmp_o_f32_e32 vcc_lo, v44, v44
	v_cndmask_b32_e32 v3, 0x7fc0, v3, vcc_lo
	v_cmp_o_f32_e32 vcc_lo, v0, v0
	v_cndmask_b32_e32 v0, 0x7fc0, v4, vcc_lo
	s_clause 0x3
	global_store_b16 v46, v1, s[36:37]
	global_store_b16 v47, v2, s[36:37]
	;; [unrolled: 1-line block ×4, first 2 shown]
	s_endpgm
	.section	.rodata,"a",@progbits
	.p2align	6, 0x0
	.amdhsa_kernel _ZN2at6native32elementwise_kernel_manual_unrollILi128ELi4EZNS0_12_GLOBAL__N_142type_specialized_broadcast_kernel_launcherILi2EE5applyIN12_GLOBAL__N_110CalcIgammaIfEESt5arrayIPcLm3EES9_IN3c1010ScalarTypeELm3EE16OffsetCalculatorILi3EjLb0EEEEvlT_T0_T1_T2_EUlibE_EEviSJ_
		.amdhsa_group_segment_fixed_size 0
		.amdhsa_private_segment_fixed_size 144
		.amdhsa_kernarg_size 432
		.amdhsa_user_sgpr_count 2
		.amdhsa_user_sgpr_dispatch_ptr 0
		.amdhsa_user_sgpr_queue_ptr 0
		.amdhsa_user_sgpr_kernarg_segment_ptr 1
		.amdhsa_user_sgpr_dispatch_id 0
		.amdhsa_user_sgpr_kernarg_preload_length 0
		.amdhsa_user_sgpr_kernarg_preload_offset 0
		.amdhsa_user_sgpr_private_segment_size 0
		.amdhsa_wavefront_size32 1
		.amdhsa_uses_dynamic_stack 0
		.amdhsa_enable_private_segment 1
		.amdhsa_system_sgpr_workgroup_id_x 1
		.amdhsa_system_sgpr_workgroup_id_y 0
		.amdhsa_system_sgpr_workgroup_id_z 0
		.amdhsa_system_sgpr_workgroup_info 0
		.amdhsa_system_vgpr_workitem_id 0
		.amdhsa_next_free_vgpr 84
		.amdhsa_next_free_sgpr 73
		.amdhsa_named_barrier_count 0
		.amdhsa_reserve_vcc 1
		.amdhsa_float_round_mode_32 0
		.amdhsa_float_round_mode_16_64 0
		.amdhsa_float_denorm_mode_32 3
		.amdhsa_float_denorm_mode_16_64 3
		.amdhsa_fp16_overflow 0
		.amdhsa_memory_ordered 1
		.amdhsa_forward_progress 1
		.amdhsa_inst_pref_size 51
		.amdhsa_round_robin_scheduling 0
		.amdhsa_exception_fp_ieee_invalid_op 0
		.amdhsa_exception_fp_denorm_src 0
		.amdhsa_exception_fp_ieee_div_zero 0
		.amdhsa_exception_fp_ieee_overflow 0
		.amdhsa_exception_fp_ieee_underflow 0
		.amdhsa_exception_fp_ieee_inexact 0
		.amdhsa_exception_int_div_zero 0
	.end_amdhsa_kernel
	.section	.text._ZN2at6native32elementwise_kernel_manual_unrollILi128ELi4EZNS0_12_GLOBAL__N_142type_specialized_broadcast_kernel_launcherILi2EE5applyIN12_GLOBAL__N_110CalcIgammaIfEESt5arrayIPcLm3EES9_IN3c1010ScalarTypeELm3EE16OffsetCalculatorILi3EjLb0EEEEvlT_T0_T1_T2_EUlibE_EEviSJ_,"axG",@progbits,_ZN2at6native32elementwise_kernel_manual_unrollILi128ELi4EZNS0_12_GLOBAL__N_142type_specialized_broadcast_kernel_launcherILi2EE5applyIN12_GLOBAL__N_110CalcIgammaIfEESt5arrayIPcLm3EES9_IN3c1010ScalarTypeELm3EE16OffsetCalculatorILi3EjLb0EEEEvlT_T0_T1_T2_EUlibE_EEviSJ_,comdat
.Lfunc_end47:
	.size	_ZN2at6native32elementwise_kernel_manual_unrollILi128ELi4EZNS0_12_GLOBAL__N_142type_specialized_broadcast_kernel_launcherILi2EE5applyIN12_GLOBAL__N_110CalcIgammaIfEESt5arrayIPcLm3EES9_IN3c1010ScalarTypeELm3EE16OffsetCalculatorILi3EjLb0EEEEvlT_T0_T1_T2_EUlibE_EEviSJ_, .Lfunc_end47-_ZN2at6native32elementwise_kernel_manual_unrollILi128ELi4EZNS0_12_GLOBAL__N_142type_specialized_broadcast_kernel_launcherILi2EE5applyIN12_GLOBAL__N_110CalcIgammaIfEESt5arrayIPcLm3EES9_IN3c1010ScalarTypeELm3EE16OffsetCalculatorILi3EjLb0EEEEvlT_T0_T1_T2_EUlibE_EEviSJ_
                                        ; -- End function
	.set _ZN2at6native32elementwise_kernel_manual_unrollILi128ELi4EZNS0_12_GLOBAL__N_142type_specialized_broadcast_kernel_launcherILi2EE5applyIN12_GLOBAL__N_110CalcIgammaIfEESt5arrayIPcLm3EES9_IN3c1010ScalarTypeELm3EE16OffsetCalculatorILi3EjLb0EEEEvlT_T0_T1_T2_EUlibE_EEviSJ_.num_vgpr, max(63, .L_ZN12_GLOBAL__N_111calc_igammaIfEET_S1_S1_.num_vgpr, .L_ZN12_GLOBAL__N_112calc_igammacIfEET_S1_S1_.num_vgpr)
	.set _ZN2at6native32elementwise_kernel_manual_unrollILi128ELi4EZNS0_12_GLOBAL__N_142type_specialized_broadcast_kernel_launcherILi2EE5applyIN12_GLOBAL__N_110CalcIgammaIfEESt5arrayIPcLm3EES9_IN3c1010ScalarTypeELm3EE16OffsetCalculatorILi3EjLb0EEEEvlT_T0_T1_T2_EUlibE_EEviSJ_.num_agpr, max(0, .L_ZN12_GLOBAL__N_111calc_igammaIfEET_S1_S1_.num_agpr, .L_ZN12_GLOBAL__N_112calc_igammacIfEET_S1_S1_.num_agpr)
	.set _ZN2at6native32elementwise_kernel_manual_unrollILi128ELi4EZNS0_12_GLOBAL__N_142type_specialized_broadcast_kernel_launcherILi2EE5applyIN12_GLOBAL__N_110CalcIgammaIfEESt5arrayIPcLm3EES9_IN3c1010ScalarTypeELm3EE16OffsetCalculatorILi3EjLb0EEEEvlT_T0_T1_T2_EUlibE_EEviSJ_.numbered_sgpr, max(73, .L_ZN12_GLOBAL__N_111calc_igammaIfEET_S1_S1_.numbered_sgpr, .L_ZN12_GLOBAL__N_112calc_igammacIfEET_S1_S1_.numbered_sgpr)
	.set _ZN2at6native32elementwise_kernel_manual_unrollILi128ELi4EZNS0_12_GLOBAL__N_142type_specialized_broadcast_kernel_launcherILi2EE5applyIN12_GLOBAL__N_110CalcIgammaIfEESt5arrayIPcLm3EES9_IN3c1010ScalarTypeELm3EE16OffsetCalculatorILi3EjLb0EEEEvlT_T0_T1_T2_EUlibE_EEviSJ_.num_named_barrier, max(0, .L_ZN12_GLOBAL__N_111calc_igammaIfEET_S1_S1_.num_named_barrier, .L_ZN12_GLOBAL__N_112calc_igammacIfEET_S1_S1_.num_named_barrier)
	.set _ZN2at6native32elementwise_kernel_manual_unrollILi128ELi4EZNS0_12_GLOBAL__N_142type_specialized_broadcast_kernel_launcherILi2EE5applyIN12_GLOBAL__N_110CalcIgammaIfEESt5arrayIPcLm3EES9_IN3c1010ScalarTypeELm3EE16OffsetCalculatorILi3EjLb0EEEEvlT_T0_T1_T2_EUlibE_EEviSJ_.private_seg_size, 0+max(.L_ZN12_GLOBAL__N_111calc_igammaIfEET_S1_S1_.private_seg_size, .L_ZN12_GLOBAL__N_112calc_igammacIfEET_S1_S1_.private_seg_size)
	.set _ZN2at6native32elementwise_kernel_manual_unrollILi128ELi4EZNS0_12_GLOBAL__N_142type_specialized_broadcast_kernel_launcherILi2EE5applyIN12_GLOBAL__N_110CalcIgammaIfEESt5arrayIPcLm3EES9_IN3c1010ScalarTypeELm3EE16OffsetCalculatorILi3EjLb0EEEEvlT_T0_T1_T2_EUlibE_EEviSJ_.uses_vcc, or(1, .L_ZN12_GLOBAL__N_111calc_igammaIfEET_S1_S1_.uses_vcc, .L_ZN12_GLOBAL__N_112calc_igammacIfEET_S1_S1_.uses_vcc)
	.set _ZN2at6native32elementwise_kernel_manual_unrollILi128ELi4EZNS0_12_GLOBAL__N_142type_specialized_broadcast_kernel_launcherILi2EE5applyIN12_GLOBAL__N_110CalcIgammaIfEESt5arrayIPcLm3EES9_IN3c1010ScalarTypeELm3EE16OffsetCalculatorILi3EjLb0EEEEvlT_T0_T1_T2_EUlibE_EEviSJ_.uses_flat_scratch, or(0, .L_ZN12_GLOBAL__N_111calc_igammaIfEET_S1_S1_.uses_flat_scratch, .L_ZN12_GLOBAL__N_112calc_igammacIfEET_S1_S1_.uses_flat_scratch)
	.set _ZN2at6native32elementwise_kernel_manual_unrollILi128ELi4EZNS0_12_GLOBAL__N_142type_specialized_broadcast_kernel_launcherILi2EE5applyIN12_GLOBAL__N_110CalcIgammaIfEESt5arrayIPcLm3EES9_IN3c1010ScalarTypeELm3EE16OffsetCalculatorILi3EjLb0EEEEvlT_T0_T1_T2_EUlibE_EEviSJ_.has_dyn_sized_stack, or(0, .L_ZN12_GLOBAL__N_111calc_igammaIfEET_S1_S1_.has_dyn_sized_stack, .L_ZN12_GLOBAL__N_112calc_igammacIfEET_S1_S1_.has_dyn_sized_stack)
	.set _ZN2at6native32elementwise_kernel_manual_unrollILi128ELi4EZNS0_12_GLOBAL__N_142type_specialized_broadcast_kernel_launcherILi2EE5applyIN12_GLOBAL__N_110CalcIgammaIfEESt5arrayIPcLm3EES9_IN3c1010ScalarTypeELm3EE16OffsetCalculatorILi3EjLb0EEEEvlT_T0_T1_T2_EUlibE_EEviSJ_.has_recursion, or(0, .L_ZN12_GLOBAL__N_111calc_igammaIfEET_S1_S1_.has_recursion, .L_ZN12_GLOBAL__N_112calc_igammacIfEET_S1_S1_.has_recursion)
	.set _ZN2at6native32elementwise_kernel_manual_unrollILi128ELi4EZNS0_12_GLOBAL__N_142type_specialized_broadcast_kernel_launcherILi2EE5applyIN12_GLOBAL__N_110CalcIgammaIfEESt5arrayIPcLm3EES9_IN3c1010ScalarTypeELm3EE16OffsetCalculatorILi3EjLb0EEEEvlT_T0_T1_T2_EUlibE_EEviSJ_.has_indirect_call, or(0, .L_ZN12_GLOBAL__N_111calc_igammaIfEET_S1_S1_.has_indirect_call, .L_ZN12_GLOBAL__N_112calc_igammacIfEET_S1_S1_.has_indirect_call)
	.section	.AMDGPU.csdata,"",@progbits
; Kernel info:
; codeLenInByte = 6416
; TotalNumSgprs: 75
; NumVgprs: 84
; ScratchSize: 144
; MemoryBound: 0
; FloatMode: 240
; IeeeMode: 1
; LDSByteSize: 0 bytes/workgroup (compile time only)
; SGPRBlocks: 0
; VGPRBlocks: 5
; NumSGPRsForWavesPerEU: 75
; NumVGPRsForWavesPerEU: 84
; NamedBarCnt: 0
; Occupancy: 10
; WaveLimiterHint : 1
; COMPUTE_PGM_RSRC2:SCRATCH_EN: 1
; COMPUTE_PGM_RSRC2:USER_SGPR: 2
; COMPUTE_PGM_RSRC2:TRAP_HANDLER: 0
; COMPUTE_PGM_RSRC2:TGID_X_EN: 1
; COMPUTE_PGM_RSRC2:TGID_Y_EN: 0
; COMPUTE_PGM_RSRC2:TGID_Z_EN: 0
; COMPUTE_PGM_RSRC2:TIDIG_COMP_CNT: 0
	.section	.text._ZN2at6native32elementwise_kernel_manual_unrollILi128ELi4EZNS0_12_GLOBAL__N_142type_specialized_broadcast_kernel_launcherILi3EE5applyIN12_GLOBAL__N_110CalcIgammaIfEESt5arrayIPcLm3EES9_IN3c1010ScalarTypeELm3EE16OffsetCalculatorILi3EjLb0EEEEvlT_T0_T1_T2_EUlibE_EEviSJ_,"axG",@progbits,_ZN2at6native32elementwise_kernel_manual_unrollILi128ELi4EZNS0_12_GLOBAL__N_142type_specialized_broadcast_kernel_launcherILi3EE5applyIN12_GLOBAL__N_110CalcIgammaIfEESt5arrayIPcLm3EES9_IN3c1010ScalarTypeELm3EE16OffsetCalculatorILi3EjLb0EEEEvlT_T0_T1_T2_EUlibE_EEviSJ_,comdat
	.globl	_ZN2at6native32elementwise_kernel_manual_unrollILi128ELi4EZNS0_12_GLOBAL__N_142type_specialized_broadcast_kernel_launcherILi3EE5applyIN12_GLOBAL__N_110CalcIgammaIfEESt5arrayIPcLm3EES9_IN3c1010ScalarTypeELm3EE16OffsetCalculatorILi3EjLb0EEEEvlT_T0_T1_T2_EUlibE_EEviSJ_ ; -- Begin function _ZN2at6native32elementwise_kernel_manual_unrollILi128ELi4EZNS0_12_GLOBAL__N_142type_specialized_broadcast_kernel_launcherILi3EE5applyIN12_GLOBAL__N_110CalcIgammaIfEESt5arrayIPcLm3EES9_IN3c1010ScalarTypeELm3EE16OffsetCalculatorILi3EjLb0EEEEvlT_T0_T1_T2_EUlibE_EEviSJ_
	.p2align	8
	.type	_ZN2at6native32elementwise_kernel_manual_unrollILi128ELi4EZNS0_12_GLOBAL__N_142type_specialized_broadcast_kernel_launcherILi3EE5applyIN12_GLOBAL__N_110CalcIgammaIfEESt5arrayIPcLm3EES9_IN3c1010ScalarTypeELm3EE16OffsetCalculatorILi3EjLb0EEEEvlT_T0_T1_T2_EUlibE_EEviSJ_,@function
_ZN2at6native32elementwise_kernel_manual_unrollILi128ELi4EZNS0_12_GLOBAL__N_142type_specialized_broadcast_kernel_launcherILi3EE5applyIN12_GLOBAL__N_110CalcIgammaIfEESt5arrayIPcLm3EES9_IN3c1010ScalarTypeELm3EE16OffsetCalculatorILi3EjLb0EEEEvlT_T0_T1_T2_EUlibE_EEviSJ_: ; @_ZN2at6native32elementwise_kernel_manual_unrollILi128ELi4EZNS0_12_GLOBAL__N_142type_specialized_broadcast_kernel_launcherILi3EE5applyIN12_GLOBAL__N_110CalcIgammaIfEESt5arrayIPcLm3EES9_IN3c1010ScalarTypeELm3EE16OffsetCalculatorILi3EjLb0EEEEvlT_T0_T1_T2_EUlibE_EEviSJ_
; %bb.0:
	s_clause 0x1
	s_load_b32 s59, s[0:1], 0x8
	s_load_b32 s71, s[0:1], 0x0
	s_bfe_u32 s2, ttmp6, 0x4000c
	s_and_b32 s3, ttmp6, 15
	s_add_co_i32 s2, s2, 1
	s_getreg_b32 s4, hwreg(HW_REG_IB_STS2, 6, 4)
	s_mul_i32 s2, ttmp9, s2
	s_add_nc_u64 s[34:35], s[0:1], 8
	s_add_co_i32 s3, s3, s2
	s_cmp_eq_u32 s4, 0
	s_mov_b32 s61, 0
	s_cselect_b32 s2, ttmp9, s3
	s_mov_b32 s32, 0
	v_lshl_or_b32 v44, s2, 9, v0
	s_wait_xcnt 0x0
	s_mov_b32 s0, exec_lo
	s_delay_alu instid0(VALU_DEP_1) | instskip(SKIP_2) | instid1(SALU_CYCLE_1)
	v_or_b32_e32 v0, 0x180, v44
	s_wait_kmcnt 0x0
	s_add_co_i32 s66, s59, -1
	s_cmp_gt_u32 s66, 1
	s_cselect_b32 s67, -1, 0
	v_cmpx_le_i32_e64 s71, v0
	s_xor_b32 s68, exec_lo, s0
	s_cbranch_execz .LBB48_70
; %bb.1:
	s_clause 0x5
	s_load_b128 s[48:51], s[34:35], 0x4
	s_load_b64 s[46:47], s[34:35], 0x14
	s_load_b96 s[56:58], s[34:35], 0x198
	s_load_b128 s[52:55], s[34:35], 0xc4
	s_load_b64 s[62:63], s[34:35], 0xd4
	s_load_b128 s[36:39], s[34:35], 0x188
	s_cmp_lg_u32 s59, 0
	s_mov_b32 s65, s61
	s_cselect_b32 s72, -1, 0
	s_min_u32 s70, s66, 15
	s_cmp_gt_u32 s59, 1
	s_cselect_b32 s69, -1, 0
	s_wait_kmcnt 0x0
	s_mov_b32 s60, s49
	s_mov_b32 s64, s46
	s_bitcmp1_b32 s58, 0
	s_mov_b32 s49, exec_lo
	s_cselect_b32 s0, -1, 0
	s_delay_alu instid0(SALU_CYCLE_1)
	s_xor_b32 s46, s0, -1
	v_cmpx_gt_i32_e64 s71, v44
	s_cbranch_execnz .LBB48_5
; %bb.2:
	s_or_b32 exec_lo, exec_lo, s49
	s_delay_alu instid0(SALU_CYCLE_1)
	s_mov_b32 s49, exec_lo
	v_cmpx_gt_i32_e64 s71, v44
	s_cbranch_execnz .LBB48_21
.LBB48_3:
	s_or_b32 exec_lo, exec_lo, s49
	s_delay_alu instid0(SALU_CYCLE_1)
	s_mov_b32 s49, exec_lo
	v_cmpx_gt_i32_e64 s71, v44
	s_cbranch_execnz .LBB48_37
.LBB48_4:
	s_or_b32 exec_lo, exec_lo, s49
	s_delay_alu instid0(SALU_CYCLE_1)
	s_mov_b32 s49, exec_lo
	v_cmpx_gt_i32_e64 s71, v44
	s_cbranch_execnz .LBB48_53
	s_branch .LBB48_69
.LBB48_5:
	s_and_not1_b32 vcc_lo, exec_lo, s67
	s_cbranch_vccnz .LBB48_11
; %bb.6:
	s_and_not1_b32 vcc_lo, exec_lo, s72
	s_cbranch_vccnz .LBB48_12
; %bb.7:
	v_dual_mov_b32 v43, 0 :: v_dual_mov_b32 v0, v44
	v_dual_mov_b32 v3, 0 :: v_dual_mov_b32 v2, 0
	s_add_co_i32 s2, s70, 1
	s_mov_b64 s[0:1], 0xffffffffffffffe8
	s_and_b32 s2, s2, 30
	s_add_nc_u64 s[0:1], s[34:35], s[0:1]
.LBB48_8:                               ; =>This Inner Loop Header: Depth=1
	s_clause 0x1
	s_load_b128 s[4:7], s[0:1], 0x1c
	s_load_b64 s[12:13], s[0:1], 0x2c
	s_add_co_i32 s2, s2, -2
	s_delay_alu instid0(SALU_CYCLE_1) | instskip(SKIP_2) | instid1(VALU_DEP_1)
	s_cmp_lg_u32 s2, 0
	s_wait_kmcnt 0x0
	v_mul_hi_u32 v1, s5, v0
	v_add_nc_u32_e32 v1, v0, v1
	s_delay_alu instid0(VALU_DEP_1) | instskip(NEXT) | instid1(VALU_DEP_1)
	v_lshrrev_b32_e32 v1, s6, v1
	v_mul_hi_u32 v4, s12, v1
	v_mul_lo_u32 v5, v1, s4
	s_clause 0x1
	s_load_b128 s[8:11], s[0:1], 0xdc
	s_load_b64 s[4:5], s[0:1], 0xec
	s_wait_xcnt 0x0
	s_add_nc_u64 s[0:1], s[0:1], 24
	s_delay_alu instid0(VALU_DEP_1) | instskip(NEXT) | instid1(VALU_DEP_1)
	v_dual_add_nc_u32 v4, v1, v4 :: v_dual_sub_nc_u32 v5, v0, v5
	v_lshrrev_b32_e32 v0, s13, v4
	s_wait_kmcnt 0x0
	s_delay_alu instid0(VALU_DEP_2) | instskip(NEXT) | instid1(VALU_DEP_2)
	v_mad_u32 v6, v5, s8, v43
	v_mul_lo_u32 v4, v0, s7
	v_mad_u32 v2, v5, s10, v2
	v_mad_u32 v3, v5, s9, v3
	s_delay_alu instid0(VALU_DEP_3) | instskip(NEXT) | instid1(VALU_DEP_1)
	v_sub_nc_u32_e32 v1, v1, v4
	v_mad_u32 v43, v1, s11, v6
	s_delay_alu instid0(VALU_DEP_4) | instskip(NEXT) | instid1(VALU_DEP_4)
	v_mad_u32 v2, v1, s5, v2
	v_mad_u32 v3, v1, s4, v3
	s_cbranch_scc1 .LBB48_8
; %bb.9:
	s_bitcmp1_b32 s70, 0
	s_cselect_b32 s2, -1, 0
	s_delay_alu instid0(SALU_CYCLE_1)
	s_and_b32 vcc_lo, exec_lo, s2
	s_cbranch_vccnz .LBB48_13
; %bb.10:
	s_clause 0x1
	s_load_b96 s[4:6], s[0:1], 0x1c
	s_load_b96 s[8:10], s[0:1], 0xdc
	s_wait_xcnt 0x0
	s_wait_kmcnt 0x0
	v_mul_hi_u32 v1, s5, v0
	s_delay_alu instid0(VALU_DEP_1) | instskip(NEXT) | instid1(VALU_DEP_1)
	v_add_nc_u32_e32 v1, v0, v1
	v_lshrrev_b32_e32 v1, s6, v1
	s_delay_alu instid0(VALU_DEP_1) | instskip(NEXT) | instid1(VALU_DEP_1)
	v_mul_lo_u32 v1, v1, s4
	v_sub_nc_u32_e32 v0, v0, v1
	s_delay_alu instid0(VALU_DEP_1)
	v_mad_u32 v43, v0, s8, v43
	v_mad_u32 v3, v0, s9, v3
	;; [unrolled: 1-line block ×3, first 2 shown]
	s_cbranch_execz .LBB48_14
	s_branch .LBB48_16
.LBB48_11:
                                        ; implicit-def: $vgpr2
                                        ; implicit-def: $vgpr3
                                        ; implicit-def: $vgpr43
	s_branch .LBB48_14
.LBB48_12:
	v_dual_mov_b32 v2, 0 :: v_dual_mov_b32 v3, 0
	v_mov_b32_e32 v43, 0
.LBB48_13:
	s_cbranch_execnz .LBB48_16
.LBB48_14:
	v_mov_b32_e32 v45, 0
	s_and_not1_b32 vcc_lo, exec_lo, s69
	s_delay_alu instid0(VALU_DEP_1) | instskip(NEXT) | instid1(VALU_DEP_1)
	v_mul_u64_e32 v[0:1], s[60:61], v[44:45]
	v_add_nc_u32_e32 v0, v44, v1
	s_delay_alu instid0(VALU_DEP_1) | instskip(NEXT) | instid1(VALU_DEP_1)
	v_lshrrev_b32_e32 v0, s50, v0
	v_mul_lo_u32 v1, v0, s48
	s_delay_alu instid0(VALU_DEP_1) | instskip(NEXT) | instid1(VALU_DEP_1)
	v_sub_nc_u32_e32 v1, v44, v1
	v_mul_lo_u32 v43, v1, s52
	v_mul_lo_u32 v2, v1, s54
	;; [unrolled: 1-line block ×3, first 2 shown]
	s_cbranch_vccnz .LBB48_16
; %bb.15:
	v_mov_b32_e32 v1, v45
	s_delay_alu instid0(VALU_DEP_1) | instskip(NEXT) | instid1(VALU_DEP_1)
	v_mul_u64_e32 v[4:5], s[64:65], v[0:1]
	v_add_nc_u32_e32 v1, v0, v5
	s_delay_alu instid0(VALU_DEP_1) | instskip(NEXT) | instid1(VALU_DEP_1)
	v_lshrrev_b32_e32 v1, s47, v1
	v_mul_lo_u32 v1, v1, s51
	s_delay_alu instid0(VALU_DEP_1) | instskip(NEXT) | instid1(VALU_DEP_1)
	v_sub_nc_u32_e32 v0, v0, v1
	v_mad_u32 v43, v0, s55, v43
	v_mad_u32 v3, v0, s62, v3
	;; [unrolled: 1-line block ×3, first 2 shown]
.LBB48_16:
	global_load_u16 v0, v2, s[56:57]
	global_load_b32 v40, v3, s[38:39]
	s_and_b32 vcc_lo, exec_lo, s46
	s_wait_loadcnt 0x1
	v_cvt_f32_f16_e32 v42, v0
	s_cbranch_vccz .LBB48_18
; %bb.17:
	s_wait_loadcnt 0x0
	s_delay_alu instid0(VALU_DEP_1) | instskip(SKIP_2) | instid1(SALU_CYCLE_1)
	v_dual_mov_b32 v0, v40 :: v_dual_mov_b32 v1, v42
	s_get_pc_i64 s[0:1]
	s_add_nc_u64 s[0:1], s[0:1], _ZN12_GLOBAL__N_111calc_igammaIfEET_S1_S1_@rel64+4
	s_swap_pc_i64 s[30:31], s[0:1]
	s_cbranch_execz .LBB48_19
	s_branch .LBB48_20
.LBB48_18:
                                        ; implicit-def: $vgpr0
.LBB48_19:
	s_wait_loadcnt 0x0
	s_delay_alu instid0(VALU_DEP_1) | instskip(SKIP_2) | instid1(SALU_CYCLE_1)
	v_dual_mov_b32 v0, v40 :: v_dual_mov_b32 v1, v42
	s_get_pc_i64 s[0:1]
	s_add_nc_u64 s[0:1], s[0:1], _ZN12_GLOBAL__N_112calc_igammacIfEET_S1_S1_@rel64+4
	s_swap_pc_i64 s[30:31], s[0:1]
.LBB48_20:
	v_add_nc_u32_e32 v44, 0x80, v44
	global_store_b32 v43, v0, s[36:37]
	s_wait_xcnt 0x0
	s_or_b32 exec_lo, exec_lo, s49
	s_delay_alu instid0(SALU_CYCLE_1)
	s_mov_b32 s49, exec_lo
	v_cmpx_gt_i32_e64 s71, v44
	s_cbranch_execz .LBB48_3
.LBB48_21:
	s_and_not1_b32 vcc_lo, exec_lo, s67
	s_cbranch_vccnz .LBB48_27
; %bb.22:
	s_and_not1_b32 vcc_lo, exec_lo, s72
	s_cbranch_vccnz .LBB48_28
; %bb.23:
	v_dual_mov_b32 v43, 0 :: v_dual_mov_b32 v0, v44
	v_dual_mov_b32 v3, 0 :: v_dual_mov_b32 v2, 0
	s_add_co_i32 s2, s70, 1
	s_mov_b64 s[0:1], 0xffffffffffffffe8
	s_and_b32 s2, s2, 30
	s_add_nc_u64 s[0:1], s[34:35], s[0:1]
.LBB48_24:                              ; =>This Inner Loop Header: Depth=1
	s_clause 0x1
	s_load_b128 s[4:7], s[0:1], 0x1c
	s_load_b64 s[12:13], s[0:1], 0x2c
	s_add_co_i32 s2, s2, -2
	s_delay_alu instid0(SALU_CYCLE_1) | instskip(SKIP_2) | instid1(VALU_DEP_1)
	s_cmp_eq_u32 s2, 0
	s_wait_kmcnt 0x0
	v_mul_hi_u32 v1, s5, v0
	v_add_nc_u32_e32 v1, v0, v1
	s_delay_alu instid0(VALU_DEP_1) | instskip(NEXT) | instid1(VALU_DEP_1)
	v_lshrrev_b32_e32 v1, s6, v1
	v_mul_hi_u32 v4, s12, v1
	v_mul_lo_u32 v5, v1, s4
	s_clause 0x1
	s_load_b128 s[8:11], s[0:1], 0xdc
	s_load_b64 s[4:5], s[0:1], 0xec
	s_wait_xcnt 0x0
	s_add_nc_u64 s[0:1], s[0:1], 24
	s_delay_alu instid0(VALU_DEP_1) | instskip(NEXT) | instid1(VALU_DEP_1)
	v_dual_add_nc_u32 v4, v1, v4 :: v_dual_sub_nc_u32 v5, v0, v5
	v_lshrrev_b32_e32 v0, s13, v4
	s_wait_kmcnt 0x0
	s_delay_alu instid0(VALU_DEP_2) | instskip(NEXT) | instid1(VALU_DEP_2)
	v_mad_u32 v6, v5, s8, v43
	v_mul_lo_u32 v4, v0, s7
	v_mad_u32 v2, v5, s10, v2
	v_mad_u32 v3, v5, s9, v3
	s_delay_alu instid0(VALU_DEP_3) | instskip(NEXT) | instid1(VALU_DEP_1)
	v_sub_nc_u32_e32 v1, v1, v4
	v_mad_u32 v43, v1, s11, v6
	s_delay_alu instid0(VALU_DEP_4) | instskip(NEXT) | instid1(VALU_DEP_4)
	v_mad_u32 v2, v1, s5, v2
	v_mad_u32 v3, v1, s4, v3
	s_cbranch_scc0 .LBB48_24
; %bb.25:
	s_bitcmp1_b32 s70, 0
	s_cselect_b32 s2, -1, 0
	s_delay_alu instid0(SALU_CYCLE_1)
	s_and_b32 vcc_lo, exec_lo, s2
	s_cbranch_vccnz .LBB48_29
; %bb.26:
	s_clause 0x1
	s_load_b96 s[4:6], s[0:1], 0x1c
	s_load_b96 s[8:10], s[0:1], 0xdc
	s_wait_kmcnt 0x0
	v_mul_hi_u32 v1, s5, v0
	s_delay_alu instid0(VALU_DEP_1) | instskip(NEXT) | instid1(VALU_DEP_1)
	v_add_nc_u32_e32 v1, v0, v1
	v_lshrrev_b32_e32 v1, s6, v1
	s_delay_alu instid0(VALU_DEP_1) | instskip(NEXT) | instid1(VALU_DEP_1)
	v_mul_lo_u32 v1, v1, s4
	v_sub_nc_u32_e32 v0, v0, v1
	s_delay_alu instid0(VALU_DEP_1)
	v_mad_u32 v43, v0, s8, v43
	v_mad_u32 v3, v0, s9, v3
	;; [unrolled: 1-line block ×3, first 2 shown]
	s_branch .LBB48_29
.LBB48_27:
                                        ; implicit-def: $vgpr2
                                        ; implicit-def: $vgpr3
                                        ; implicit-def: $vgpr43
	s_branch .LBB48_30
.LBB48_28:
	v_dual_mov_b32 v2, 0 :: v_dual_mov_b32 v3, 0
	v_mov_b32_e32 v43, 0
.LBB48_29:
	s_cbranch_execnz .LBB48_32
.LBB48_30:
	v_mov_b32_e32 v45, 0
	s_and_not1_b32 vcc_lo, exec_lo, s69
	s_delay_alu instid0(VALU_DEP_1) | instskip(NEXT) | instid1(VALU_DEP_1)
	v_mul_u64_e32 v[0:1], s[60:61], v[44:45]
	v_add_nc_u32_e32 v0, v44, v1
	s_delay_alu instid0(VALU_DEP_1) | instskip(NEXT) | instid1(VALU_DEP_1)
	v_lshrrev_b32_e32 v0, s50, v0
	v_mul_lo_u32 v1, v0, s48
	s_delay_alu instid0(VALU_DEP_1) | instskip(NEXT) | instid1(VALU_DEP_1)
	v_sub_nc_u32_e32 v1, v44, v1
	v_mul_lo_u32 v43, v1, s52
	v_mul_lo_u32 v2, v1, s54
	;; [unrolled: 1-line block ×3, first 2 shown]
	s_cbranch_vccnz .LBB48_32
; %bb.31:
	v_mov_b32_e32 v1, v45
	s_delay_alu instid0(VALU_DEP_1) | instskip(NEXT) | instid1(VALU_DEP_1)
	v_mul_u64_e32 v[4:5], s[64:65], v[0:1]
	v_add_nc_u32_e32 v1, v0, v5
	s_delay_alu instid0(VALU_DEP_1) | instskip(NEXT) | instid1(VALU_DEP_1)
	v_lshrrev_b32_e32 v1, s47, v1
	v_mul_lo_u32 v1, v1, s51
	s_delay_alu instid0(VALU_DEP_1) | instskip(NEXT) | instid1(VALU_DEP_1)
	v_sub_nc_u32_e32 v0, v0, v1
	v_mad_u32 v43, v0, s55, v43
	v_mad_u32 v3, v0, s62, v3
	;; [unrolled: 1-line block ×3, first 2 shown]
.LBB48_32:
	global_load_u16 v0, v2, s[56:57]
	s_wait_loadcnt 0x1
	global_load_b32 v40, v3, s[38:39]
	s_and_not1_b32 vcc_lo, exec_lo, s46
	s_wait_loadcnt 0x1
	v_cvt_f32_f16_e32 v42, v0
	s_cbranch_vccnz .LBB48_34
; %bb.33:
	s_wait_loadcnt 0x0
	s_delay_alu instid0(VALU_DEP_1) | instskip(SKIP_2) | instid1(SALU_CYCLE_1)
	v_dual_mov_b32 v0, v40 :: v_dual_mov_b32 v1, v42
	s_get_pc_i64 s[0:1]
	s_add_nc_u64 s[0:1], s[0:1], _ZN12_GLOBAL__N_111calc_igammaIfEET_S1_S1_@rel64+4
	s_swap_pc_i64 s[30:31], s[0:1]
	s_cbranch_execz .LBB48_35
	s_branch .LBB48_36
.LBB48_34:
                                        ; implicit-def: $vgpr0
.LBB48_35:
	s_wait_loadcnt 0x0
	s_delay_alu instid0(VALU_DEP_1) | instskip(SKIP_2) | instid1(SALU_CYCLE_1)
	v_dual_mov_b32 v0, v40 :: v_dual_mov_b32 v1, v42
	s_get_pc_i64 s[0:1]
	s_add_nc_u64 s[0:1], s[0:1], _ZN12_GLOBAL__N_112calc_igammacIfEET_S1_S1_@rel64+4
	s_swap_pc_i64 s[30:31], s[0:1]
.LBB48_36:
	v_add_nc_u32_e32 v44, 0x80, v44
	global_store_b32 v43, v0, s[36:37]
	s_wait_xcnt 0x0
	s_or_b32 exec_lo, exec_lo, s49
	s_delay_alu instid0(SALU_CYCLE_1)
	s_mov_b32 s49, exec_lo
	v_cmpx_gt_i32_e64 s71, v44
	s_cbranch_execz .LBB48_4
.LBB48_37:
	s_and_not1_b32 vcc_lo, exec_lo, s67
	s_cbranch_vccnz .LBB48_43
; %bb.38:
	s_and_not1_b32 vcc_lo, exec_lo, s72
	s_cbranch_vccnz .LBB48_44
; %bb.39:
	v_dual_mov_b32 v43, 0 :: v_dual_mov_b32 v0, v44
	v_dual_mov_b32 v3, 0 :: v_dual_mov_b32 v2, 0
	s_add_co_i32 s2, s70, 1
	s_mov_b64 s[0:1], 0xffffffffffffffe8
	s_and_b32 s2, s2, 30
	s_add_nc_u64 s[0:1], s[34:35], s[0:1]
.LBB48_40:                              ; =>This Inner Loop Header: Depth=1
	s_clause 0x1
	s_load_b128 s[4:7], s[0:1], 0x1c
	s_load_b64 s[12:13], s[0:1], 0x2c
	s_add_co_i32 s2, s2, -2
	s_delay_alu instid0(SALU_CYCLE_1) | instskip(SKIP_2) | instid1(VALU_DEP_1)
	s_cmp_eq_u32 s2, 0
	s_wait_kmcnt 0x0
	v_mul_hi_u32 v1, s5, v0
	v_add_nc_u32_e32 v1, v0, v1
	s_delay_alu instid0(VALU_DEP_1) | instskip(NEXT) | instid1(VALU_DEP_1)
	v_lshrrev_b32_e32 v1, s6, v1
	v_mul_hi_u32 v4, s12, v1
	v_mul_lo_u32 v5, v1, s4
	s_clause 0x1
	s_load_b128 s[8:11], s[0:1], 0xdc
	s_load_b64 s[4:5], s[0:1], 0xec
	s_wait_xcnt 0x0
	s_add_nc_u64 s[0:1], s[0:1], 24
	s_delay_alu instid0(VALU_DEP_1) | instskip(NEXT) | instid1(VALU_DEP_1)
	v_dual_add_nc_u32 v4, v1, v4 :: v_dual_sub_nc_u32 v5, v0, v5
	v_lshrrev_b32_e32 v0, s13, v4
	s_wait_kmcnt 0x0
	s_delay_alu instid0(VALU_DEP_2) | instskip(NEXT) | instid1(VALU_DEP_2)
	v_mad_u32 v6, v5, s8, v43
	v_mul_lo_u32 v4, v0, s7
	v_mad_u32 v2, v5, s10, v2
	v_mad_u32 v3, v5, s9, v3
	s_delay_alu instid0(VALU_DEP_3) | instskip(NEXT) | instid1(VALU_DEP_1)
	v_sub_nc_u32_e32 v1, v1, v4
	v_mad_u32 v43, v1, s11, v6
	s_delay_alu instid0(VALU_DEP_4) | instskip(NEXT) | instid1(VALU_DEP_4)
	v_mad_u32 v2, v1, s5, v2
	v_mad_u32 v3, v1, s4, v3
	s_cbranch_scc0 .LBB48_40
; %bb.41:
	s_bitcmp1_b32 s70, 0
	s_cselect_b32 s2, -1, 0
	s_delay_alu instid0(SALU_CYCLE_1)
	s_and_b32 vcc_lo, exec_lo, s2
	s_cbranch_vccnz .LBB48_45
; %bb.42:
	s_clause 0x1
	s_load_b96 s[4:6], s[0:1], 0x1c
	s_load_b96 s[8:10], s[0:1], 0xdc
	s_wait_kmcnt 0x0
	v_mul_hi_u32 v1, s5, v0
	s_delay_alu instid0(VALU_DEP_1) | instskip(NEXT) | instid1(VALU_DEP_1)
	v_add_nc_u32_e32 v1, v0, v1
	v_lshrrev_b32_e32 v1, s6, v1
	s_delay_alu instid0(VALU_DEP_1) | instskip(NEXT) | instid1(VALU_DEP_1)
	v_mul_lo_u32 v1, v1, s4
	v_sub_nc_u32_e32 v0, v0, v1
	s_delay_alu instid0(VALU_DEP_1)
	v_mad_u32 v43, v0, s8, v43
	v_mad_u32 v3, v0, s9, v3
	;; [unrolled: 1-line block ×3, first 2 shown]
	s_branch .LBB48_45
.LBB48_43:
                                        ; implicit-def: $vgpr2
                                        ; implicit-def: $vgpr3
                                        ; implicit-def: $vgpr43
	s_branch .LBB48_46
.LBB48_44:
	v_dual_mov_b32 v2, 0 :: v_dual_mov_b32 v3, 0
	v_mov_b32_e32 v43, 0
.LBB48_45:
	s_cbranch_execnz .LBB48_48
.LBB48_46:
	v_mov_b32_e32 v45, 0
	s_and_not1_b32 vcc_lo, exec_lo, s69
	s_delay_alu instid0(VALU_DEP_1) | instskip(NEXT) | instid1(VALU_DEP_1)
	v_mul_u64_e32 v[0:1], s[60:61], v[44:45]
	v_add_nc_u32_e32 v0, v44, v1
	s_delay_alu instid0(VALU_DEP_1) | instskip(NEXT) | instid1(VALU_DEP_1)
	v_lshrrev_b32_e32 v0, s50, v0
	v_mul_lo_u32 v1, v0, s48
	s_delay_alu instid0(VALU_DEP_1) | instskip(NEXT) | instid1(VALU_DEP_1)
	v_sub_nc_u32_e32 v1, v44, v1
	v_mul_lo_u32 v43, v1, s52
	v_mul_lo_u32 v2, v1, s54
	;; [unrolled: 1-line block ×3, first 2 shown]
	s_cbranch_vccnz .LBB48_48
; %bb.47:
	v_mov_b32_e32 v1, v45
	s_delay_alu instid0(VALU_DEP_1) | instskip(NEXT) | instid1(VALU_DEP_1)
	v_mul_u64_e32 v[4:5], s[64:65], v[0:1]
	v_add_nc_u32_e32 v1, v0, v5
	s_delay_alu instid0(VALU_DEP_1) | instskip(NEXT) | instid1(VALU_DEP_1)
	v_lshrrev_b32_e32 v1, s47, v1
	v_mul_lo_u32 v1, v1, s51
	s_delay_alu instid0(VALU_DEP_1) | instskip(NEXT) | instid1(VALU_DEP_1)
	v_sub_nc_u32_e32 v0, v0, v1
	v_mad_u32 v43, v0, s55, v43
	v_mad_u32 v3, v0, s62, v3
	;; [unrolled: 1-line block ×3, first 2 shown]
.LBB48_48:
	global_load_u16 v0, v2, s[56:57]
	s_wait_loadcnt 0x1
	global_load_b32 v40, v3, s[38:39]
	s_and_not1_b32 vcc_lo, exec_lo, s46
	s_wait_loadcnt 0x1
	v_cvt_f32_f16_e32 v42, v0
	s_cbranch_vccnz .LBB48_50
; %bb.49:
	s_wait_loadcnt 0x0
	s_delay_alu instid0(VALU_DEP_1) | instskip(SKIP_2) | instid1(SALU_CYCLE_1)
	v_dual_mov_b32 v0, v40 :: v_dual_mov_b32 v1, v42
	s_get_pc_i64 s[0:1]
	s_add_nc_u64 s[0:1], s[0:1], _ZN12_GLOBAL__N_111calc_igammaIfEET_S1_S1_@rel64+4
	s_swap_pc_i64 s[30:31], s[0:1]
	s_cbranch_execz .LBB48_51
	s_branch .LBB48_52
.LBB48_50:
                                        ; implicit-def: $vgpr0
.LBB48_51:
	s_wait_loadcnt 0x0
	s_delay_alu instid0(VALU_DEP_1) | instskip(SKIP_2) | instid1(SALU_CYCLE_1)
	v_dual_mov_b32 v0, v40 :: v_dual_mov_b32 v1, v42
	s_get_pc_i64 s[0:1]
	s_add_nc_u64 s[0:1], s[0:1], _ZN12_GLOBAL__N_112calc_igammacIfEET_S1_S1_@rel64+4
	s_swap_pc_i64 s[30:31], s[0:1]
.LBB48_52:
	v_add_nc_u32_e32 v44, 0x80, v44
	global_store_b32 v43, v0, s[36:37]
	s_wait_xcnt 0x0
	s_or_b32 exec_lo, exec_lo, s49
	s_delay_alu instid0(SALU_CYCLE_1)
	s_mov_b32 s49, exec_lo
	v_cmpx_gt_i32_e64 s71, v44
	s_cbranch_execz .LBB48_69
.LBB48_53:
	s_and_not1_b32 vcc_lo, exec_lo, s67
	s_cbranch_vccnz .LBB48_59
; %bb.54:
	s_and_not1_b32 vcc_lo, exec_lo, s72
	s_cbranch_vccnz .LBB48_60
; %bb.55:
	v_dual_mov_b32 v43, 0 :: v_dual_mov_b32 v0, v44
	v_dual_mov_b32 v3, 0 :: v_dual_mov_b32 v2, 0
	s_add_co_i32 s2, s70, 1
	s_mov_b64 s[0:1], 0xffffffffffffffe8
	s_and_b32 s2, s2, 30
	s_add_nc_u64 s[0:1], s[34:35], s[0:1]
.LBB48_56:                              ; =>This Inner Loop Header: Depth=1
	s_clause 0x1
	s_load_b128 s[4:7], s[0:1], 0x1c
	s_load_b64 s[12:13], s[0:1], 0x2c
	s_add_co_i32 s2, s2, -2
	s_delay_alu instid0(SALU_CYCLE_1) | instskip(SKIP_2) | instid1(VALU_DEP_1)
	s_cmp_eq_u32 s2, 0
	s_wait_kmcnt 0x0
	v_mul_hi_u32 v1, s5, v0
	v_add_nc_u32_e32 v1, v0, v1
	s_delay_alu instid0(VALU_DEP_1) | instskip(NEXT) | instid1(VALU_DEP_1)
	v_lshrrev_b32_e32 v1, s6, v1
	v_mul_hi_u32 v4, s12, v1
	v_mul_lo_u32 v5, v1, s4
	s_clause 0x1
	s_load_b128 s[8:11], s[0:1], 0xdc
	s_load_b64 s[4:5], s[0:1], 0xec
	s_wait_xcnt 0x0
	s_add_nc_u64 s[0:1], s[0:1], 24
	s_delay_alu instid0(VALU_DEP_1) | instskip(NEXT) | instid1(VALU_DEP_1)
	v_dual_add_nc_u32 v4, v1, v4 :: v_dual_sub_nc_u32 v5, v0, v5
	v_lshrrev_b32_e32 v0, s13, v4
	s_wait_kmcnt 0x0
	s_delay_alu instid0(VALU_DEP_2) | instskip(NEXT) | instid1(VALU_DEP_2)
	v_mad_u32 v6, v5, s8, v43
	v_mul_lo_u32 v4, v0, s7
	v_mad_u32 v2, v5, s10, v2
	v_mad_u32 v3, v5, s9, v3
	s_delay_alu instid0(VALU_DEP_3) | instskip(NEXT) | instid1(VALU_DEP_1)
	v_sub_nc_u32_e32 v1, v1, v4
	v_mad_u32 v43, v1, s11, v6
	s_delay_alu instid0(VALU_DEP_4) | instskip(NEXT) | instid1(VALU_DEP_4)
	v_mad_u32 v2, v1, s5, v2
	v_mad_u32 v3, v1, s4, v3
	s_cbranch_scc0 .LBB48_56
; %bb.57:
	s_bitcmp1_b32 s70, 0
	s_cselect_b32 s2, -1, 0
	s_delay_alu instid0(SALU_CYCLE_1)
	s_and_b32 vcc_lo, exec_lo, s2
	s_cbranch_vccnz .LBB48_61
; %bb.58:
	s_clause 0x1
	s_load_b96 s[4:6], s[0:1], 0x1c
	s_load_b96 s[8:10], s[0:1], 0xdc
	s_wait_kmcnt 0x0
	v_mul_hi_u32 v1, s5, v0
	s_delay_alu instid0(VALU_DEP_1) | instskip(NEXT) | instid1(VALU_DEP_1)
	v_add_nc_u32_e32 v1, v0, v1
	v_lshrrev_b32_e32 v1, s6, v1
	s_delay_alu instid0(VALU_DEP_1) | instskip(NEXT) | instid1(VALU_DEP_1)
	v_mul_lo_u32 v1, v1, s4
	v_sub_nc_u32_e32 v0, v0, v1
	s_delay_alu instid0(VALU_DEP_1)
	v_mad_u32 v43, v0, s8, v43
	v_mad_u32 v3, v0, s9, v3
	;; [unrolled: 1-line block ×3, first 2 shown]
	s_branch .LBB48_61
.LBB48_59:
                                        ; implicit-def: $vgpr2
                                        ; implicit-def: $vgpr3
                                        ; implicit-def: $vgpr43
	s_branch .LBB48_62
.LBB48_60:
	v_dual_mov_b32 v2, 0 :: v_dual_mov_b32 v3, 0
	v_mov_b32_e32 v43, 0
.LBB48_61:
	s_cbranch_execnz .LBB48_64
.LBB48_62:
	v_mov_b32_e32 v45, 0
	s_and_not1_b32 vcc_lo, exec_lo, s69
	s_delay_alu instid0(VALU_DEP_1) | instskip(NEXT) | instid1(VALU_DEP_1)
	v_mul_u64_e32 v[0:1], s[60:61], v[44:45]
	v_add_nc_u32_e32 v0, v44, v1
	s_delay_alu instid0(VALU_DEP_1) | instskip(NEXT) | instid1(VALU_DEP_1)
	v_lshrrev_b32_e32 v0, s50, v0
	v_mul_lo_u32 v1, v0, s48
	s_delay_alu instid0(VALU_DEP_1) | instskip(NEXT) | instid1(VALU_DEP_1)
	v_sub_nc_u32_e32 v1, v44, v1
	v_mul_lo_u32 v43, v1, s52
	v_mul_lo_u32 v2, v1, s54
	;; [unrolled: 1-line block ×3, first 2 shown]
	s_cbranch_vccnz .LBB48_64
; %bb.63:
	v_mov_b32_e32 v1, v45
	s_delay_alu instid0(VALU_DEP_1) | instskip(NEXT) | instid1(VALU_DEP_1)
	v_mul_u64_e32 v[4:5], s[64:65], v[0:1]
	v_add_nc_u32_e32 v1, v0, v5
	s_delay_alu instid0(VALU_DEP_1) | instskip(NEXT) | instid1(VALU_DEP_1)
	v_lshrrev_b32_e32 v1, s47, v1
	v_mul_lo_u32 v1, v1, s51
	s_delay_alu instid0(VALU_DEP_1) | instskip(NEXT) | instid1(VALU_DEP_1)
	v_sub_nc_u32_e32 v0, v0, v1
	v_mad_u32 v43, v0, s55, v43
	v_mad_u32 v3, v0, s62, v3
	;; [unrolled: 1-line block ×3, first 2 shown]
.LBB48_64:
	global_load_u16 v0, v2, s[56:57]
	s_wait_loadcnt 0x1
	global_load_b32 v40, v3, s[38:39]
	s_and_not1_b32 vcc_lo, exec_lo, s46
	s_wait_loadcnt 0x1
	v_cvt_f32_f16_e32 v42, v0
	s_cbranch_vccnz .LBB48_66
; %bb.65:
	s_wait_loadcnt 0x0
	s_delay_alu instid0(VALU_DEP_1) | instskip(SKIP_2) | instid1(SALU_CYCLE_1)
	v_dual_mov_b32 v0, v40 :: v_dual_mov_b32 v1, v42
	s_get_pc_i64 s[0:1]
	s_add_nc_u64 s[0:1], s[0:1], _ZN12_GLOBAL__N_111calc_igammaIfEET_S1_S1_@rel64+4
	s_swap_pc_i64 s[30:31], s[0:1]
	s_cbranch_execz .LBB48_67
	s_branch .LBB48_68
.LBB48_66:
                                        ; implicit-def: $vgpr0
.LBB48_67:
	s_wait_loadcnt 0x0
	s_delay_alu instid0(VALU_DEP_1) | instskip(SKIP_2) | instid1(SALU_CYCLE_1)
	v_dual_mov_b32 v0, v40 :: v_dual_mov_b32 v1, v42
	s_get_pc_i64 s[0:1]
	s_add_nc_u64 s[0:1], s[0:1], _ZN12_GLOBAL__N_112calc_igammacIfEET_S1_S1_@rel64+4
	s_swap_pc_i64 s[30:31], s[0:1]
.LBB48_68:
	global_store_b32 v43, v0, s[36:37]
.LBB48_69:
	s_wait_xcnt 0x0
	s_or_b32 exec_lo, exec_lo, s49
                                        ; implicit-def: $vgpr0
                                        ; implicit-def: $vgpr44
.LBB48_70:
	s_and_not1_saveexec_b32 s0, s68
	s_cbranch_execz .LBB48_77
; %bb.71:
	v_cndmask_b32_e64 v3, 0, 1, s67
	s_and_not1_b32 vcc_lo, exec_lo, s67
	s_cbranch_vccnz .LBB48_78
; %bb.72:
	s_cmp_lg_u32 s59, 0
	s_mov_b32 s2, 0
	s_cbranch_scc0 .LBB48_82
; %bb.73:
	s_min_u32 s3, s66, 15
	v_dual_mov_b32 v46, 0 :: v_dual_mov_b32 v4, v44
	v_dual_mov_b32 v2, 0 :: v_dual_mov_b32 v1, 0
	s_add_co_i32 s4, s3, 1
	s_mov_b64 s[0:1], 0xffffffffffffffe8
	s_and_b32 s4, s4, 30
	s_add_nc_u64 s[0:1], s[34:35], s[0:1]
.LBB48_74:                              ; =>This Inner Loop Header: Depth=1
	s_clause 0x1
	s_load_b128 s[8:11], s[0:1], 0x1c
	s_load_b64 s[6:7], s[0:1], 0x2c
	s_add_co_i32 s4, s4, -2
	s_delay_alu instid0(SALU_CYCLE_1) | instskip(SKIP_2) | instid1(VALU_DEP_1)
	s_cmp_lg_u32 s4, 0
	s_wait_kmcnt 0x0
	v_mul_hi_u32 v5, s9, v4
	v_add_nc_u32_e32 v5, v4, v5
	s_delay_alu instid0(VALU_DEP_1) | instskip(NEXT) | instid1(VALU_DEP_1)
	v_lshrrev_b32_e32 v5, s10, v5
	v_mul_hi_u32 v6, s6, v5
	v_mul_lo_u32 v7, v5, s8
	s_clause 0x1
	s_load_b128 s[12:15], s[0:1], 0xdc
	s_load_b64 s[8:9], s[0:1], 0xec
	s_wait_xcnt 0x0
	s_add_nc_u64 s[0:1], s[0:1], 24
	s_delay_alu instid0(VALU_DEP_1) | instskip(NEXT) | instid1(VALU_DEP_1)
	v_dual_add_nc_u32 v6, v5, v6 :: v_dual_sub_nc_u32 v7, v4, v7
	v_lshrrev_b32_e32 v4, s7, v6
	s_wait_kmcnt 0x0
	s_delay_alu instid0(VALU_DEP_2) | instskip(NEXT) | instid1(VALU_DEP_2)
	v_mad_u32 v8, v7, s12, v46
	v_mul_lo_u32 v6, v4, s11
	v_mad_u32 v1, v7, s14, v1
	v_mad_u32 v2, v7, s13, v2
	s_delay_alu instid0(VALU_DEP_3) | instskip(NEXT) | instid1(VALU_DEP_1)
	v_sub_nc_u32_e32 v5, v5, v6
	v_mad_u32 v46, v5, s15, v8
	s_delay_alu instid0(VALU_DEP_4) | instskip(NEXT) | instid1(VALU_DEP_4)
	v_mad_u32 v1, v5, s9, v1
	v_mad_u32 v2, v5, s8, v2
	s_cbranch_scc1 .LBB48_74
; %bb.75:
	s_bitcmp1_b32 s3, 0
	s_cselect_b32 s3, -1, 0
	s_delay_alu instid0(SALU_CYCLE_1)
	s_and_b32 vcc_lo, exec_lo, s3
	s_cbranch_vccnz .LBB48_79
; %bb.76:
	s_clause 0x1
	s_load_b96 s[4:6], s[0:1], 0x1c
	s_load_b96 s[8:10], s[0:1], 0xdc
	s_wait_kmcnt 0x0
	v_mul_hi_u32 v5, s5, v4
	s_delay_alu instid0(VALU_DEP_1) | instskip(NEXT) | instid1(VALU_DEP_1)
	v_add_nc_u32_e32 v5, v4, v5
	v_lshrrev_b32_e32 v5, s6, v5
	s_delay_alu instid0(VALU_DEP_1) | instskip(NEXT) | instid1(VALU_DEP_1)
	v_mul_lo_u32 v5, v5, s4
	v_sub_nc_u32_e32 v4, v4, v5
	s_delay_alu instid0(VALU_DEP_1)
	v_mad_u32 v46, v4, s8, v46
	v_mad_u32 v2, v4, s9, v2
	v_mad_u32 v1, v4, s10, v1
	s_and_not1_b32 vcc_lo, exec_lo, s2
	s_cbranch_vccz .LBB48_80
	s_branch .LBB48_83
.LBB48_77:
	s_endpgm
.LBB48_78:
	s_mov_b32 s2, -1
                                        ; implicit-def: $vgpr1
                                        ; implicit-def: $vgpr2
                                        ; implicit-def: $vgpr46
.LBB48_79:
	s_delay_alu instid0(SALU_CYCLE_1)
	s_and_not1_b32 vcc_lo, exec_lo, s2
	s_cbranch_vccnz .LBB48_83
.LBB48_80:
	s_clause 0x1
	s_load_b96 s[0:2], s[34:35], 0x4
	s_load_b96 s[4:6], s[34:35], 0xc4
	s_cmp_lt_u32 s59, 2
	s_wait_kmcnt 0x0
	v_mul_hi_u32 v1, s1, v44
	s_delay_alu instid0(VALU_DEP_1) | instskip(NEXT) | instid1(VALU_DEP_1)
	v_add_nc_u32_e32 v1, v44, v1
	v_lshrrev_b32_e32 v4, s2, v1
	s_delay_alu instid0(VALU_DEP_1) | instskip(NEXT) | instid1(VALU_DEP_1)
	v_mul_lo_u32 v1, v4, s0
	v_sub_nc_u32_e32 v2, v44, v1
	s_delay_alu instid0(VALU_DEP_1)
	v_mul_lo_u32 v46, v2, s4
	v_mul_lo_u32 v1, v2, s6
	;; [unrolled: 1-line block ×3, first 2 shown]
	s_cbranch_scc1 .LBB48_83
; %bb.81:
	s_clause 0x1
	s_load_b96 s[0:2], s[34:35], 0x10
	s_load_b96 s[4:6], s[34:35], 0xd0
	s_wait_kmcnt 0x0
	v_mul_hi_u32 v5, s1, v4
	s_delay_alu instid0(VALU_DEP_1) | instskip(NEXT) | instid1(VALU_DEP_1)
	v_add_nc_u32_e32 v5, v4, v5
	v_lshrrev_b32_e32 v5, s2, v5
	s_delay_alu instid0(VALU_DEP_1) | instskip(NEXT) | instid1(VALU_DEP_1)
	v_mul_lo_u32 v5, v5, s0
	v_sub_nc_u32_e32 v4, v4, v5
	s_delay_alu instid0(VALU_DEP_1)
	v_mad_u32 v46, v4, s4, v46
	v_mad_u32 v2, v4, s5, v2
	v_mad_u32 v1, v4, s6, v1
	s_branch .LBB48_83
.LBB48_82:
	v_dual_mov_b32 v1, 0 :: v_dual_mov_b32 v2, 0
	v_mov_b32_e32 v46, 0
	s_and_not1_b32 vcc_lo, exec_lo, s2
	s_cbranch_vccz .LBB48_80
.LBB48_83:
	v_cmp_ne_u32_e32 vcc_lo, 1, v3
	v_add_nc_u32_e32 v4, 0x80, v44
	s_cbranch_vccnz .LBB48_89
; %bb.84:
	s_cmp_lg_u32 s59, 0
	s_mov_b32 s2, 0
	s_cbranch_scc0 .LBB48_93
; %bb.85:
	s_min_u32 s3, s66, 15
	v_dual_mov_b32 v47, 0 :: v_dual_mov_b32 v5, v4
	v_dual_mov_b32 v56, 0 :: v_dual_mov_b32 v45, 0
	s_add_co_i32 s4, s3, 1
	s_mov_b64 s[0:1], 0xffffffffffffffe8
	s_and_b32 s4, s4, 30
	s_add_nc_u64 s[0:1], s[34:35], s[0:1]
.LBB48_86:                              ; =>This Inner Loop Header: Depth=1
	s_clause 0x1
	s_load_b128 s[8:11], s[0:1], 0x1c
	s_load_b64 s[6:7], s[0:1], 0x2c
	s_add_co_i32 s4, s4, -2
	s_delay_alu instid0(SALU_CYCLE_1) | instskip(SKIP_2) | instid1(VALU_DEP_1)
	s_cmp_lg_u32 s4, 0
	s_wait_kmcnt 0x0
	v_mul_hi_u32 v6, s9, v5
	v_add_nc_u32_e32 v6, v5, v6
	s_delay_alu instid0(VALU_DEP_1) | instskip(NEXT) | instid1(VALU_DEP_1)
	v_lshrrev_b32_e32 v6, s10, v6
	v_mul_hi_u32 v7, s6, v6
	v_mul_lo_u32 v8, v6, s8
	s_clause 0x1
	s_load_b128 s[12:15], s[0:1], 0xdc
	s_load_b64 s[8:9], s[0:1], 0xec
	s_wait_xcnt 0x0
	s_add_nc_u64 s[0:1], s[0:1], 24
	s_delay_alu instid0(VALU_DEP_1) | instskip(NEXT) | instid1(VALU_DEP_1)
	v_dual_add_nc_u32 v7, v6, v7 :: v_dual_sub_nc_u32 v8, v5, v8
	v_lshrrev_b32_e32 v5, s7, v7
	s_wait_kmcnt 0x0
	s_delay_alu instid0(VALU_DEP_2) | instskip(NEXT) | instid1(VALU_DEP_2)
	v_mad_u32 v9, v8, s12, v47
	v_mul_lo_u32 v7, v5, s11
	v_mad_u32 v10, v8, s14, v45
	v_mad_u32 v8, v8, s13, v56
	s_delay_alu instid0(VALU_DEP_3) | instskip(NEXT) | instid1(VALU_DEP_1)
	v_sub_nc_u32_e32 v6, v6, v7
	v_mad_u32 v47, v6, s15, v9
	s_delay_alu instid0(VALU_DEP_4) | instskip(NEXT) | instid1(VALU_DEP_4)
	v_mad_u32 v45, v6, s9, v10
	v_mad_u32 v56, v6, s8, v8
	s_cbranch_scc1 .LBB48_86
; %bb.87:
	s_bitcmp1_b32 s3, 0
	s_cselect_b32 s3, -1, 0
	s_delay_alu instid0(SALU_CYCLE_1)
	s_and_b32 vcc_lo, exec_lo, s3
	s_cbranch_vccnz .LBB48_90
; %bb.88:
	s_clause 0x1
	s_load_b96 s[4:6], s[0:1], 0x1c
	s_load_b96 s[8:10], s[0:1], 0xdc
	s_wait_kmcnt 0x0
	v_mul_hi_u32 v6, s5, v5
	s_delay_alu instid0(VALU_DEP_1) | instskip(NEXT) | instid1(VALU_DEP_1)
	v_add_nc_u32_e32 v6, v5, v6
	v_lshrrev_b32_e32 v6, s6, v6
	s_delay_alu instid0(VALU_DEP_1) | instskip(NEXT) | instid1(VALU_DEP_1)
	v_mul_lo_u32 v6, v6, s4
	v_sub_nc_u32_e32 v5, v5, v6
	s_delay_alu instid0(VALU_DEP_1)
	v_mad_u32 v47, v5, s8, v47
	v_mad_u32 v56, v5, s9, v56
	v_mad_u32 v45, v5, s10, v45
	s_and_not1_b32 vcc_lo, exec_lo, s2
	s_cbranch_vccz .LBB48_91
	s_branch .LBB48_94
.LBB48_89:
	s_mov_b32 s2, -1
                                        ; implicit-def: $vgpr45
                                        ; implicit-def: $vgpr56
                                        ; implicit-def: $vgpr47
.LBB48_90:
	s_delay_alu instid0(SALU_CYCLE_1)
	s_and_not1_b32 vcc_lo, exec_lo, s2
	s_cbranch_vccnz .LBB48_94
.LBB48_91:
	s_clause 0x1
	s_load_b96 s[0:2], s[34:35], 0x4
	s_load_b96 s[4:6], s[34:35], 0xc4
	s_cmp_lt_u32 s59, 2
	s_wait_kmcnt 0x0
	v_mul_hi_u32 v5, s1, v4
	s_delay_alu instid0(VALU_DEP_1) | instskip(NEXT) | instid1(VALU_DEP_1)
	v_add_nc_u32_e32 v5, v4, v5
	v_lshrrev_b32_e32 v5, s2, v5
	s_delay_alu instid0(VALU_DEP_1) | instskip(NEXT) | instid1(VALU_DEP_1)
	v_mul_lo_u32 v6, v5, s0
	v_sub_nc_u32_e32 v4, v4, v6
	s_delay_alu instid0(VALU_DEP_1)
	v_mul_lo_u32 v47, v4, s4
	v_mul_lo_u32 v45, v4, s6
	;; [unrolled: 1-line block ×3, first 2 shown]
	s_cbranch_scc1 .LBB48_94
; %bb.92:
	s_clause 0x1
	s_load_b96 s[0:2], s[34:35], 0x10
	s_load_b96 s[4:6], s[34:35], 0xd0
	s_wait_kmcnt 0x0
	v_mul_hi_u32 v4, s1, v5
	s_delay_alu instid0(VALU_DEP_1) | instskip(NEXT) | instid1(VALU_DEP_1)
	v_add_nc_u32_e32 v4, v5, v4
	v_lshrrev_b32_e32 v4, s2, v4
	s_delay_alu instid0(VALU_DEP_1) | instskip(NEXT) | instid1(VALU_DEP_1)
	v_mul_lo_u32 v4, v4, s0
	v_sub_nc_u32_e32 v4, v5, v4
	s_delay_alu instid0(VALU_DEP_1)
	v_mad_u32 v47, v4, s4, v47
	v_mad_u32 v56, v4, s5, v56
	;; [unrolled: 1-line block ×3, first 2 shown]
	s_branch .LBB48_94
.LBB48_93:
	v_dual_mov_b32 v45, 0 :: v_dual_mov_b32 v56, 0
	v_mov_b32_e32 v47, 0
	s_and_not1_b32 vcc_lo, exec_lo, s2
	s_cbranch_vccz .LBB48_91
.LBB48_94:
	v_cmp_ne_u32_e32 vcc_lo, 1, v3
	v_add_nc_u32_e32 v4, 0x100, v44
	s_cbranch_vccnz .LBB48_100
; %bb.95:
	s_cmp_lg_u32 s59, 0
	s_mov_b32 s2, 0
	s_cbranch_scc0 .LBB48_104
; %bb.96:
	s_min_u32 s3, s66, 15
	v_dual_mov_b32 v57, 0 :: v_dual_mov_b32 v5, v4
	v_dual_mov_b32 v59, 0 :: v_dual_mov_b32 v58, 0
	s_add_co_i32 s4, s3, 1
	s_mov_b64 s[0:1], 0xffffffffffffffe8
	s_and_b32 s4, s4, 30
	s_add_nc_u64 s[0:1], s[34:35], s[0:1]
.LBB48_97:                              ; =>This Inner Loop Header: Depth=1
	s_clause 0x1
	s_load_b128 s[8:11], s[0:1], 0x1c
	s_load_b64 s[6:7], s[0:1], 0x2c
	s_add_co_i32 s4, s4, -2
	s_delay_alu instid0(SALU_CYCLE_1) | instskip(SKIP_2) | instid1(VALU_DEP_1)
	s_cmp_lg_u32 s4, 0
	s_wait_kmcnt 0x0
	v_mul_hi_u32 v6, s9, v5
	v_add_nc_u32_e32 v6, v5, v6
	s_delay_alu instid0(VALU_DEP_1) | instskip(NEXT) | instid1(VALU_DEP_1)
	v_lshrrev_b32_e32 v6, s10, v6
	v_mul_hi_u32 v7, s6, v6
	v_mul_lo_u32 v8, v6, s8
	s_clause 0x1
	s_load_b128 s[12:15], s[0:1], 0xdc
	s_load_b64 s[8:9], s[0:1], 0xec
	s_wait_xcnt 0x0
	s_add_nc_u64 s[0:1], s[0:1], 24
	s_delay_alu instid0(VALU_DEP_1) | instskip(NEXT) | instid1(VALU_DEP_1)
	v_dual_add_nc_u32 v7, v6, v7 :: v_dual_sub_nc_u32 v8, v5, v8
	v_lshrrev_b32_e32 v5, s7, v7
	s_wait_kmcnt 0x0
	s_delay_alu instid0(VALU_DEP_2) | instskip(NEXT) | instid1(VALU_DEP_2)
	v_mad_u32 v9, v8, s12, v57
	v_mul_lo_u32 v7, v5, s11
	v_mad_u32 v10, v8, s14, v58
	v_mad_u32 v8, v8, s13, v59
	s_delay_alu instid0(VALU_DEP_3) | instskip(NEXT) | instid1(VALU_DEP_1)
	v_sub_nc_u32_e32 v6, v6, v7
	v_mad_u32 v57, v6, s15, v9
	s_delay_alu instid0(VALU_DEP_4) | instskip(NEXT) | instid1(VALU_DEP_4)
	v_mad_u32 v58, v6, s9, v10
	v_mad_u32 v59, v6, s8, v8
	s_cbranch_scc1 .LBB48_97
; %bb.98:
	s_bitcmp1_b32 s3, 0
	s_cselect_b32 s3, -1, 0
	s_delay_alu instid0(SALU_CYCLE_1)
	s_and_b32 vcc_lo, exec_lo, s3
	s_cbranch_vccnz .LBB48_101
; %bb.99:
	s_clause 0x1
	s_load_b96 s[4:6], s[0:1], 0x1c
	s_load_b96 s[8:10], s[0:1], 0xdc
	s_wait_kmcnt 0x0
	v_mul_hi_u32 v6, s5, v5
	s_delay_alu instid0(VALU_DEP_1) | instskip(NEXT) | instid1(VALU_DEP_1)
	v_add_nc_u32_e32 v6, v5, v6
	v_lshrrev_b32_e32 v6, s6, v6
	s_delay_alu instid0(VALU_DEP_1) | instskip(NEXT) | instid1(VALU_DEP_1)
	v_mul_lo_u32 v6, v6, s4
	v_sub_nc_u32_e32 v5, v5, v6
	s_delay_alu instid0(VALU_DEP_1)
	v_mad_u32 v57, v5, s8, v57
	v_mad_u32 v59, v5, s9, v59
	;; [unrolled: 1-line block ×3, first 2 shown]
	s_and_not1_b32 vcc_lo, exec_lo, s2
	s_cbranch_vccz .LBB48_102
	s_branch .LBB48_105
.LBB48_100:
	s_mov_b32 s2, -1
                                        ; implicit-def: $vgpr58
                                        ; implicit-def: $vgpr59
                                        ; implicit-def: $vgpr57
.LBB48_101:
	s_delay_alu instid0(SALU_CYCLE_1)
	s_and_not1_b32 vcc_lo, exec_lo, s2
	s_cbranch_vccnz .LBB48_105
.LBB48_102:
	s_clause 0x1
	s_load_b96 s[0:2], s[34:35], 0x4
	s_load_b96 s[4:6], s[34:35], 0xc4
	s_cmp_lt_u32 s59, 2
	s_wait_kmcnt 0x0
	v_mul_hi_u32 v5, s1, v4
	s_delay_alu instid0(VALU_DEP_1) | instskip(NEXT) | instid1(VALU_DEP_1)
	v_add_nc_u32_e32 v5, v4, v5
	v_lshrrev_b32_e32 v5, s2, v5
	s_delay_alu instid0(VALU_DEP_1) | instskip(NEXT) | instid1(VALU_DEP_1)
	v_mul_lo_u32 v6, v5, s0
	v_sub_nc_u32_e32 v4, v4, v6
	s_delay_alu instid0(VALU_DEP_1)
	v_mul_lo_u32 v57, v4, s4
	v_mul_lo_u32 v58, v4, s6
	;; [unrolled: 1-line block ×3, first 2 shown]
	s_cbranch_scc1 .LBB48_105
; %bb.103:
	s_clause 0x1
	s_load_b96 s[0:2], s[34:35], 0x10
	s_load_b96 s[4:6], s[34:35], 0xd0
	s_wait_kmcnt 0x0
	v_mul_hi_u32 v4, s1, v5
	s_delay_alu instid0(VALU_DEP_1) | instskip(NEXT) | instid1(VALU_DEP_1)
	v_add_nc_u32_e32 v4, v5, v4
	v_lshrrev_b32_e32 v4, s2, v4
	s_delay_alu instid0(VALU_DEP_1) | instskip(NEXT) | instid1(VALU_DEP_1)
	v_mul_lo_u32 v4, v4, s0
	v_sub_nc_u32_e32 v4, v5, v4
	s_delay_alu instid0(VALU_DEP_1)
	v_mad_u32 v57, v4, s4, v57
	v_mad_u32 v59, v4, s5, v59
	v_mad_u32 v58, v4, s6, v58
	s_branch .LBB48_105
.LBB48_104:
	v_dual_mov_b32 v58, 0 :: v_dual_mov_b32 v59, 0
	v_mov_b32_e32 v57, 0
	s_and_not1_b32 vcc_lo, exec_lo, s2
	s_cbranch_vccz .LBB48_102
.LBB48_105:
	v_cmp_ne_u32_e32 vcc_lo, 1, v3
	s_cbranch_vccnz .LBB48_111
; %bb.106:
	s_cmp_lg_u32 s59, 0
	s_mov_b32 s2, 0
	s_cbranch_scc0 .LBB48_115
; %bb.107:
	s_min_u32 s3, s66, 15
	v_dual_mov_b32 v60, 0 :: v_dual_mov_b32 v3, v0
	v_dual_mov_b32 v61, 0 :: v_dual_mov_b32 v62, 0
	s_add_co_i32 s4, s3, 1
	s_mov_b64 s[0:1], 0xffffffffffffffe8
	s_and_b32 s4, s4, 30
	s_add_nc_u64 s[0:1], s[34:35], s[0:1]
.LBB48_108:                             ; =>This Inner Loop Header: Depth=1
	s_clause 0x1
	s_load_b128 s[8:11], s[0:1], 0x1c
	s_load_b64 s[6:7], s[0:1], 0x2c
	s_add_co_i32 s4, s4, -2
	s_delay_alu instid0(SALU_CYCLE_1) | instskip(SKIP_2) | instid1(VALU_DEP_1)
	s_cmp_lg_u32 s4, 0
	s_wait_kmcnt 0x0
	v_mul_hi_u32 v4, s9, v3
	v_add_nc_u32_e32 v4, v3, v4
	s_delay_alu instid0(VALU_DEP_1) | instskip(NEXT) | instid1(VALU_DEP_1)
	v_lshrrev_b32_e32 v4, s10, v4
	v_mul_hi_u32 v5, s6, v4
	v_mul_lo_u32 v6, v4, s8
	s_clause 0x1
	s_load_b128 s[12:15], s[0:1], 0xdc
	s_load_b64 s[8:9], s[0:1], 0xec
	s_wait_xcnt 0x0
	s_add_nc_u64 s[0:1], s[0:1], 24
	s_delay_alu instid0(VALU_DEP_1) | instskip(NEXT) | instid1(VALU_DEP_1)
	v_dual_add_nc_u32 v5, v4, v5 :: v_dual_sub_nc_u32 v6, v3, v6
	v_lshrrev_b32_e32 v3, s7, v5
	s_wait_kmcnt 0x0
	s_delay_alu instid0(VALU_DEP_2) | instskip(NEXT) | instid1(VALU_DEP_2)
	v_mad_u32 v7, v6, s12, v60
	v_mul_lo_u32 v5, v3, s11
	v_mad_u32 v8, v6, s14, v62
	v_mad_u32 v6, v6, s13, v61
	s_delay_alu instid0(VALU_DEP_3) | instskip(NEXT) | instid1(VALU_DEP_1)
	v_sub_nc_u32_e32 v4, v4, v5
	v_mad_u32 v60, v4, s15, v7
	s_delay_alu instid0(VALU_DEP_4) | instskip(NEXT) | instid1(VALU_DEP_4)
	v_mad_u32 v62, v4, s9, v8
	v_mad_u32 v61, v4, s8, v6
	s_cbranch_scc1 .LBB48_108
; %bb.109:
	s_bitcmp1_b32 s3, 0
	s_cselect_b32 s3, -1, 0
	s_delay_alu instid0(SALU_CYCLE_1)
	s_and_b32 vcc_lo, exec_lo, s3
	s_cbranch_vccnz .LBB48_112
; %bb.110:
	s_clause 0x1
	s_load_b96 s[4:6], s[0:1], 0x1c
	s_load_b96 s[8:10], s[0:1], 0xdc
	s_wait_kmcnt 0x0
	v_mul_hi_u32 v4, s5, v3
	s_delay_alu instid0(VALU_DEP_1) | instskip(NEXT) | instid1(VALU_DEP_1)
	v_add_nc_u32_e32 v4, v3, v4
	v_lshrrev_b32_e32 v4, s6, v4
	s_delay_alu instid0(VALU_DEP_1) | instskip(NEXT) | instid1(VALU_DEP_1)
	v_mul_lo_u32 v4, v4, s4
	v_sub_nc_u32_e32 v3, v3, v4
	s_delay_alu instid0(VALU_DEP_1)
	v_mad_u32 v60, v3, s8, v60
	v_mad_u32 v61, v3, s9, v61
	;; [unrolled: 1-line block ×3, first 2 shown]
	s_and_not1_b32 vcc_lo, exec_lo, s2
	s_cbranch_vccz .LBB48_113
	s_branch .LBB48_116
.LBB48_111:
	s_mov_b32 s2, -1
                                        ; implicit-def: $vgpr62
                                        ; implicit-def: $vgpr61
                                        ; implicit-def: $vgpr60
.LBB48_112:
	s_delay_alu instid0(SALU_CYCLE_1)
	s_and_not1_b32 vcc_lo, exec_lo, s2
	s_cbranch_vccnz .LBB48_116
.LBB48_113:
	s_clause 0x1
	s_load_b96 s[0:2], s[34:35], 0x4
	s_load_b96 s[4:6], s[34:35], 0xc4
	s_cmp_lt_u32 s59, 2
	s_wait_kmcnt 0x0
	v_mul_hi_u32 v3, s1, v0
	s_delay_alu instid0(VALU_DEP_1) | instskip(NEXT) | instid1(VALU_DEP_1)
	v_add_nc_u32_e32 v3, v0, v3
	v_lshrrev_b32_e32 v3, s2, v3
	s_delay_alu instid0(VALU_DEP_1) | instskip(NEXT) | instid1(VALU_DEP_1)
	v_mul_lo_u32 v4, v3, s0
	v_sub_nc_u32_e32 v0, v0, v4
	s_delay_alu instid0(VALU_DEP_1)
	v_mul_lo_u32 v60, v0, s4
	v_mul_lo_u32 v62, v0, s6
	;; [unrolled: 1-line block ×3, first 2 shown]
	s_cbranch_scc1 .LBB48_116
; %bb.114:
	s_clause 0x1
	s_load_b96 s[0:2], s[34:35], 0x10
	s_load_b96 s[4:6], s[34:35], 0xd0
	s_wait_kmcnt 0x0
	v_mul_hi_u32 v0, s1, v3
	s_delay_alu instid0(VALU_DEP_1) | instskip(NEXT) | instid1(VALU_DEP_1)
	v_add_nc_u32_e32 v0, v3, v0
	v_lshrrev_b32_e32 v0, s2, v0
	s_delay_alu instid0(VALU_DEP_1) | instskip(NEXT) | instid1(VALU_DEP_1)
	v_mul_lo_u32 v0, v0, s0
	v_sub_nc_u32_e32 v0, v3, v0
	s_delay_alu instid0(VALU_DEP_1)
	v_mad_u32 v60, v0, s4, v60
	v_mad_u32 v61, v0, s5, v61
	;; [unrolled: 1-line block ×3, first 2 shown]
	s_branch .LBB48_116
.LBB48_115:
	v_dual_mov_b32 v62, 0 :: v_dual_mov_b32 v61, 0
	v_mov_b32_e32 v60, 0
	s_and_not1_b32 vcc_lo, exec_lo, s2
	s_cbranch_vccz .LBB48_113
.LBB48_116:
	s_clause 0x1
	s_load_b96 s[48:50], s[34:35], 0x198
	s_load_b128 s[36:39], s[34:35], 0x188
	s_get_pc_i64 s[46:47]
	s_add_nc_u64 s[46:47], s[46:47], _ZN12_GLOBAL__N_111calc_igammaIfEET_S1_S1_@rel64+4
                                        ; implicit-def: $vgpr42
	s_wait_kmcnt 0x0
	global_load_u16 v0, v1, s[48:49]
	s_wait_loadcnt 0x1
	global_load_b32 v40, v2, s[38:39]
	s_bitcmp1_b32 s50, 0
	s_cselect_b32 s0, -1, 0
	s_delay_alu instid0(SALU_CYCLE_1)
	s_xor_b32 s50, s0, -1
	s_mov_b32 s0, -1
	s_and_b32 vcc_lo, exec_lo, s50
	s_wait_loadcnt 0x1
	v_cvt_f32_f16_e32 v43, v0
	s_cbranch_vccz .LBB48_118
; %bb.117:
	s_wait_loadcnt 0x0
	s_wait_xcnt 0x1
	s_delay_alu instid0(VALU_DEP_1) | instskip(SKIP_1) | instid1(VALU_DEP_1)
	v_dual_mov_b32 v0, v40 :: v_dual_mov_b32 v1, v43
	s_swap_pc_i64 s[30:31], s[46:47]
	v_mov_b32_e32 v42, v0
	s_mov_b32 s0, 0
.LBB48_118:
	s_delay_alu instid0(SALU_CYCLE_1)
	s_and_not1_b32 vcc_lo, exec_lo, s0
	s_get_pc_i64 s[34:35]
	s_add_nc_u64 s[34:35], s[34:35], _ZN12_GLOBAL__N_112calc_igammacIfEET_S1_S1_@rel64+4
	s_cbranch_vccnz .LBB48_120
; %bb.119:
	s_wait_loadcnt 0x0
	s_wait_xcnt 0x1
	v_dual_mov_b32 v0, v40 :: v_dual_mov_b32 v1, v43
	s_swap_pc_i64 s[30:31], s[34:35]
	s_delay_alu instid0(VALU_DEP_1)
	v_mov_b32_e32 v42, v0
.LBB48_120:
	global_load_u16 v0, v45, s[48:49]
	s_wait_loadcnt 0x1
	global_load_b32 v40, v56, s[38:39]
	s_and_b32 vcc_lo, exec_lo, s50
	s_wait_loadcnt 0x1
	v_cvt_f32_f16_e32 v44, v0
	s_cbranch_vccz .LBB48_122
; %bb.121:
	s_wait_loadcnt 0x0
	s_wait_xcnt 0x3
	s_delay_alu instid0(VALU_DEP_1) | instskip(SKIP_1) | instid1(VALU_DEP_1)
	v_dual_mov_b32 v0, v40 :: v_dual_mov_b32 v1, v44
	s_swap_pc_i64 s[30:31], s[46:47]
	v_mov_b32_e32 v43, v0
	s_cbranch_execz .LBB48_123
	s_branch .LBB48_124
.LBB48_122:
                                        ; implicit-def: $vgpr43
.LBB48_123:
	s_wait_loadcnt 0x0
	s_wait_xcnt 0x3
	s_delay_alu instid0(VALU_DEP_1) | instskip(SKIP_1) | instid1(VALU_DEP_1)
	v_dual_mov_b32 v0, v40 :: v_dual_mov_b32 v1, v44
	s_swap_pc_i64 s[30:31], s[34:35]
	v_mov_b32_e32 v43, v0
.LBB48_124:
	global_load_u16 v0, v58, s[48:49]
	s_wait_loadcnt 0x1
	global_load_b32 v40, v59, s[38:39]
	s_and_b32 vcc_lo, exec_lo, s50
	s_wait_loadcnt 0x1
	s_wait_xcnt 0x3
	v_cvt_f32_f16_e32 v45, v0
	s_cbranch_vccz .LBB48_126
; %bb.125:
	s_wait_loadcnt 0x0
	s_delay_alu instid0(VALU_DEP_1) | instskip(SKIP_1) | instid1(VALU_DEP_1)
	v_dual_mov_b32 v0, v40 :: v_dual_mov_b32 v1, v45
	s_swap_pc_i64 s[30:31], s[46:47]
	v_mov_b32_e32 v44, v0
	s_cbranch_execz .LBB48_127
	s_branch .LBB48_128
.LBB48_126:
                                        ; implicit-def: $vgpr44
.LBB48_127:
	s_wait_loadcnt 0x0
	s_delay_alu instid0(VALU_DEP_1) | instskip(SKIP_1) | instid1(VALU_DEP_1)
	v_dual_mov_b32 v0, v40 :: v_dual_mov_b32 v1, v45
	s_swap_pc_i64 s[30:31], s[34:35]
	v_mov_b32_e32 v44, v0
.LBB48_128:
	global_load_u16 v0, v62, s[48:49]
	s_wait_loadcnt 0x1
	global_load_b32 v40, v61, s[38:39]
	s_and_b32 vcc_lo, exec_lo, s50
	s_wait_loadcnt 0x1
	v_cvt_f32_f16_e32 v45, v0
	s_cbranch_vccz .LBB48_130
; %bb.129:
	s_wait_loadcnt 0x0
	s_delay_alu instid0(VALU_DEP_1)
	v_dual_mov_b32 v0, v40 :: v_dual_mov_b32 v1, v45
	s_swap_pc_i64 s[30:31], s[46:47]
	s_cbranch_execz .LBB48_131
	s_branch .LBB48_132
.LBB48_130:
                                        ; implicit-def: $vgpr0
.LBB48_131:
	s_wait_loadcnt 0x0
	s_delay_alu instid0(VALU_DEP_1)
	v_dual_mov_b32 v0, v40 :: v_dual_mov_b32 v1, v45
	s_swap_pc_i64 s[30:31], s[34:35]
.LBB48_132:
	s_clause 0x3
	global_store_b32 v46, v42, s[36:37]
	global_store_b32 v47, v43, s[36:37]
	;; [unrolled: 1-line block ×4, first 2 shown]
	s_endpgm
	.section	.rodata,"a",@progbits
	.p2align	6, 0x0
	.amdhsa_kernel _ZN2at6native32elementwise_kernel_manual_unrollILi128ELi4EZNS0_12_GLOBAL__N_142type_specialized_broadcast_kernel_launcherILi3EE5applyIN12_GLOBAL__N_110CalcIgammaIfEESt5arrayIPcLm3EES9_IN3c1010ScalarTypeELm3EE16OffsetCalculatorILi3EjLb0EEEEvlT_T0_T1_T2_EUlibE_EEviSJ_
		.amdhsa_group_segment_fixed_size 0
		.amdhsa_private_segment_fixed_size 144
		.amdhsa_kernarg_size 432
		.amdhsa_user_sgpr_count 2
		.amdhsa_user_sgpr_dispatch_ptr 0
		.amdhsa_user_sgpr_queue_ptr 0
		.amdhsa_user_sgpr_kernarg_segment_ptr 1
		.amdhsa_user_sgpr_dispatch_id 0
		.amdhsa_user_sgpr_kernarg_preload_length 0
		.amdhsa_user_sgpr_kernarg_preload_offset 0
		.amdhsa_user_sgpr_private_segment_size 0
		.amdhsa_wavefront_size32 1
		.amdhsa_uses_dynamic_stack 0
		.amdhsa_enable_private_segment 1
		.amdhsa_system_sgpr_workgroup_id_x 1
		.amdhsa_system_sgpr_workgroup_id_y 0
		.amdhsa_system_sgpr_workgroup_id_z 0
		.amdhsa_system_sgpr_workgroup_info 0
		.amdhsa_system_vgpr_workitem_id 0
		.amdhsa_next_free_vgpr 84
		.amdhsa_next_free_sgpr 73
		.amdhsa_named_barrier_count 0
		.amdhsa_reserve_vcc 1
		.amdhsa_float_round_mode_32 0
		.amdhsa_float_round_mode_16_64 0
		.amdhsa_float_denorm_mode_32 3
		.amdhsa_float_denorm_mode_16_64 3
		.amdhsa_fp16_overflow 0
		.amdhsa_memory_ordered 1
		.amdhsa_forward_progress 1
		.amdhsa_inst_pref_size 48
		.amdhsa_round_robin_scheduling 0
		.amdhsa_exception_fp_ieee_invalid_op 0
		.amdhsa_exception_fp_denorm_src 0
		.amdhsa_exception_fp_ieee_div_zero 0
		.amdhsa_exception_fp_ieee_overflow 0
		.amdhsa_exception_fp_ieee_underflow 0
		.amdhsa_exception_fp_ieee_inexact 0
		.amdhsa_exception_int_div_zero 0
	.end_amdhsa_kernel
	.section	.text._ZN2at6native32elementwise_kernel_manual_unrollILi128ELi4EZNS0_12_GLOBAL__N_142type_specialized_broadcast_kernel_launcherILi3EE5applyIN12_GLOBAL__N_110CalcIgammaIfEESt5arrayIPcLm3EES9_IN3c1010ScalarTypeELm3EE16OffsetCalculatorILi3EjLb0EEEEvlT_T0_T1_T2_EUlibE_EEviSJ_,"axG",@progbits,_ZN2at6native32elementwise_kernel_manual_unrollILi128ELi4EZNS0_12_GLOBAL__N_142type_specialized_broadcast_kernel_launcherILi3EE5applyIN12_GLOBAL__N_110CalcIgammaIfEESt5arrayIPcLm3EES9_IN3c1010ScalarTypeELm3EE16OffsetCalculatorILi3EjLb0EEEEvlT_T0_T1_T2_EUlibE_EEviSJ_,comdat
.Lfunc_end48:
	.size	_ZN2at6native32elementwise_kernel_manual_unrollILi128ELi4EZNS0_12_GLOBAL__N_142type_specialized_broadcast_kernel_launcherILi3EE5applyIN12_GLOBAL__N_110CalcIgammaIfEESt5arrayIPcLm3EES9_IN3c1010ScalarTypeELm3EE16OffsetCalculatorILi3EjLb0EEEEvlT_T0_T1_T2_EUlibE_EEviSJ_, .Lfunc_end48-_ZN2at6native32elementwise_kernel_manual_unrollILi128ELi4EZNS0_12_GLOBAL__N_142type_specialized_broadcast_kernel_launcherILi3EE5applyIN12_GLOBAL__N_110CalcIgammaIfEESt5arrayIPcLm3EES9_IN3c1010ScalarTypeELm3EE16OffsetCalculatorILi3EjLb0EEEEvlT_T0_T1_T2_EUlibE_EEviSJ_
                                        ; -- End function
	.set _ZN2at6native32elementwise_kernel_manual_unrollILi128ELi4EZNS0_12_GLOBAL__N_142type_specialized_broadcast_kernel_launcherILi3EE5applyIN12_GLOBAL__N_110CalcIgammaIfEESt5arrayIPcLm3EES9_IN3c1010ScalarTypeELm3EE16OffsetCalculatorILi3EjLb0EEEEvlT_T0_T1_T2_EUlibE_EEviSJ_.num_vgpr, max(63, .L_ZN12_GLOBAL__N_111calc_igammaIfEET_S1_S1_.num_vgpr, .L_ZN12_GLOBAL__N_112calc_igammacIfEET_S1_S1_.num_vgpr)
	.set _ZN2at6native32elementwise_kernel_manual_unrollILi128ELi4EZNS0_12_GLOBAL__N_142type_specialized_broadcast_kernel_launcherILi3EE5applyIN12_GLOBAL__N_110CalcIgammaIfEESt5arrayIPcLm3EES9_IN3c1010ScalarTypeELm3EE16OffsetCalculatorILi3EjLb0EEEEvlT_T0_T1_T2_EUlibE_EEviSJ_.num_agpr, max(0, .L_ZN12_GLOBAL__N_111calc_igammaIfEET_S1_S1_.num_agpr, .L_ZN12_GLOBAL__N_112calc_igammacIfEET_S1_S1_.num_agpr)
	.set _ZN2at6native32elementwise_kernel_manual_unrollILi128ELi4EZNS0_12_GLOBAL__N_142type_specialized_broadcast_kernel_launcherILi3EE5applyIN12_GLOBAL__N_110CalcIgammaIfEESt5arrayIPcLm3EES9_IN3c1010ScalarTypeELm3EE16OffsetCalculatorILi3EjLb0EEEEvlT_T0_T1_T2_EUlibE_EEviSJ_.numbered_sgpr, max(73, .L_ZN12_GLOBAL__N_111calc_igammaIfEET_S1_S1_.numbered_sgpr, .L_ZN12_GLOBAL__N_112calc_igammacIfEET_S1_S1_.numbered_sgpr)
	.set _ZN2at6native32elementwise_kernel_manual_unrollILi128ELi4EZNS0_12_GLOBAL__N_142type_specialized_broadcast_kernel_launcherILi3EE5applyIN12_GLOBAL__N_110CalcIgammaIfEESt5arrayIPcLm3EES9_IN3c1010ScalarTypeELm3EE16OffsetCalculatorILi3EjLb0EEEEvlT_T0_T1_T2_EUlibE_EEviSJ_.num_named_barrier, max(0, .L_ZN12_GLOBAL__N_111calc_igammaIfEET_S1_S1_.num_named_barrier, .L_ZN12_GLOBAL__N_112calc_igammacIfEET_S1_S1_.num_named_barrier)
	.set _ZN2at6native32elementwise_kernel_manual_unrollILi128ELi4EZNS0_12_GLOBAL__N_142type_specialized_broadcast_kernel_launcherILi3EE5applyIN12_GLOBAL__N_110CalcIgammaIfEESt5arrayIPcLm3EES9_IN3c1010ScalarTypeELm3EE16OffsetCalculatorILi3EjLb0EEEEvlT_T0_T1_T2_EUlibE_EEviSJ_.private_seg_size, 0+max(.L_ZN12_GLOBAL__N_111calc_igammaIfEET_S1_S1_.private_seg_size, .L_ZN12_GLOBAL__N_112calc_igammacIfEET_S1_S1_.private_seg_size)
	.set _ZN2at6native32elementwise_kernel_manual_unrollILi128ELi4EZNS0_12_GLOBAL__N_142type_specialized_broadcast_kernel_launcherILi3EE5applyIN12_GLOBAL__N_110CalcIgammaIfEESt5arrayIPcLm3EES9_IN3c1010ScalarTypeELm3EE16OffsetCalculatorILi3EjLb0EEEEvlT_T0_T1_T2_EUlibE_EEviSJ_.uses_vcc, or(1, .L_ZN12_GLOBAL__N_111calc_igammaIfEET_S1_S1_.uses_vcc, .L_ZN12_GLOBAL__N_112calc_igammacIfEET_S1_S1_.uses_vcc)
	.set _ZN2at6native32elementwise_kernel_manual_unrollILi128ELi4EZNS0_12_GLOBAL__N_142type_specialized_broadcast_kernel_launcherILi3EE5applyIN12_GLOBAL__N_110CalcIgammaIfEESt5arrayIPcLm3EES9_IN3c1010ScalarTypeELm3EE16OffsetCalculatorILi3EjLb0EEEEvlT_T0_T1_T2_EUlibE_EEviSJ_.uses_flat_scratch, or(0, .L_ZN12_GLOBAL__N_111calc_igammaIfEET_S1_S1_.uses_flat_scratch, .L_ZN12_GLOBAL__N_112calc_igammacIfEET_S1_S1_.uses_flat_scratch)
	.set _ZN2at6native32elementwise_kernel_manual_unrollILi128ELi4EZNS0_12_GLOBAL__N_142type_specialized_broadcast_kernel_launcherILi3EE5applyIN12_GLOBAL__N_110CalcIgammaIfEESt5arrayIPcLm3EES9_IN3c1010ScalarTypeELm3EE16OffsetCalculatorILi3EjLb0EEEEvlT_T0_T1_T2_EUlibE_EEviSJ_.has_dyn_sized_stack, or(0, .L_ZN12_GLOBAL__N_111calc_igammaIfEET_S1_S1_.has_dyn_sized_stack, .L_ZN12_GLOBAL__N_112calc_igammacIfEET_S1_S1_.has_dyn_sized_stack)
	.set _ZN2at6native32elementwise_kernel_manual_unrollILi128ELi4EZNS0_12_GLOBAL__N_142type_specialized_broadcast_kernel_launcherILi3EE5applyIN12_GLOBAL__N_110CalcIgammaIfEESt5arrayIPcLm3EES9_IN3c1010ScalarTypeELm3EE16OffsetCalculatorILi3EjLb0EEEEvlT_T0_T1_T2_EUlibE_EEviSJ_.has_recursion, or(0, .L_ZN12_GLOBAL__N_111calc_igammaIfEET_S1_S1_.has_recursion, .L_ZN12_GLOBAL__N_112calc_igammacIfEET_S1_S1_.has_recursion)
	.set _ZN2at6native32elementwise_kernel_manual_unrollILi128ELi4EZNS0_12_GLOBAL__N_142type_specialized_broadcast_kernel_launcherILi3EE5applyIN12_GLOBAL__N_110CalcIgammaIfEESt5arrayIPcLm3EES9_IN3c1010ScalarTypeELm3EE16OffsetCalculatorILi3EjLb0EEEEvlT_T0_T1_T2_EUlibE_EEviSJ_.has_indirect_call, or(0, .L_ZN12_GLOBAL__N_111calc_igammaIfEET_S1_S1_.has_indirect_call, .L_ZN12_GLOBAL__N_112calc_igammacIfEET_S1_S1_.has_indirect_call)
	.section	.AMDGPU.csdata,"",@progbits
; Kernel info:
; codeLenInByte = 6084
; TotalNumSgprs: 75
; NumVgprs: 84
; ScratchSize: 144
; MemoryBound: 0
; FloatMode: 240
; IeeeMode: 1
; LDSByteSize: 0 bytes/workgroup (compile time only)
; SGPRBlocks: 0
; VGPRBlocks: 5
; NumSGPRsForWavesPerEU: 75
; NumVGPRsForWavesPerEU: 84
; NamedBarCnt: 0
; Occupancy: 10
; WaveLimiterHint : 1
; COMPUTE_PGM_RSRC2:SCRATCH_EN: 1
; COMPUTE_PGM_RSRC2:USER_SGPR: 2
; COMPUTE_PGM_RSRC2:TRAP_HANDLER: 0
; COMPUTE_PGM_RSRC2:TGID_X_EN: 1
; COMPUTE_PGM_RSRC2:TGID_Y_EN: 0
; COMPUTE_PGM_RSRC2:TGID_Z_EN: 0
; COMPUTE_PGM_RSRC2:TIDIG_COMP_CNT: 0
	.section	.text._ZN2at6native32elementwise_kernel_manual_unrollILi128ELi4EZNS0_12_GLOBAL__N_142type_specialized_broadcast_kernel_launcherILi4EE5applyIN12_GLOBAL__N_110CalcIgammaIfEESt5arrayIPcLm3EES9_IN3c1010ScalarTypeELm3EE16OffsetCalculatorILi3EjLb0EEEEvlT_T0_T1_T2_EUlibE_EEviSJ_,"axG",@progbits,_ZN2at6native32elementwise_kernel_manual_unrollILi128ELi4EZNS0_12_GLOBAL__N_142type_specialized_broadcast_kernel_launcherILi4EE5applyIN12_GLOBAL__N_110CalcIgammaIfEESt5arrayIPcLm3EES9_IN3c1010ScalarTypeELm3EE16OffsetCalculatorILi3EjLb0EEEEvlT_T0_T1_T2_EUlibE_EEviSJ_,comdat
	.globl	_ZN2at6native32elementwise_kernel_manual_unrollILi128ELi4EZNS0_12_GLOBAL__N_142type_specialized_broadcast_kernel_launcherILi4EE5applyIN12_GLOBAL__N_110CalcIgammaIfEESt5arrayIPcLm3EES9_IN3c1010ScalarTypeELm3EE16OffsetCalculatorILi3EjLb0EEEEvlT_T0_T1_T2_EUlibE_EEviSJ_ ; -- Begin function _ZN2at6native32elementwise_kernel_manual_unrollILi128ELi4EZNS0_12_GLOBAL__N_142type_specialized_broadcast_kernel_launcherILi4EE5applyIN12_GLOBAL__N_110CalcIgammaIfEESt5arrayIPcLm3EES9_IN3c1010ScalarTypeELm3EE16OffsetCalculatorILi3EjLb0EEEEvlT_T0_T1_T2_EUlibE_EEviSJ_
	.p2align	8
	.type	_ZN2at6native32elementwise_kernel_manual_unrollILi128ELi4EZNS0_12_GLOBAL__N_142type_specialized_broadcast_kernel_launcherILi4EE5applyIN12_GLOBAL__N_110CalcIgammaIfEESt5arrayIPcLm3EES9_IN3c1010ScalarTypeELm3EE16OffsetCalculatorILi3EjLb0EEEEvlT_T0_T1_T2_EUlibE_EEviSJ_,@function
_ZN2at6native32elementwise_kernel_manual_unrollILi128ELi4EZNS0_12_GLOBAL__N_142type_specialized_broadcast_kernel_launcherILi4EE5applyIN12_GLOBAL__N_110CalcIgammaIfEESt5arrayIPcLm3EES9_IN3c1010ScalarTypeELm3EE16OffsetCalculatorILi3EjLb0EEEEvlT_T0_T1_T2_EUlibE_EEviSJ_: ; @_ZN2at6native32elementwise_kernel_manual_unrollILi128ELi4EZNS0_12_GLOBAL__N_142type_specialized_broadcast_kernel_launcherILi4EE5applyIN12_GLOBAL__N_110CalcIgammaIfEESt5arrayIPcLm3EES9_IN3c1010ScalarTypeELm3EE16OffsetCalculatorILi3EjLb0EEEEvlT_T0_T1_T2_EUlibE_EEviSJ_
; %bb.0:
	s_clause 0x1
	s_load_b32 s59, s[0:1], 0x8
	s_load_b32 s71, s[0:1], 0x0
	s_bfe_u32 s2, ttmp6, 0x4000c
	s_and_b32 s3, ttmp6, 15
	s_add_co_i32 s2, s2, 1
	s_getreg_b32 s4, hwreg(HW_REG_IB_STS2, 6, 4)
	s_mul_i32 s2, ttmp9, s2
	s_add_nc_u64 s[34:35], s[0:1], 8
	s_add_co_i32 s3, s3, s2
	s_cmp_eq_u32 s4, 0
	s_mov_b32 s61, 0
	s_cselect_b32 s2, ttmp9, s3
	s_mov_b32 s32, 0
	v_lshl_or_b32 v44, s2, 9, v0
	s_wait_xcnt 0x0
	s_mov_b32 s0, exec_lo
	s_delay_alu instid0(VALU_DEP_1) | instskip(SKIP_2) | instid1(SALU_CYCLE_1)
	v_or_b32_e32 v0, 0x180, v44
	s_wait_kmcnt 0x0
	s_add_co_i32 s66, s59, -1
	s_cmp_gt_u32 s66, 1
	s_cselect_b32 s67, -1, 0
	v_cmpx_le_i32_e64 s71, v0
	s_xor_b32 s68, exec_lo, s0
	s_cbranch_execz .LBB49_70
; %bb.1:
	s_clause 0x5
	s_load_b128 s[48:51], s[34:35], 0x4
	s_load_b64 s[46:47], s[34:35], 0x14
	s_load_b96 s[56:58], s[34:35], 0x198
	s_load_b128 s[52:55], s[34:35], 0xc4
	s_load_b64 s[62:63], s[34:35], 0xd4
	s_load_b128 s[36:39], s[34:35], 0x188
	s_cmp_lg_u32 s59, 0
	s_mov_b32 s65, s61
	s_cselect_b32 s72, -1, 0
	s_min_u32 s70, s66, 15
	s_cmp_gt_u32 s59, 1
	s_cselect_b32 s69, -1, 0
	s_wait_kmcnt 0x0
	s_mov_b32 s60, s49
	s_mov_b32 s64, s46
	s_bitcmp1_b32 s58, 0
	s_mov_b32 s49, exec_lo
	s_cselect_b32 s0, -1, 0
	s_delay_alu instid0(SALU_CYCLE_1)
	s_xor_b32 s46, s0, -1
	v_cmpx_gt_i32_e64 s71, v44
	s_cbranch_execnz .LBB49_5
; %bb.2:
	s_or_b32 exec_lo, exec_lo, s49
	s_delay_alu instid0(SALU_CYCLE_1)
	s_mov_b32 s49, exec_lo
	v_cmpx_gt_i32_e64 s71, v44
	s_cbranch_execnz .LBB49_21
.LBB49_3:
	s_or_b32 exec_lo, exec_lo, s49
	s_delay_alu instid0(SALU_CYCLE_1)
	s_mov_b32 s49, exec_lo
	v_cmpx_gt_i32_e64 s71, v44
	s_cbranch_execnz .LBB49_37
.LBB49_4:
	s_or_b32 exec_lo, exec_lo, s49
	s_delay_alu instid0(SALU_CYCLE_1)
	s_mov_b32 s49, exec_lo
	v_cmpx_gt_i32_e64 s71, v44
	s_cbranch_execnz .LBB49_53
	s_branch .LBB49_69
.LBB49_5:
	s_and_not1_b32 vcc_lo, exec_lo, s67
	s_cbranch_vccnz .LBB49_11
; %bb.6:
	s_and_not1_b32 vcc_lo, exec_lo, s72
	s_cbranch_vccnz .LBB49_12
; %bb.7:
	v_dual_mov_b32 v43, 0 :: v_dual_mov_b32 v0, v44
	v_dual_mov_b32 v3, 0 :: v_dual_mov_b32 v2, 0
	s_add_co_i32 s2, s70, 1
	s_mov_b64 s[0:1], 0xffffffffffffffe8
	s_and_b32 s2, s2, 30
	s_add_nc_u64 s[0:1], s[34:35], s[0:1]
.LBB49_8:                               ; =>This Inner Loop Header: Depth=1
	s_clause 0x1
	s_load_b128 s[4:7], s[0:1], 0x1c
	s_load_b64 s[12:13], s[0:1], 0x2c
	s_add_co_i32 s2, s2, -2
	s_delay_alu instid0(SALU_CYCLE_1) | instskip(SKIP_2) | instid1(VALU_DEP_1)
	s_cmp_lg_u32 s2, 0
	s_wait_kmcnt 0x0
	v_mul_hi_u32 v1, s5, v0
	v_add_nc_u32_e32 v1, v0, v1
	s_delay_alu instid0(VALU_DEP_1) | instskip(NEXT) | instid1(VALU_DEP_1)
	v_lshrrev_b32_e32 v1, s6, v1
	v_mul_hi_u32 v4, s12, v1
	v_mul_lo_u32 v5, v1, s4
	s_clause 0x1
	s_load_b128 s[8:11], s[0:1], 0xdc
	s_load_b64 s[4:5], s[0:1], 0xec
	s_wait_xcnt 0x0
	s_add_nc_u64 s[0:1], s[0:1], 24
	s_delay_alu instid0(VALU_DEP_1) | instskip(NEXT) | instid1(VALU_DEP_1)
	v_dual_add_nc_u32 v4, v1, v4 :: v_dual_sub_nc_u32 v5, v0, v5
	v_lshrrev_b32_e32 v0, s13, v4
	s_wait_kmcnt 0x0
	s_delay_alu instid0(VALU_DEP_2) | instskip(NEXT) | instid1(VALU_DEP_2)
	v_mad_u32 v6, v5, s8, v43
	v_mul_lo_u32 v4, v0, s7
	v_mad_u32 v2, v5, s10, v2
	v_mad_u32 v3, v5, s9, v3
	s_delay_alu instid0(VALU_DEP_3) | instskip(NEXT) | instid1(VALU_DEP_1)
	v_sub_nc_u32_e32 v1, v1, v4
	v_mad_u32 v43, v1, s11, v6
	s_delay_alu instid0(VALU_DEP_4) | instskip(NEXT) | instid1(VALU_DEP_4)
	v_mad_u32 v2, v1, s5, v2
	v_mad_u32 v3, v1, s4, v3
	s_cbranch_scc1 .LBB49_8
; %bb.9:
	s_bitcmp1_b32 s70, 0
	s_cselect_b32 s2, -1, 0
	s_delay_alu instid0(SALU_CYCLE_1)
	s_and_b32 vcc_lo, exec_lo, s2
	s_cbranch_vccnz .LBB49_13
; %bb.10:
	s_clause 0x1
	s_load_b96 s[4:6], s[0:1], 0x1c
	s_load_b96 s[8:10], s[0:1], 0xdc
	s_wait_xcnt 0x0
	s_wait_kmcnt 0x0
	v_mul_hi_u32 v1, s5, v0
	s_delay_alu instid0(VALU_DEP_1) | instskip(NEXT) | instid1(VALU_DEP_1)
	v_add_nc_u32_e32 v1, v0, v1
	v_lshrrev_b32_e32 v1, s6, v1
	s_delay_alu instid0(VALU_DEP_1) | instskip(NEXT) | instid1(VALU_DEP_1)
	v_mul_lo_u32 v1, v1, s4
	v_sub_nc_u32_e32 v0, v0, v1
	s_delay_alu instid0(VALU_DEP_1)
	v_mad_u32 v43, v0, s8, v43
	v_mad_u32 v3, v0, s9, v3
	;; [unrolled: 1-line block ×3, first 2 shown]
	s_cbranch_execz .LBB49_14
	s_branch .LBB49_16
.LBB49_11:
                                        ; implicit-def: $vgpr2
                                        ; implicit-def: $vgpr3
                                        ; implicit-def: $vgpr43
	s_branch .LBB49_14
.LBB49_12:
	v_dual_mov_b32 v2, 0 :: v_dual_mov_b32 v3, 0
	v_mov_b32_e32 v43, 0
.LBB49_13:
	s_cbranch_execnz .LBB49_16
.LBB49_14:
	v_mov_b32_e32 v45, 0
	s_and_not1_b32 vcc_lo, exec_lo, s69
	s_delay_alu instid0(VALU_DEP_1) | instskip(NEXT) | instid1(VALU_DEP_1)
	v_mul_u64_e32 v[0:1], s[60:61], v[44:45]
	v_add_nc_u32_e32 v0, v44, v1
	s_delay_alu instid0(VALU_DEP_1) | instskip(NEXT) | instid1(VALU_DEP_1)
	v_lshrrev_b32_e32 v0, s50, v0
	v_mul_lo_u32 v1, v0, s48
	s_delay_alu instid0(VALU_DEP_1) | instskip(NEXT) | instid1(VALU_DEP_1)
	v_sub_nc_u32_e32 v1, v44, v1
	v_mul_lo_u32 v43, v1, s52
	v_mul_lo_u32 v2, v1, s54
	;; [unrolled: 1-line block ×3, first 2 shown]
	s_cbranch_vccnz .LBB49_16
; %bb.15:
	v_mov_b32_e32 v1, v45
	s_delay_alu instid0(VALU_DEP_1) | instskip(NEXT) | instid1(VALU_DEP_1)
	v_mul_u64_e32 v[4:5], s[64:65], v[0:1]
	v_add_nc_u32_e32 v1, v0, v5
	s_delay_alu instid0(VALU_DEP_1) | instskip(NEXT) | instid1(VALU_DEP_1)
	v_lshrrev_b32_e32 v1, s47, v1
	v_mul_lo_u32 v1, v1, s51
	s_delay_alu instid0(VALU_DEP_1) | instskip(NEXT) | instid1(VALU_DEP_1)
	v_sub_nc_u32_e32 v0, v0, v1
	v_mad_u32 v43, v0, s55, v43
	v_mad_u32 v3, v0, s62, v3
	;; [unrolled: 1-line block ×3, first 2 shown]
.LBB49_16:
	global_load_u16 v0, v3, s[38:39]
	global_load_b32 v40, v2, s[56:57]
	s_and_b32 vcc_lo, exec_lo, s46
	s_wait_loadcnt 0x1
	v_cvt_f32_f16_e32 v42, v0
	s_cbranch_vccz .LBB49_18
; %bb.17:
	s_wait_loadcnt 0x0
	s_delay_alu instid0(VALU_DEP_1) | instskip(SKIP_2) | instid1(SALU_CYCLE_1)
	v_dual_mov_b32 v0, v42 :: v_dual_mov_b32 v1, v40
	s_get_pc_i64 s[0:1]
	s_add_nc_u64 s[0:1], s[0:1], _ZN12_GLOBAL__N_111calc_igammaIfEET_S1_S1_@rel64+4
	s_swap_pc_i64 s[30:31], s[0:1]
	s_cbranch_execz .LBB49_19
	s_branch .LBB49_20
.LBB49_18:
                                        ; implicit-def: $vgpr0
.LBB49_19:
	s_wait_loadcnt 0x0
	s_delay_alu instid0(VALU_DEP_1) | instskip(SKIP_2) | instid1(SALU_CYCLE_1)
	v_dual_mov_b32 v0, v42 :: v_dual_mov_b32 v1, v40
	s_get_pc_i64 s[0:1]
	s_add_nc_u64 s[0:1], s[0:1], _ZN12_GLOBAL__N_112calc_igammacIfEET_S1_S1_@rel64+4
	s_swap_pc_i64 s[30:31], s[0:1]
.LBB49_20:
	v_add_nc_u32_e32 v44, 0x80, v44
	global_store_b32 v43, v0, s[36:37]
	s_wait_xcnt 0x0
	s_or_b32 exec_lo, exec_lo, s49
	s_delay_alu instid0(SALU_CYCLE_1)
	s_mov_b32 s49, exec_lo
	v_cmpx_gt_i32_e64 s71, v44
	s_cbranch_execz .LBB49_3
.LBB49_21:
	s_and_not1_b32 vcc_lo, exec_lo, s67
	s_cbranch_vccnz .LBB49_27
; %bb.22:
	s_and_not1_b32 vcc_lo, exec_lo, s72
	s_cbranch_vccnz .LBB49_28
; %bb.23:
	v_dual_mov_b32 v43, 0 :: v_dual_mov_b32 v0, v44
	v_dual_mov_b32 v3, 0 :: v_dual_mov_b32 v2, 0
	s_add_co_i32 s2, s70, 1
	s_mov_b64 s[0:1], 0xffffffffffffffe8
	s_and_b32 s2, s2, 30
	s_add_nc_u64 s[0:1], s[34:35], s[0:1]
.LBB49_24:                              ; =>This Inner Loop Header: Depth=1
	s_clause 0x1
	s_load_b128 s[4:7], s[0:1], 0x1c
	s_load_b64 s[12:13], s[0:1], 0x2c
	s_add_co_i32 s2, s2, -2
	s_delay_alu instid0(SALU_CYCLE_1) | instskip(SKIP_2) | instid1(VALU_DEP_1)
	s_cmp_eq_u32 s2, 0
	s_wait_kmcnt 0x0
	v_mul_hi_u32 v1, s5, v0
	v_add_nc_u32_e32 v1, v0, v1
	s_delay_alu instid0(VALU_DEP_1) | instskip(NEXT) | instid1(VALU_DEP_1)
	v_lshrrev_b32_e32 v1, s6, v1
	v_mul_hi_u32 v4, s12, v1
	v_mul_lo_u32 v5, v1, s4
	s_clause 0x1
	s_load_b128 s[8:11], s[0:1], 0xdc
	s_load_b64 s[4:5], s[0:1], 0xec
	s_wait_xcnt 0x0
	s_add_nc_u64 s[0:1], s[0:1], 24
	s_delay_alu instid0(VALU_DEP_1) | instskip(NEXT) | instid1(VALU_DEP_1)
	v_dual_add_nc_u32 v4, v1, v4 :: v_dual_sub_nc_u32 v5, v0, v5
	v_lshrrev_b32_e32 v0, s13, v4
	s_wait_kmcnt 0x0
	s_delay_alu instid0(VALU_DEP_2) | instskip(NEXT) | instid1(VALU_DEP_2)
	v_mad_u32 v6, v5, s8, v43
	v_mul_lo_u32 v4, v0, s7
	v_mad_u32 v2, v5, s10, v2
	v_mad_u32 v3, v5, s9, v3
	s_delay_alu instid0(VALU_DEP_3) | instskip(NEXT) | instid1(VALU_DEP_1)
	v_sub_nc_u32_e32 v1, v1, v4
	v_mad_u32 v43, v1, s11, v6
	s_delay_alu instid0(VALU_DEP_4) | instskip(NEXT) | instid1(VALU_DEP_4)
	v_mad_u32 v2, v1, s5, v2
	v_mad_u32 v3, v1, s4, v3
	s_cbranch_scc0 .LBB49_24
; %bb.25:
	s_bitcmp1_b32 s70, 0
	s_cselect_b32 s2, -1, 0
	s_delay_alu instid0(SALU_CYCLE_1)
	s_and_b32 vcc_lo, exec_lo, s2
	s_cbranch_vccnz .LBB49_29
; %bb.26:
	s_clause 0x1
	s_load_b96 s[4:6], s[0:1], 0x1c
	s_load_b96 s[8:10], s[0:1], 0xdc
	s_wait_kmcnt 0x0
	v_mul_hi_u32 v1, s5, v0
	s_delay_alu instid0(VALU_DEP_1) | instskip(NEXT) | instid1(VALU_DEP_1)
	v_add_nc_u32_e32 v1, v0, v1
	v_lshrrev_b32_e32 v1, s6, v1
	s_delay_alu instid0(VALU_DEP_1) | instskip(NEXT) | instid1(VALU_DEP_1)
	v_mul_lo_u32 v1, v1, s4
	v_sub_nc_u32_e32 v0, v0, v1
	s_delay_alu instid0(VALU_DEP_1)
	v_mad_u32 v43, v0, s8, v43
	v_mad_u32 v3, v0, s9, v3
	v_mad_u32 v2, v0, s10, v2
	s_branch .LBB49_29
.LBB49_27:
                                        ; implicit-def: $vgpr2
                                        ; implicit-def: $vgpr3
                                        ; implicit-def: $vgpr43
	s_branch .LBB49_30
.LBB49_28:
	v_dual_mov_b32 v2, 0 :: v_dual_mov_b32 v3, 0
	v_mov_b32_e32 v43, 0
.LBB49_29:
	s_cbranch_execnz .LBB49_32
.LBB49_30:
	v_mov_b32_e32 v45, 0
	s_and_not1_b32 vcc_lo, exec_lo, s69
	s_delay_alu instid0(VALU_DEP_1) | instskip(NEXT) | instid1(VALU_DEP_1)
	v_mul_u64_e32 v[0:1], s[60:61], v[44:45]
	v_add_nc_u32_e32 v0, v44, v1
	s_delay_alu instid0(VALU_DEP_1) | instskip(NEXT) | instid1(VALU_DEP_1)
	v_lshrrev_b32_e32 v0, s50, v0
	v_mul_lo_u32 v1, v0, s48
	s_delay_alu instid0(VALU_DEP_1) | instskip(NEXT) | instid1(VALU_DEP_1)
	v_sub_nc_u32_e32 v1, v44, v1
	v_mul_lo_u32 v43, v1, s52
	v_mul_lo_u32 v2, v1, s54
	;; [unrolled: 1-line block ×3, first 2 shown]
	s_cbranch_vccnz .LBB49_32
; %bb.31:
	v_mov_b32_e32 v1, v45
	s_delay_alu instid0(VALU_DEP_1) | instskip(NEXT) | instid1(VALU_DEP_1)
	v_mul_u64_e32 v[4:5], s[64:65], v[0:1]
	v_add_nc_u32_e32 v1, v0, v5
	s_delay_alu instid0(VALU_DEP_1) | instskip(NEXT) | instid1(VALU_DEP_1)
	v_lshrrev_b32_e32 v1, s47, v1
	v_mul_lo_u32 v1, v1, s51
	s_delay_alu instid0(VALU_DEP_1) | instskip(NEXT) | instid1(VALU_DEP_1)
	v_sub_nc_u32_e32 v0, v0, v1
	v_mad_u32 v43, v0, s55, v43
	v_mad_u32 v3, v0, s62, v3
	;; [unrolled: 1-line block ×3, first 2 shown]
.LBB49_32:
	global_load_u16 v0, v3, s[38:39]
	s_wait_loadcnt 0x1
	global_load_b32 v40, v2, s[56:57]
	s_and_not1_b32 vcc_lo, exec_lo, s46
	s_wait_loadcnt 0x1
	v_cvt_f32_f16_e32 v42, v0
	s_cbranch_vccnz .LBB49_34
; %bb.33:
	s_wait_loadcnt 0x0
	s_delay_alu instid0(VALU_DEP_1) | instskip(SKIP_2) | instid1(SALU_CYCLE_1)
	v_dual_mov_b32 v0, v42 :: v_dual_mov_b32 v1, v40
	s_get_pc_i64 s[0:1]
	s_add_nc_u64 s[0:1], s[0:1], _ZN12_GLOBAL__N_111calc_igammaIfEET_S1_S1_@rel64+4
	s_swap_pc_i64 s[30:31], s[0:1]
	s_cbranch_execz .LBB49_35
	s_branch .LBB49_36
.LBB49_34:
                                        ; implicit-def: $vgpr0
.LBB49_35:
	s_wait_loadcnt 0x0
	s_delay_alu instid0(VALU_DEP_1) | instskip(SKIP_2) | instid1(SALU_CYCLE_1)
	v_dual_mov_b32 v0, v42 :: v_dual_mov_b32 v1, v40
	s_get_pc_i64 s[0:1]
	s_add_nc_u64 s[0:1], s[0:1], _ZN12_GLOBAL__N_112calc_igammacIfEET_S1_S1_@rel64+4
	s_swap_pc_i64 s[30:31], s[0:1]
.LBB49_36:
	v_add_nc_u32_e32 v44, 0x80, v44
	global_store_b32 v43, v0, s[36:37]
	s_wait_xcnt 0x0
	s_or_b32 exec_lo, exec_lo, s49
	s_delay_alu instid0(SALU_CYCLE_1)
	s_mov_b32 s49, exec_lo
	v_cmpx_gt_i32_e64 s71, v44
	s_cbranch_execz .LBB49_4
.LBB49_37:
	s_and_not1_b32 vcc_lo, exec_lo, s67
	s_cbranch_vccnz .LBB49_43
; %bb.38:
	s_and_not1_b32 vcc_lo, exec_lo, s72
	s_cbranch_vccnz .LBB49_44
; %bb.39:
	v_dual_mov_b32 v43, 0 :: v_dual_mov_b32 v0, v44
	v_dual_mov_b32 v3, 0 :: v_dual_mov_b32 v2, 0
	s_add_co_i32 s2, s70, 1
	s_mov_b64 s[0:1], 0xffffffffffffffe8
	s_and_b32 s2, s2, 30
	s_add_nc_u64 s[0:1], s[34:35], s[0:1]
.LBB49_40:                              ; =>This Inner Loop Header: Depth=1
	s_clause 0x1
	s_load_b128 s[4:7], s[0:1], 0x1c
	s_load_b64 s[12:13], s[0:1], 0x2c
	s_add_co_i32 s2, s2, -2
	s_delay_alu instid0(SALU_CYCLE_1) | instskip(SKIP_2) | instid1(VALU_DEP_1)
	s_cmp_eq_u32 s2, 0
	s_wait_kmcnt 0x0
	v_mul_hi_u32 v1, s5, v0
	v_add_nc_u32_e32 v1, v0, v1
	s_delay_alu instid0(VALU_DEP_1) | instskip(NEXT) | instid1(VALU_DEP_1)
	v_lshrrev_b32_e32 v1, s6, v1
	v_mul_hi_u32 v4, s12, v1
	v_mul_lo_u32 v5, v1, s4
	s_clause 0x1
	s_load_b128 s[8:11], s[0:1], 0xdc
	s_load_b64 s[4:5], s[0:1], 0xec
	s_wait_xcnt 0x0
	s_add_nc_u64 s[0:1], s[0:1], 24
	s_delay_alu instid0(VALU_DEP_1) | instskip(NEXT) | instid1(VALU_DEP_1)
	v_dual_add_nc_u32 v4, v1, v4 :: v_dual_sub_nc_u32 v5, v0, v5
	v_lshrrev_b32_e32 v0, s13, v4
	s_wait_kmcnt 0x0
	s_delay_alu instid0(VALU_DEP_2) | instskip(NEXT) | instid1(VALU_DEP_2)
	v_mad_u32 v6, v5, s8, v43
	v_mul_lo_u32 v4, v0, s7
	v_mad_u32 v2, v5, s10, v2
	v_mad_u32 v3, v5, s9, v3
	s_delay_alu instid0(VALU_DEP_3) | instskip(NEXT) | instid1(VALU_DEP_1)
	v_sub_nc_u32_e32 v1, v1, v4
	v_mad_u32 v43, v1, s11, v6
	s_delay_alu instid0(VALU_DEP_4) | instskip(NEXT) | instid1(VALU_DEP_4)
	v_mad_u32 v2, v1, s5, v2
	v_mad_u32 v3, v1, s4, v3
	s_cbranch_scc0 .LBB49_40
; %bb.41:
	s_bitcmp1_b32 s70, 0
	s_cselect_b32 s2, -1, 0
	s_delay_alu instid0(SALU_CYCLE_1)
	s_and_b32 vcc_lo, exec_lo, s2
	s_cbranch_vccnz .LBB49_45
; %bb.42:
	s_clause 0x1
	s_load_b96 s[4:6], s[0:1], 0x1c
	s_load_b96 s[8:10], s[0:1], 0xdc
	s_wait_kmcnt 0x0
	v_mul_hi_u32 v1, s5, v0
	s_delay_alu instid0(VALU_DEP_1) | instskip(NEXT) | instid1(VALU_DEP_1)
	v_add_nc_u32_e32 v1, v0, v1
	v_lshrrev_b32_e32 v1, s6, v1
	s_delay_alu instid0(VALU_DEP_1) | instskip(NEXT) | instid1(VALU_DEP_1)
	v_mul_lo_u32 v1, v1, s4
	v_sub_nc_u32_e32 v0, v0, v1
	s_delay_alu instid0(VALU_DEP_1)
	v_mad_u32 v43, v0, s8, v43
	v_mad_u32 v3, v0, s9, v3
	;; [unrolled: 1-line block ×3, first 2 shown]
	s_branch .LBB49_45
.LBB49_43:
                                        ; implicit-def: $vgpr2
                                        ; implicit-def: $vgpr3
                                        ; implicit-def: $vgpr43
	s_branch .LBB49_46
.LBB49_44:
	v_dual_mov_b32 v2, 0 :: v_dual_mov_b32 v3, 0
	v_mov_b32_e32 v43, 0
.LBB49_45:
	s_cbranch_execnz .LBB49_48
.LBB49_46:
	v_mov_b32_e32 v45, 0
	s_and_not1_b32 vcc_lo, exec_lo, s69
	s_delay_alu instid0(VALU_DEP_1) | instskip(NEXT) | instid1(VALU_DEP_1)
	v_mul_u64_e32 v[0:1], s[60:61], v[44:45]
	v_add_nc_u32_e32 v0, v44, v1
	s_delay_alu instid0(VALU_DEP_1) | instskip(NEXT) | instid1(VALU_DEP_1)
	v_lshrrev_b32_e32 v0, s50, v0
	v_mul_lo_u32 v1, v0, s48
	s_delay_alu instid0(VALU_DEP_1) | instskip(NEXT) | instid1(VALU_DEP_1)
	v_sub_nc_u32_e32 v1, v44, v1
	v_mul_lo_u32 v43, v1, s52
	v_mul_lo_u32 v2, v1, s54
	;; [unrolled: 1-line block ×3, first 2 shown]
	s_cbranch_vccnz .LBB49_48
; %bb.47:
	v_mov_b32_e32 v1, v45
	s_delay_alu instid0(VALU_DEP_1) | instskip(NEXT) | instid1(VALU_DEP_1)
	v_mul_u64_e32 v[4:5], s[64:65], v[0:1]
	v_add_nc_u32_e32 v1, v0, v5
	s_delay_alu instid0(VALU_DEP_1) | instskip(NEXT) | instid1(VALU_DEP_1)
	v_lshrrev_b32_e32 v1, s47, v1
	v_mul_lo_u32 v1, v1, s51
	s_delay_alu instid0(VALU_DEP_1) | instskip(NEXT) | instid1(VALU_DEP_1)
	v_sub_nc_u32_e32 v0, v0, v1
	v_mad_u32 v43, v0, s55, v43
	v_mad_u32 v3, v0, s62, v3
	;; [unrolled: 1-line block ×3, first 2 shown]
.LBB49_48:
	global_load_u16 v0, v3, s[38:39]
	s_wait_loadcnt 0x1
	global_load_b32 v40, v2, s[56:57]
	s_and_not1_b32 vcc_lo, exec_lo, s46
	s_wait_loadcnt 0x1
	v_cvt_f32_f16_e32 v42, v0
	s_cbranch_vccnz .LBB49_50
; %bb.49:
	s_wait_loadcnt 0x0
	s_delay_alu instid0(VALU_DEP_1) | instskip(SKIP_2) | instid1(SALU_CYCLE_1)
	v_dual_mov_b32 v0, v42 :: v_dual_mov_b32 v1, v40
	s_get_pc_i64 s[0:1]
	s_add_nc_u64 s[0:1], s[0:1], _ZN12_GLOBAL__N_111calc_igammaIfEET_S1_S1_@rel64+4
	s_swap_pc_i64 s[30:31], s[0:1]
	s_cbranch_execz .LBB49_51
	s_branch .LBB49_52
.LBB49_50:
                                        ; implicit-def: $vgpr0
.LBB49_51:
	s_wait_loadcnt 0x0
	s_delay_alu instid0(VALU_DEP_1) | instskip(SKIP_2) | instid1(SALU_CYCLE_1)
	v_dual_mov_b32 v0, v42 :: v_dual_mov_b32 v1, v40
	s_get_pc_i64 s[0:1]
	s_add_nc_u64 s[0:1], s[0:1], _ZN12_GLOBAL__N_112calc_igammacIfEET_S1_S1_@rel64+4
	s_swap_pc_i64 s[30:31], s[0:1]
.LBB49_52:
	v_add_nc_u32_e32 v44, 0x80, v44
	global_store_b32 v43, v0, s[36:37]
	s_wait_xcnt 0x0
	s_or_b32 exec_lo, exec_lo, s49
	s_delay_alu instid0(SALU_CYCLE_1)
	s_mov_b32 s49, exec_lo
	v_cmpx_gt_i32_e64 s71, v44
	s_cbranch_execz .LBB49_69
.LBB49_53:
	s_and_not1_b32 vcc_lo, exec_lo, s67
	s_cbranch_vccnz .LBB49_59
; %bb.54:
	s_and_not1_b32 vcc_lo, exec_lo, s72
	s_cbranch_vccnz .LBB49_60
; %bb.55:
	v_dual_mov_b32 v43, 0 :: v_dual_mov_b32 v0, v44
	v_dual_mov_b32 v3, 0 :: v_dual_mov_b32 v2, 0
	s_add_co_i32 s2, s70, 1
	s_mov_b64 s[0:1], 0xffffffffffffffe8
	s_and_b32 s2, s2, 30
	s_add_nc_u64 s[0:1], s[34:35], s[0:1]
.LBB49_56:                              ; =>This Inner Loop Header: Depth=1
	s_clause 0x1
	s_load_b128 s[4:7], s[0:1], 0x1c
	s_load_b64 s[12:13], s[0:1], 0x2c
	s_add_co_i32 s2, s2, -2
	s_delay_alu instid0(SALU_CYCLE_1) | instskip(SKIP_2) | instid1(VALU_DEP_1)
	s_cmp_eq_u32 s2, 0
	s_wait_kmcnt 0x0
	v_mul_hi_u32 v1, s5, v0
	v_add_nc_u32_e32 v1, v0, v1
	s_delay_alu instid0(VALU_DEP_1) | instskip(NEXT) | instid1(VALU_DEP_1)
	v_lshrrev_b32_e32 v1, s6, v1
	v_mul_hi_u32 v4, s12, v1
	v_mul_lo_u32 v5, v1, s4
	s_clause 0x1
	s_load_b128 s[8:11], s[0:1], 0xdc
	s_load_b64 s[4:5], s[0:1], 0xec
	s_wait_xcnt 0x0
	s_add_nc_u64 s[0:1], s[0:1], 24
	s_delay_alu instid0(VALU_DEP_1) | instskip(NEXT) | instid1(VALU_DEP_1)
	v_dual_add_nc_u32 v4, v1, v4 :: v_dual_sub_nc_u32 v5, v0, v5
	v_lshrrev_b32_e32 v0, s13, v4
	s_wait_kmcnt 0x0
	s_delay_alu instid0(VALU_DEP_2) | instskip(NEXT) | instid1(VALU_DEP_2)
	v_mad_u32 v6, v5, s8, v43
	v_mul_lo_u32 v4, v0, s7
	v_mad_u32 v2, v5, s10, v2
	v_mad_u32 v3, v5, s9, v3
	s_delay_alu instid0(VALU_DEP_3) | instskip(NEXT) | instid1(VALU_DEP_1)
	v_sub_nc_u32_e32 v1, v1, v4
	v_mad_u32 v43, v1, s11, v6
	s_delay_alu instid0(VALU_DEP_4) | instskip(NEXT) | instid1(VALU_DEP_4)
	v_mad_u32 v2, v1, s5, v2
	v_mad_u32 v3, v1, s4, v3
	s_cbranch_scc0 .LBB49_56
; %bb.57:
	s_bitcmp1_b32 s70, 0
	s_cselect_b32 s2, -1, 0
	s_delay_alu instid0(SALU_CYCLE_1)
	s_and_b32 vcc_lo, exec_lo, s2
	s_cbranch_vccnz .LBB49_61
; %bb.58:
	s_clause 0x1
	s_load_b96 s[4:6], s[0:1], 0x1c
	s_load_b96 s[8:10], s[0:1], 0xdc
	s_wait_kmcnt 0x0
	v_mul_hi_u32 v1, s5, v0
	s_delay_alu instid0(VALU_DEP_1) | instskip(NEXT) | instid1(VALU_DEP_1)
	v_add_nc_u32_e32 v1, v0, v1
	v_lshrrev_b32_e32 v1, s6, v1
	s_delay_alu instid0(VALU_DEP_1) | instskip(NEXT) | instid1(VALU_DEP_1)
	v_mul_lo_u32 v1, v1, s4
	v_sub_nc_u32_e32 v0, v0, v1
	s_delay_alu instid0(VALU_DEP_1)
	v_mad_u32 v43, v0, s8, v43
	v_mad_u32 v3, v0, s9, v3
	;; [unrolled: 1-line block ×3, first 2 shown]
	s_branch .LBB49_61
.LBB49_59:
                                        ; implicit-def: $vgpr2
                                        ; implicit-def: $vgpr3
                                        ; implicit-def: $vgpr43
	s_branch .LBB49_62
.LBB49_60:
	v_dual_mov_b32 v2, 0 :: v_dual_mov_b32 v3, 0
	v_mov_b32_e32 v43, 0
.LBB49_61:
	s_cbranch_execnz .LBB49_64
.LBB49_62:
	v_mov_b32_e32 v45, 0
	s_and_not1_b32 vcc_lo, exec_lo, s69
	s_delay_alu instid0(VALU_DEP_1) | instskip(NEXT) | instid1(VALU_DEP_1)
	v_mul_u64_e32 v[0:1], s[60:61], v[44:45]
	v_add_nc_u32_e32 v0, v44, v1
	s_delay_alu instid0(VALU_DEP_1) | instskip(NEXT) | instid1(VALU_DEP_1)
	v_lshrrev_b32_e32 v0, s50, v0
	v_mul_lo_u32 v1, v0, s48
	s_delay_alu instid0(VALU_DEP_1) | instskip(NEXT) | instid1(VALU_DEP_1)
	v_sub_nc_u32_e32 v1, v44, v1
	v_mul_lo_u32 v43, v1, s52
	v_mul_lo_u32 v2, v1, s54
	;; [unrolled: 1-line block ×3, first 2 shown]
	s_cbranch_vccnz .LBB49_64
; %bb.63:
	v_mov_b32_e32 v1, v45
	s_delay_alu instid0(VALU_DEP_1) | instskip(NEXT) | instid1(VALU_DEP_1)
	v_mul_u64_e32 v[4:5], s[64:65], v[0:1]
	v_add_nc_u32_e32 v1, v0, v5
	s_delay_alu instid0(VALU_DEP_1) | instskip(NEXT) | instid1(VALU_DEP_1)
	v_lshrrev_b32_e32 v1, s47, v1
	v_mul_lo_u32 v1, v1, s51
	s_delay_alu instid0(VALU_DEP_1) | instskip(NEXT) | instid1(VALU_DEP_1)
	v_sub_nc_u32_e32 v0, v0, v1
	v_mad_u32 v43, v0, s55, v43
	v_mad_u32 v3, v0, s62, v3
	;; [unrolled: 1-line block ×3, first 2 shown]
.LBB49_64:
	global_load_u16 v0, v3, s[38:39]
	s_wait_loadcnt 0x1
	global_load_b32 v40, v2, s[56:57]
	s_and_not1_b32 vcc_lo, exec_lo, s46
	s_wait_loadcnt 0x1
	v_cvt_f32_f16_e32 v42, v0
	s_cbranch_vccnz .LBB49_66
; %bb.65:
	s_wait_loadcnt 0x0
	s_delay_alu instid0(VALU_DEP_1) | instskip(SKIP_2) | instid1(SALU_CYCLE_1)
	v_dual_mov_b32 v0, v42 :: v_dual_mov_b32 v1, v40
	s_get_pc_i64 s[0:1]
	s_add_nc_u64 s[0:1], s[0:1], _ZN12_GLOBAL__N_111calc_igammaIfEET_S1_S1_@rel64+4
	s_swap_pc_i64 s[30:31], s[0:1]
	s_cbranch_execz .LBB49_67
	s_branch .LBB49_68
.LBB49_66:
                                        ; implicit-def: $vgpr0
.LBB49_67:
	s_wait_loadcnt 0x0
	s_delay_alu instid0(VALU_DEP_1) | instskip(SKIP_2) | instid1(SALU_CYCLE_1)
	v_dual_mov_b32 v0, v42 :: v_dual_mov_b32 v1, v40
	s_get_pc_i64 s[0:1]
	s_add_nc_u64 s[0:1], s[0:1], _ZN12_GLOBAL__N_112calc_igammacIfEET_S1_S1_@rel64+4
	s_swap_pc_i64 s[30:31], s[0:1]
.LBB49_68:
	global_store_b32 v43, v0, s[36:37]
.LBB49_69:
	s_wait_xcnt 0x0
	s_or_b32 exec_lo, exec_lo, s49
                                        ; implicit-def: $vgpr0
                                        ; implicit-def: $vgpr44
.LBB49_70:
	s_and_not1_saveexec_b32 s0, s68
	s_cbranch_execz .LBB49_77
; %bb.71:
	v_cndmask_b32_e64 v3, 0, 1, s67
	s_and_not1_b32 vcc_lo, exec_lo, s67
	s_cbranch_vccnz .LBB49_78
; %bb.72:
	s_cmp_lg_u32 s59, 0
	s_mov_b32 s2, 0
	s_cbranch_scc0 .LBB49_82
; %bb.73:
	s_min_u32 s3, s66, 15
	v_dual_mov_b32 v46, 0 :: v_dual_mov_b32 v4, v44
	v_dual_mov_b32 v2, 0 :: v_dual_mov_b32 v1, 0
	s_add_co_i32 s4, s3, 1
	s_mov_b64 s[0:1], 0xffffffffffffffe8
	s_and_b32 s4, s4, 30
	s_add_nc_u64 s[0:1], s[34:35], s[0:1]
.LBB49_74:                              ; =>This Inner Loop Header: Depth=1
	s_clause 0x1
	s_load_b128 s[8:11], s[0:1], 0x1c
	s_load_b64 s[6:7], s[0:1], 0x2c
	s_add_co_i32 s4, s4, -2
	s_delay_alu instid0(SALU_CYCLE_1) | instskip(SKIP_2) | instid1(VALU_DEP_1)
	s_cmp_lg_u32 s4, 0
	s_wait_kmcnt 0x0
	v_mul_hi_u32 v5, s9, v4
	v_add_nc_u32_e32 v5, v4, v5
	s_delay_alu instid0(VALU_DEP_1) | instskip(NEXT) | instid1(VALU_DEP_1)
	v_lshrrev_b32_e32 v5, s10, v5
	v_mul_hi_u32 v6, s6, v5
	v_mul_lo_u32 v7, v5, s8
	s_clause 0x1
	s_load_b128 s[12:15], s[0:1], 0xdc
	s_load_b64 s[8:9], s[0:1], 0xec
	s_wait_xcnt 0x0
	s_add_nc_u64 s[0:1], s[0:1], 24
	s_delay_alu instid0(VALU_DEP_1) | instskip(NEXT) | instid1(VALU_DEP_1)
	v_dual_add_nc_u32 v6, v5, v6 :: v_dual_sub_nc_u32 v7, v4, v7
	v_lshrrev_b32_e32 v4, s7, v6
	s_wait_kmcnt 0x0
	s_delay_alu instid0(VALU_DEP_2) | instskip(NEXT) | instid1(VALU_DEP_2)
	v_mad_u32 v8, v7, s12, v46
	v_mul_lo_u32 v6, v4, s11
	v_mad_u32 v1, v7, s14, v1
	v_mad_u32 v2, v7, s13, v2
	s_delay_alu instid0(VALU_DEP_3) | instskip(NEXT) | instid1(VALU_DEP_1)
	v_sub_nc_u32_e32 v5, v5, v6
	v_mad_u32 v46, v5, s15, v8
	s_delay_alu instid0(VALU_DEP_4) | instskip(NEXT) | instid1(VALU_DEP_4)
	v_mad_u32 v1, v5, s9, v1
	v_mad_u32 v2, v5, s8, v2
	s_cbranch_scc1 .LBB49_74
; %bb.75:
	s_bitcmp1_b32 s3, 0
	s_cselect_b32 s3, -1, 0
	s_delay_alu instid0(SALU_CYCLE_1)
	s_and_b32 vcc_lo, exec_lo, s3
	s_cbranch_vccnz .LBB49_79
; %bb.76:
	s_clause 0x1
	s_load_b96 s[4:6], s[0:1], 0x1c
	s_load_b96 s[8:10], s[0:1], 0xdc
	s_wait_kmcnt 0x0
	v_mul_hi_u32 v5, s5, v4
	s_delay_alu instid0(VALU_DEP_1) | instskip(NEXT) | instid1(VALU_DEP_1)
	v_add_nc_u32_e32 v5, v4, v5
	v_lshrrev_b32_e32 v5, s6, v5
	s_delay_alu instid0(VALU_DEP_1) | instskip(NEXT) | instid1(VALU_DEP_1)
	v_mul_lo_u32 v5, v5, s4
	v_sub_nc_u32_e32 v4, v4, v5
	s_delay_alu instid0(VALU_DEP_1)
	v_mad_u32 v46, v4, s8, v46
	v_mad_u32 v2, v4, s9, v2
	;; [unrolled: 1-line block ×3, first 2 shown]
	s_and_not1_b32 vcc_lo, exec_lo, s2
	s_cbranch_vccz .LBB49_80
	s_branch .LBB49_83
.LBB49_77:
	s_endpgm
.LBB49_78:
	s_mov_b32 s2, -1
                                        ; implicit-def: $vgpr1
                                        ; implicit-def: $vgpr2
                                        ; implicit-def: $vgpr46
.LBB49_79:
	s_delay_alu instid0(SALU_CYCLE_1)
	s_and_not1_b32 vcc_lo, exec_lo, s2
	s_cbranch_vccnz .LBB49_83
.LBB49_80:
	s_clause 0x1
	s_load_b96 s[0:2], s[34:35], 0x4
	s_load_b96 s[4:6], s[34:35], 0xc4
	s_cmp_lt_u32 s59, 2
	s_wait_kmcnt 0x0
	v_mul_hi_u32 v1, s1, v44
	s_delay_alu instid0(VALU_DEP_1) | instskip(NEXT) | instid1(VALU_DEP_1)
	v_add_nc_u32_e32 v1, v44, v1
	v_lshrrev_b32_e32 v4, s2, v1
	s_delay_alu instid0(VALU_DEP_1) | instskip(NEXT) | instid1(VALU_DEP_1)
	v_mul_lo_u32 v1, v4, s0
	v_sub_nc_u32_e32 v2, v44, v1
	s_delay_alu instid0(VALU_DEP_1)
	v_mul_lo_u32 v46, v2, s4
	v_mul_lo_u32 v1, v2, s6
	;; [unrolled: 1-line block ×3, first 2 shown]
	s_cbranch_scc1 .LBB49_83
; %bb.81:
	s_clause 0x1
	s_load_b96 s[0:2], s[34:35], 0x10
	s_load_b96 s[4:6], s[34:35], 0xd0
	s_wait_kmcnt 0x0
	v_mul_hi_u32 v5, s1, v4
	s_delay_alu instid0(VALU_DEP_1) | instskip(NEXT) | instid1(VALU_DEP_1)
	v_add_nc_u32_e32 v5, v4, v5
	v_lshrrev_b32_e32 v5, s2, v5
	s_delay_alu instid0(VALU_DEP_1) | instskip(NEXT) | instid1(VALU_DEP_1)
	v_mul_lo_u32 v5, v5, s0
	v_sub_nc_u32_e32 v4, v4, v5
	s_delay_alu instid0(VALU_DEP_1)
	v_mad_u32 v46, v4, s4, v46
	v_mad_u32 v2, v4, s5, v2
	;; [unrolled: 1-line block ×3, first 2 shown]
	s_branch .LBB49_83
.LBB49_82:
	v_dual_mov_b32 v1, 0 :: v_dual_mov_b32 v2, 0
	v_mov_b32_e32 v46, 0
	s_and_not1_b32 vcc_lo, exec_lo, s2
	s_cbranch_vccz .LBB49_80
.LBB49_83:
	v_cmp_ne_u32_e32 vcc_lo, 1, v3
	v_add_nc_u32_e32 v4, 0x80, v44
	s_cbranch_vccnz .LBB49_89
; %bb.84:
	s_cmp_lg_u32 s59, 0
	s_mov_b32 s2, 0
	s_cbranch_scc0 .LBB49_93
; %bb.85:
	s_min_u32 s3, s66, 15
	v_dual_mov_b32 v47, 0 :: v_dual_mov_b32 v5, v4
	v_dual_mov_b32 v56, 0 :: v_dual_mov_b32 v45, 0
	s_add_co_i32 s4, s3, 1
	s_mov_b64 s[0:1], 0xffffffffffffffe8
	s_and_b32 s4, s4, 30
	s_add_nc_u64 s[0:1], s[34:35], s[0:1]
.LBB49_86:                              ; =>This Inner Loop Header: Depth=1
	s_clause 0x1
	s_load_b128 s[8:11], s[0:1], 0x1c
	s_load_b64 s[6:7], s[0:1], 0x2c
	s_add_co_i32 s4, s4, -2
	s_delay_alu instid0(SALU_CYCLE_1) | instskip(SKIP_2) | instid1(VALU_DEP_1)
	s_cmp_lg_u32 s4, 0
	s_wait_kmcnt 0x0
	v_mul_hi_u32 v6, s9, v5
	v_add_nc_u32_e32 v6, v5, v6
	s_delay_alu instid0(VALU_DEP_1) | instskip(NEXT) | instid1(VALU_DEP_1)
	v_lshrrev_b32_e32 v6, s10, v6
	v_mul_hi_u32 v7, s6, v6
	v_mul_lo_u32 v8, v6, s8
	s_clause 0x1
	s_load_b128 s[12:15], s[0:1], 0xdc
	s_load_b64 s[8:9], s[0:1], 0xec
	s_wait_xcnt 0x0
	s_add_nc_u64 s[0:1], s[0:1], 24
	s_delay_alu instid0(VALU_DEP_1) | instskip(NEXT) | instid1(VALU_DEP_1)
	v_dual_add_nc_u32 v7, v6, v7 :: v_dual_sub_nc_u32 v8, v5, v8
	v_lshrrev_b32_e32 v5, s7, v7
	s_wait_kmcnt 0x0
	s_delay_alu instid0(VALU_DEP_2) | instskip(NEXT) | instid1(VALU_DEP_2)
	v_mad_u32 v9, v8, s12, v47
	v_mul_lo_u32 v7, v5, s11
	v_mad_u32 v10, v8, s14, v45
	v_mad_u32 v8, v8, s13, v56
	s_delay_alu instid0(VALU_DEP_3) | instskip(NEXT) | instid1(VALU_DEP_1)
	v_sub_nc_u32_e32 v6, v6, v7
	v_mad_u32 v47, v6, s15, v9
	s_delay_alu instid0(VALU_DEP_4) | instskip(NEXT) | instid1(VALU_DEP_4)
	v_mad_u32 v45, v6, s9, v10
	v_mad_u32 v56, v6, s8, v8
	s_cbranch_scc1 .LBB49_86
; %bb.87:
	s_bitcmp1_b32 s3, 0
	s_cselect_b32 s3, -1, 0
	s_delay_alu instid0(SALU_CYCLE_1)
	s_and_b32 vcc_lo, exec_lo, s3
	s_cbranch_vccnz .LBB49_90
; %bb.88:
	s_clause 0x1
	s_load_b96 s[4:6], s[0:1], 0x1c
	s_load_b96 s[8:10], s[0:1], 0xdc
	s_wait_kmcnt 0x0
	v_mul_hi_u32 v6, s5, v5
	s_delay_alu instid0(VALU_DEP_1) | instskip(NEXT) | instid1(VALU_DEP_1)
	v_add_nc_u32_e32 v6, v5, v6
	v_lshrrev_b32_e32 v6, s6, v6
	s_delay_alu instid0(VALU_DEP_1) | instskip(NEXT) | instid1(VALU_DEP_1)
	v_mul_lo_u32 v6, v6, s4
	v_sub_nc_u32_e32 v5, v5, v6
	s_delay_alu instid0(VALU_DEP_1)
	v_mad_u32 v47, v5, s8, v47
	v_mad_u32 v56, v5, s9, v56
	;; [unrolled: 1-line block ×3, first 2 shown]
	s_and_not1_b32 vcc_lo, exec_lo, s2
	s_cbranch_vccz .LBB49_91
	s_branch .LBB49_94
.LBB49_89:
	s_mov_b32 s2, -1
                                        ; implicit-def: $vgpr45
                                        ; implicit-def: $vgpr56
                                        ; implicit-def: $vgpr47
.LBB49_90:
	s_delay_alu instid0(SALU_CYCLE_1)
	s_and_not1_b32 vcc_lo, exec_lo, s2
	s_cbranch_vccnz .LBB49_94
.LBB49_91:
	s_clause 0x1
	s_load_b96 s[0:2], s[34:35], 0x4
	s_load_b96 s[4:6], s[34:35], 0xc4
	s_cmp_lt_u32 s59, 2
	s_wait_kmcnt 0x0
	v_mul_hi_u32 v5, s1, v4
	s_delay_alu instid0(VALU_DEP_1) | instskip(NEXT) | instid1(VALU_DEP_1)
	v_add_nc_u32_e32 v5, v4, v5
	v_lshrrev_b32_e32 v5, s2, v5
	s_delay_alu instid0(VALU_DEP_1) | instskip(NEXT) | instid1(VALU_DEP_1)
	v_mul_lo_u32 v6, v5, s0
	v_sub_nc_u32_e32 v4, v4, v6
	s_delay_alu instid0(VALU_DEP_1)
	v_mul_lo_u32 v47, v4, s4
	v_mul_lo_u32 v45, v4, s6
	;; [unrolled: 1-line block ×3, first 2 shown]
	s_cbranch_scc1 .LBB49_94
; %bb.92:
	s_clause 0x1
	s_load_b96 s[0:2], s[34:35], 0x10
	s_load_b96 s[4:6], s[34:35], 0xd0
	s_wait_kmcnt 0x0
	v_mul_hi_u32 v4, s1, v5
	s_delay_alu instid0(VALU_DEP_1) | instskip(NEXT) | instid1(VALU_DEP_1)
	v_add_nc_u32_e32 v4, v5, v4
	v_lshrrev_b32_e32 v4, s2, v4
	s_delay_alu instid0(VALU_DEP_1) | instskip(NEXT) | instid1(VALU_DEP_1)
	v_mul_lo_u32 v4, v4, s0
	v_sub_nc_u32_e32 v4, v5, v4
	s_delay_alu instid0(VALU_DEP_1)
	v_mad_u32 v47, v4, s4, v47
	v_mad_u32 v56, v4, s5, v56
	;; [unrolled: 1-line block ×3, first 2 shown]
	s_branch .LBB49_94
.LBB49_93:
	v_dual_mov_b32 v45, 0 :: v_dual_mov_b32 v56, 0
	v_mov_b32_e32 v47, 0
	s_and_not1_b32 vcc_lo, exec_lo, s2
	s_cbranch_vccz .LBB49_91
.LBB49_94:
	v_cmp_ne_u32_e32 vcc_lo, 1, v3
	v_add_nc_u32_e32 v4, 0x100, v44
	s_cbranch_vccnz .LBB49_100
; %bb.95:
	s_cmp_lg_u32 s59, 0
	s_mov_b32 s2, 0
	s_cbranch_scc0 .LBB49_104
; %bb.96:
	s_min_u32 s3, s66, 15
	v_dual_mov_b32 v57, 0 :: v_dual_mov_b32 v5, v4
	v_dual_mov_b32 v59, 0 :: v_dual_mov_b32 v58, 0
	s_add_co_i32 s4, s3, 1
	s_mov_b64 s[0:1], 0xffffffffffffffe8
	s_and_b32 s4, s4, 30
	s_add_nc_u64 s[0:1], s[34:35], s[0:1]
.LBB49_97:                              ; =>This Inner Loop Header: Depth=1
	s_clause 0x1
	s_load_b128 s[8:11], s[0:1], 0x1c
	s_load_b64 s[6:7], s[0:1], 0x2c
	s_add_co_i32 s4, s4, -2
	s_delay_alu instid0(SALU_CYCLE_1) | instskip(SKIP_2) | instid1(VALU_DEP_1)
	s_cmp_lg_u32 s4, 0
	s_wait_kmcnt 0x0
	v_mul_hi_u32 v6, s9, v5
	v_add_nc_u32_e32 v6, v5, v6
	s_delay_alu instid0(VALU_DEP_1) | instskip(NEXT) | instid1(VALU_DEP_1)
	v_lshrrev_b32_e32 v6, s10, v6
	v_mul_hi_u32 v7, s6, v6
	v_mul_lo_u32 v8, v6, s8
	s_clause 0x1
	s_load_b128 s[12:15], s[0:1], 0xdc
	s_load_b64 s[8:9], s[0:1], 0xec
	s_wait_xcnt 0x0
	s_add_nc_u64 s[0:1], s[0:1], 24
	s_delay_alu instid0(VALU_DEP_1) | instskip(NEXT) | instid1(VALU_DEP_1)
	v_dual_add_nc_u32 v7, v6, v7 :: v_dual_sub_nc_u32 v8, v5, v8
	v_lshrrev_b32_e32 v5, s7, v7
	s_wait_kmcnt 0x0
	s_delay_alu instid0(VALU_DEP_2) | instskip(NEXT) | instid1(VALU_DEP_2)
	v_mad_u32 v9, v8, s12, v57
	v_mul_lo_u32 v7, v5, s11
	v_mad_u32 v10, v8, s14, v58
	v_mad_u32 v8, v8, s13, v59
	s_delay_alu instid0(VALU_DEP_3) | instskip(NEXT) | instid1(VALU_DEP_1)
	v_sub_nc_u32_e32 v6, v6, v7
	v_mad_u32 v57, v6, s15, v9
	s_delay_alu instid0(VALU_DEP_4) | instskip(NEXT) | instid1(VALU_DEP_4)
	v_mad_u32 v58, v6, s9, v10
	v_mad_u32 v59, v6, s8, v8
	s_cbranch_scc1 .LBB49_97
; %bb.98:
	s_bitcmp1_b32 s3, 0
	s_cselect_b32 s3, -1, 0
	s_delay_alu instid0(SALU_CYCLE_1)
	s_and_b32 vcc_lo, exec_lo, s3
	s_cbranch_vccnz .LBB49_101
; %bb.99:
	s_clause 0x1
	s_load_b96 s[4:6], s[0:1], 0x1c
	s_load_b96 s[8:10], s[0:1], 0xdc
	s_wait_kmcnt 0x0
	v_mul_hi_u32 v6, s5, v5
	s_delay_alu instid0(VALU_DEP_1) | instskip(NEXT) | instid1(VALU_DEP_1)
	v_add_nc_u32_e32 v6, v5, v6
	v_lshrrev_b32_e32 v6, s6, v6
	s_delay_alu instid0(VALU_DEP_1) | instskip(NEXT) | instid1(VALU_DEP_1)
	v_mul_lo_u32 v6, v6, s4
	v_sub_nc_u32_e32 v5, v5, v6
	s_delay_alu instid0(VALU_DEP_1)
	v_mad_u32 v57, v5, s8, v57
	v_mad_u32 v59, v5, s9, v59
	;; [unrolled: 1-line block ×3, first 2 shown]
	s_and_not1_b32 vcc_lo, exec_lo, s2
	s_cbranch_vccz .LBB49_102
	s_branch .LBB49_105
.LBB49_100:
	s_mov_b32 s2, -1
                                        ; implicit-def: $vgpr58
                                        ; implicit-def: $vgpr59
                                        ; implicit-def: $vgpr57
.LBB49_101:
	s_delay_alu instid0(SALU_CYCLE_1)
	s_and_not1_b32 vcc_lo, exec_lo, s2
	s_cbranch_vccnz .LBB49_105
.LBB49_102:
	s_clause 0x1
	s_load_b96 s[0:2], s[34:35], 0x4
	s_load_b96 s[4:6], s[34:35], 0xc4
	s_cmp_lt_u32 s59, 2
	s_wait_kmcnt 0x0
	v_mul_hi_u32 v5, s1, v4
	s_delay_alu instid0(VALU_DEP_1) | instskip(NEXT) | instid1(VALU_DEP_1)
	v_add_nc_u32_e32 v5, v4, v5
	v_lshrrev_b32_e32 v5, s2, v5
	s_delay_alu instid0(VALU_DEP_1) | instskip(NEXT) | instid1(VALU_DEP_1)
	v_mul_lo_u32 v6, v5, s0
	v_sub_nc_u32_e32 v4, v4, v6
	s_delay_alu instid0(VALU_DEP_1)
	v_mul_lo_u32 v57, v4, s4
	v_mul_lo_u32 v58, v4, s6
	;; [unrolled: 1-line block ×3, first 2 shown]
	s_cbranch_scc1 .LBB49_105
; %bb.103:
	s_clause 0x1
	s_load_b96 s[0:2], s[34:35], 0x10
	s_load_b96 s[4:6], s[34:35], 0xd0
	s_wait_kmcnt 0x0
	v_mul_hi_u32 v4, s1, v5
	s_delay_alu instid0(VALU_DEP_1) | instskip(NEXT) | instid1(VALU_DEP_1)
	v_add_nc_u32_e32 v4, v5, v4
	v_lshrrev_b32_e32 v4, s2, v4
	s_delay_alu instid0(VALU_DEP_1) | instskip(NEXT) | instid1(VALU_DEP_1)
	v_mul_lo_u32 v4, v4, s0
	v_sub_nc_u32_e32 v4, v5, v4
	s_delay_alu instid0(VALU_DEP_1)
	v_mad_u32 v57, v4, s4, v57
	v_mad_u32 v59, v4, s5, v59
	;; [unrolled: 1-line block ×3, first 2 shown]
	s_branch .LBB49_105
.LBB49_104:
	v_dual_mov_b32 v58, 0 :: v_dual_mov_b32 v59, 0
	v_mov_b32_e32 v57, 0
	s_and_not1_b32 vcc_lo, exec_lo, s2
	s_cbranch_vccz .LBB49_102
.LBB49_105:
	v_cmp_ne_u32_e32 vcc_lo, 1, v3
	s_cbranch_vccnz .LBB49_111
; %bb.106:
	s_cmp_lg_u32 s59, 0
	s_mov_b32 s2, 0
	s_cbranch_scc0 .LBB49_115
; %bb.107:
	s_min_u32 s3, s66, 15
	v_dual_mov_b32 v60, 0 :: v_dual_mov_b32 v3, v0
	v_dual_mov_b32 v61, 0 :: v_dual_mov_b32 v62, 0
	s_add_co_i32 s4, s3, 1
	s_mov_b64 s[0:1], 0xffffffffffffffe8
	s_and_b32 s4, s4, 30
	s_add_nc_u64 s[0:1], s[34:35], s[0:1]
.LBB49_108:                             ; =>This Inner Loop Header: Depth=1
	s_clause 0x1
	s_load_b128 s[8:11], s[0:1], 0x1c
	s_load_b64 s[6:7], s[0:1], 0x2c
	s_add_co_i32 s4, s4, -2
	s_delay_alu instid0(SALU_CYCLE_1) | instskip(SKIP_2) | instid1(VALU_DEP_1)
	s_cmp_lg_u32 s4, 0
	s_wait_kmcnt 0x0
	v_mul_hi_u32 v4, s9, v3
	v_add_nc_u32_e32 v4, v3, v4
	s_delay_alu instid0(VALU_DEP_1) | instskip(NEXT) | instid1(VALU_DEP_1)
	v_lshrrev_b32_e32 v4, s10, v4
	v_mul_hi_u32 v5, s6, v4
	v_mul_lo_u32 v6, v4, s8
	s_clause 0x1
	s_load_b128 s[12:15], s[0:1], 0xdc
	s_load_b64 s[8:9], s[0:1], 0xec
	s_wait_xcnt 0x0
	s_add_nc_u64 s[0:1], s[0:1], 24
	s_delay_alu instid0(VALU_DEP_1) | instskip(NEXT) | instid1(VALU_DEP_1)
	v_dual_add_nc_u32 v5, v4, v5 :: v_dual_sub_nc_u32 v6, v3, v6
	v_lshrrev_b32_e32 v3, s7, v5
	s_wait_kmcnt 0x0
	s_delay_alu instid0(VALU_DEP_2) | instskip(NEXT) | instid1(VALU_DEP_2)
	v_mad_u32 v7, v6, s12, v60
	v_mul_lo_u32 v5, v3, s11
	v_mad_u32 v8, v6, s14, v62
	v_mad_u32 v6, v6, s13, v61
	s_delay_alu instid0(VALU_DEP_3) | instskip(NEXT) | instid1(VALU_DEP_1)
	v_sub_nc_u32_e32 v4, v4, v5
	v_mad_u32 v60, v4, s15, v7
	s_delay_alu instid0(VALU_DEP_4) | instskip(NEXT) | instid1(VALU_DEP_4)
	v_mad_u32 v62, v4, s9, v8
	v_mad_u32 v61, v4, s8, v6
	s_cbranch_scc1 .LBB49_108
; %bb.109:
	s_bitcmp1_b32 s3, 0
	s_cselect_b32 s3, -1, 0
	s_delay_alu instid0(SALU_CYCLE_1)
	s_and_b32 vcc_lo, exec_lo, s3
	s_cbranch_vccnz .LBB49_112
; %bb.110:
	s_clause 0x1
	s_load_b96 s[4:6], s[0:1], 0x1c
	s_load_b96 s[8:10], s[0:1], 0xdc
	s_wait_kmcnt 0x0
	v_mul_hi_u32 v4, s5, v3
	s_delay_alu instid0(VALU_DEP_1) | instskip(NEXT) | instid1(VALU_DEP_1)
	v_add_nc_u32_e32 v4, v3, v4
	v_lshrrev_b32_e32 v4, s6, v4
	s_delay_alu instid0(VALU_DEP_1) | instskip(NEXT) | instid1(VALU_DEP_1)
	v_mul_lo_u32 v4, v4, s4
	v_sub_nc_u32_e32 v3, v3, v4
	s_delay_alu instid0(VALU_DEP_1)
	v_mad_u32 v60, v3, s8, v60
	v_mad_u32 v61, v3, s9, v61
	;; [unrolled: 1-line block ×3, first 2 shown]
	s_and_not1_b32 vcc_lo, exec_lo, s2
	s_cbranch_vccz .LBB49_113
	s_branch .LBB49_116
.LBB49_111:
	s_mov_b32 s2, -1
                                        ; implicit-def: $vgpr62
                                        ; implicit-def: $vgpr61
                                        ; implicit-def: $vgpr60
.LBB49_112:
	s_delay_alu instid0(SALU_CYCLE_1)
	s_and_not1_b32 vcc_lo, exec_lo, s2
	s_cbranch_vccnz .LBB49_116
.LBB49_113:
	s_clause 0x1
	s_load_b96 s[0:2], s[34:35], 0x4
	s_load_b96 s[4:6], s[34:35], 0xc4
	s_cmp_lt_u32 s59, 2
	s_wait_kmcnt 0x0
	v_mul_hi_u32 v3, s1, v0
	s_delay_alu instid0(VALU_DEP_1) | instskip(NEXT) | instid1(VALU_DEP_1)
	v_add_nc_u32_e32 v3, v0, v3
	v_lshrrev_b32_e32 v3, s2, v3
	s_delay_alu instid0(VALU_DEP_1) | instskip(NEXT) | instid1(VALU_DEP_1)
	v_mul_lo_u32 v4, v3, s0
	v_sub_nc_u32_e32 v0, v0, v4
	s_delay_alu instid0(VALU_DEP_1)
	v_mul_lo_u32 v60, v0, s4
	v_mul_lo_u32 v62, v0, s6
	;; [unrolled: 1-line block ×3, first 2 shown]
	s_cbranch_scc1 .LBB49_116
; %bb.114:
	s_clause 0x1
	s_load_b96 s[0:2], s[34:35], 0x10
	s_load_b96 s[4:6], s[34:35], 0xd0
	s_wait_kmcnt 0x0
	v_mul_hi_u32 v0, s1, v3
	s_delay_alu instid0(VALU_DEP_1) | instskip(NEXT) | instid1(VALU_DEP_1)
	v_add_nc_u32_e32 v0, v3, v0
	v_lshrrev_b32_e32 v0, s2, v0
	s_delay_alu instid0(VALU_DEP_1) | instskip(NEXT) | instid1(VALU_DEP_1)
	v_mul_lo_u32 v0, v0, s0
	v_sub_nc_u32_e32 v0, v3, v0
	s_delay_alu instid0(VALU_DEP_1)
	v_mad_u32 v60, v0, s4, v60
	v_mad_u32 v61, v0, s5, v61
	;; [unrolled: 1-line block ×3, first 2 shown]
	s_branch .LBB49_116
.LBB49_115:
	v_dual_mov_b32 v62, 0 :: v_dual_mov_b32 v61, 0
	v_mov_b32_e32 v60, 0
	s_and_not1_b32 vcc_lo, exec_lo, s2
	s_cbranch_vccz .LBB49_113
.LBB49_116:
	s_clause 0x1
	s_load_b128 s[36:39], s[34:35], 0x188
	s_load_b96 s[48:50], s[34:35], 0x198
	s_get_pc_i64 s[46:47]
	s_add_nc_u64 s[46:47], s[46:47], _ZN12_GLOBAL__N_111calc_igammaIfEET_S1_S1_@rel64+4
                                        ; implicit-def: $vgpr42
	s_wait_kmcnt 0x0
	global_load_u16 v0, v2, s[38:39]
	s_wait_loadcnt 0x1
	global_load_b32 v40, v1, s[48:49]
	s_bitcmp1_b32 s50, 0
	s_cselect_b32 s0, -1, 0
	s_delay_alu instid0(SALU_CYCLE_1)
	s_xor_b32 s50, s0, -1
	s_mov_b32 s0, -1
	s_and_b32 vcc_lo, exec_lo, s50
	s_wait_loadcnt 0x1
	v_cvt_f32_f16_e32 v43, v0
	s_cbranch_vccz .LBB49_118
; %bb.117:
	s_wait_loadcnt 0x0
	s_delay_alu instid0(VALU_DEP_1) | instskip(SKIP_1) | instid1(VALU_DEP_1)
	v_dual_mov_b32 v0, v43 :: v_dual_mov_b32 v1, v40
	s_swap_pc_i64 s[30:31], s[46:47]
	v_mov_b32_e32 v42, v0
	s_mov_b32 s0, 0
.LBB49_118:
	s_delay_alu instid0(SALU_CYCLE_1)
	s_and_not1_b32 vcc_lo, exec_lo, s0
	s_get_pc_i64 s[34:35]
	s_add_nc_u64 s[34:35], s[34:35], _ZN12_GLOBAL__N_112calc_igammacIfEET_S1_S1_@rel64+4
	s_cbranch_vccnz .LBB49_120
; %bb.119:
	s_wait_loadcnt 0x0
	v_dual_mov_b32 v0, v43 :: v_dual_mov_b32 v1, v40
	s_swap_pc_i64 s[30:31], s[34:35]
	s_delay_alu instid0(VALU_DEP_1)
	v_mov_b32_e32 v42, v0
.LBB49_120:
	global_load_u16 v0, v56, s[38:39]
	s_wait_loadcnt 0x1
	global_load_b32 v40, v45, s[48:49]
	s_and_b32 vcc_lo, exec_lo, s50
	s_wait_loadcnt 0x1
	v_cvt_f32_f16_e32 v44, v0
	s_cbranch_vccz .LBB49_122
; %bb.121:
	s_wait_loadcnt 0x0
	s_wait_xcnt 0x2
	s_delay_alu instid0(VALU_DEP_1) | instskip(SKIP_1) | instid1(VALU_DEP_1)
	v_dual_mov_b32 v0, v44 :: v_dual_mov_b32 v1, v40
	s_swap_pc_i64 s[30:31], s[46:47]
	v_mov_b32_e32 v43, v0
	s_cbranch_execz .LBB49_123
	s_branch .LBB49_124
.LBB49_122:
                                        ; implicit-def: $vgpr43
.LBB49_123:
	s_wait_loadcnt 0x0
	s_wait_xcnt 0x2
	s_delay_alu instid0(VALU_DEP_1) | instskip(SKIP_1) | instid1(VALU_DEP_1)
	v_dual_mov_b32 v0, v44 :: v_dual_mov_b32 v1, v40
	s_swap_pc_i64 s[30:31], s[34:35]
	v_mov_b32_e32 v43, v0
.LBB49_124:
	global_load_u16 v0, v59, s[38:39]
	s_wait_loadcnt 0x1
	global_load_b32 v40, v58, s[48:49]
	s_and_b32 vcc_lo, exec_lo, s50
	s_wait_loadcnt 0x1
	s_wait_xcnt 0x2
	v_cvt_f32_f16_e32 v45, v0
	s_cbranch_vccz .LBB49_126
; %bb.125:
	s_wait_loadcnt 0x0
	s_delay_alu instid0(VALU_DEP_1) | instskip(SKIP_1) | instid1(VALU_DEP_1)
	v_dual_mov_b32 v0, v45 :: v_dual_mov_b32 v1, v40
	s_swap_pc_i64 s[30:31], s[46:47]
	v_mov_b32_e32 v44, v0
	s_cbranch_execz .LBB49_127
	s_branch .LBB49_128
.LBB49_126:
                                        ; implicit-def: $vgpr44
.LBB49_127:
	s_wait_loadcnt 0x0
	s_delay_alu instid0(VALU_DEP_1) | instskip(SKIP_1) | instid1(VALU_DEP_1)
	v_dual_mov_b32 v0, v45 :: v_dual_mov_b32 v1, v40
	s_swap_pc_i64 s[30:31], s[34:35]
	v_mov_b32_e32 v44, v0
.LBB49_128:
	global_load_u16 v0, v61, s[38:39]
	s_wait_loadcnt 0x1
	global_load_b32 v40, v62, s[48:49]
	s_and_b32 vcc_lo, exec_lo, s50
	s_wait_loadcnt 0x1
	v_cvt_f32_f16_e32 v45, v0
	s_cbranch_vccz .LBB49_130
; %bb.129:
	s_wait_loadcnt 0x0
	s_delay_alu instid0(VALU_DEP_1)
	v_dual_mov_b32 v0, v45 :: v_dual_mov_b32 v1, v40
	s_swap_pc_i64 s[30:31], s[46:47]
	s_cbranch_execz .LBB49_131
	s_branch .LBB49_132
.LBB49_130:
                                        ; implicit-def: $vgpr0
.LBB49_131:
	s_wait_loadcnt 0x0
	s_delay_alu instid0(VALU_DEP_1)
	v_dual_mov_b32 v0, v45 :: v_dual_mov_b32 v1, v40
	s_swap_pc_i64 s[30:31], s[34:35]
.LBB49_132:
	s_clause 0x3
	global_store_b32 v46, v42, s[36:37]
	global_store_b32 v47, v43, s[36:37]
	;; [unrolled: 1-line block ×4, first 2 shown]
	s_endpgm
	.section	.rodata,"a",@progbits
	.p2align	6, 0x0
	.amdhsa_kernel _ZN2at6native32elementwise_kernel_manual_unrollILi128ELi4EZNS0_12_GLOBAL__N_142type_specialized_broadcast_kernel_launcherILi4EE5applyIN12_GLOBAL__N_110CalcIgammaIfEESt5arrayIPcLm3EES9_IN3c1010ScalarTypeELm3EE16OffsetCalculatorILi3EjLb0EEEEvlT_T0_T1_T2_EUlibE_EEviSJ_
		.amdhsa_group_segment_fixed_size 0
		.amdhsa_private_segment_fixed_size 144
		.amdhsa_kernarg_size 432
		.amdhsa_user_sgpr_count 2
		.amdhsa_user_sgpr_dispatch_ptr 0
		.amdhsa_user_sgpr_queue_ptr 0
		.amdhsa_user_sgpr_kernarg_segment_ptr 1
		.amdhsa_user_sgpr_dispatch_id 0
		.amdhsa_user_sgpr_kernarg_preload_length 0
		.amdhsa_user_sgpr_kernarg_preload_offset 0
		.amdhsa_user_sgpr_private_segment_size 0
		.amdhsa_wavefront_size32 1
		.amdhsa_uses_dynamic_stack 0
		.amdhsa_enable_private_segment 1
		.amdhsa_system_sgpr_workgroup_id_x 1
		.amdhsa_system_sgpr_workgroup_id_y 0
		.amdhsa_system_sgpr_workgroup_id_z 0
		.amdhsa_system_sgpr_workgroup_info 0
		.amdhsa_system_vgpr_workitem_id 0
		.amdhsa_next_free_vgpr 84
		.amdhsa_next_free_sgpr 73
		.amdhsa_named_barrier_count 0
		.amdhsa_reserve_vcc 1
		.amdhsa_float_round_mode_32 0
		.amdhsa_float_round_mode_16_64 0
		.amdhsa_float_denorm_mode_32 3
		.amdhsa_float_denorm_mode_16_64 3
		.amdhsa_fp16_overflow 0
		.amdhsa_memory_ordered 1
		.amdhsa_forward_progress 1
		.amdhsa_inst_pref_size 48
		.amdhsa_round_robin_scheduling 0
		.amdhsa_exception_fp_ieee_invalid_op 0
		.amdhsa_exception_fp_denorm_src 0
		.amdhsa_exception_fp_ieee_div_zero 0
		.amdhsa_exception_fp_ieee_overflow 0
		.amdhsa_exception_fp_ieee_underflow 0
		.amdhsa_exception_fp_ieee_inexact 0
		.amdhsa_exception_int_div_zero 0
	.end_amdhsa_kernel
	.section	.text._ZN2at6native32elementwise_kernel_manual_unrollILi128ELi4EZNS0_12_GLOBAL__N_142type_specialized_broadcast_kernel_launcherILi4EE5applyIN12_GLOBAL__N_110CalcIgammaIfEESt5arrayIPcLm3EES9_IN3c1010ScalarTypeELm3EE16OffsetCalculatorILi3EjLb0EEEEvlT_T0_T1_T2_EUlibE_EEviSJ_,"axG",@progbits,_ZN2at6native32elementwise_kernel_manual_unrollILi128ELi4EZNS0_12_GLOBAL__N_142type_specialized_broadcast_kernel_launcherILi4EE5applyIN12_GLOBAL__N_110CalcIgammaIfEESt5arrayIPcLm3EES9_IN3c1010ScalarTypeELm3EE16OffsetCalculatorILi3EjLb0EEEEvlT_T0_T1_T2_EUlibE_EEviSJ_,comdat
.Lfunc_end49:
	.size	_ZN2at6native32elementwise_kernel_manual_unrollILi128ELi4EZNS0_12_GLOBAL__N_142type_specialized_broadcast_kernel_launcherILi4EE5applyIN12_GLOBAL__N_110CalcIgammaIfEESt5arrayIPcLm3EES9_IN3c1010ScalarTypeELm3EE16OffsetCalculatorILi3EjLb0EEEEvlT_T0_T1_T2_EUlibE_EEviSJ_, .Lfunc_end49-_ZN2at6native32elementwise_kernel_manual_unrollILi128ELi4EZNS0_12_GLOBAL__N_142type_specialized_broadcast_kernel_launcherILi4EE5applyIN12_GLOBAL__N_110CalcIgammaIfEESt5arrayIPcLm3EES9_IN3c1010ScalarTypeELm3EE16OffsetCalculatorILi3EjLb0EEEEvlT_T0_T1_T2_EUlibE_EEviSJ_
                                        ; -- End function
	.set _ZN2at6native32elementwise_kernel_manual_unrollILi128ELi4EZNS0_12_GLOBAL__N_142type_specialized_broadcast_kernel_launcherILi4EE5applyIN12_GLOBAL__N_110CalcIgammaIfEESt5arrayIPcLm3EES9_IN3c1010ScalarTypeELm3EE16OffsetCalculatorILi3EjLb0EEEEvlT_T0_T1_T2_EUlibE_EEviSJ_.num_vgpr, max(63, .L_ZN12_GLOBAL__N_111calc_igammaIfEET_S1_S1_.num_vgpr, .L_ZN12_GLOBAL__N_112calc_igammacIfEET_S1_S1_.num_vgpr)
	.set _ZN2at6native32elementwise_kernel_manual_unrollILi128ELi4EZNS0_12_GLOBAL__N_142type_specialized_broadcast_kernel_launcherILi4EE5applyIN12_GLOBAL__N_110CalcIgammaIfEESt5arrayIPcLm3EES9_IN3c1010ScalarTypeELm3EE16OffsetCalculatorILi3EjLb0EEEEvlT_T0_T1_T2_EUlibE_EEviSJ_.num_agpr, max(0, .L_ZN12_GLOBAL__N_111calc_igammaIfEET_S1_S1_.num_agpr, .L_ZN12_GLOBAL__N_112calc_igammacIfEET_S1_S1_.num_agpr)
	.set _ZN2at6native32elementwise_kernel_manual_unrollILi128ELi4EZNS0_12_GLOBAL__N_142type_specialized_broadcast_kernel_launcherILi4EE5applyIN12_GLOBAL__N_110CalcIgammaIfEESt5arrayIPcLm3EES9_IN3c1010ScalarTypeELm3EE16OffsetCalculatorILi3EjLb0EEEEvlT_T0_T1_T2_EUlibE_EEviSJ_.numbered_sgpr, max(73, .L_ZN12_GLOBAL__N_111calc_igammaIfEET_S1_S1_.numbered_sgpr, .L_ZN12_GLOBAL__N_112calc_igammacIfEET_S1_S1_.numbered_sgpr)
	.set _ZN2at6native32elementwise_kernel_manual_unrollILi128ELi4EZNS0_12_GLOBAL__N_142type_specialized_broadcast_kernel_launcherILi4EE5applyIN12_GLOBAL__N_110CalcIgammaIfEESt5arrayIPcLm3EES9_IN3c1010ScalarTypeELm3EE16OffsetCalculatorILi3EjLb0EEEEvlT_T0_T1_T2_EUlibE_EEviSJ_.num_named_barrier, max(0, .L_ZN12_GLOBAL__N_111calc_igammaIfEET_S1_S1_.num_named_barrier, .L_ZN12_GLOBAL__N_112calc_igammacIfEET_S1_S1_.num_named_barrier)
	.set _ZN2at6native32elementwise_kernel_manual_unrollILi128ELi4EZNS0_12_GLOBAL__N_142type_specialized_broadcast_kernel_launcherILi4EE5applyIN12_GLOBAL__N_110CalcIgammaIfEESt5arrayIPcLm3EES9_IN3c1010ScalarTypeELm3EE16OffsetCalculatorILi3EjLb0EEEEvlT_T0_T1_T2_EUlibE_EEviSJ_.private_seg_size, 0+max(.L_ZN12_GLOBAL__N_111calc_igammaIfEET_S1_S1_.private_seg_size, .L_ZN12_GLOBAL__N_112calc_igammacIfEET_S1_S1_.private_seg_size)
	.set _ZN2at6native32elementwise_kernel_manual_unrollILi128ELi4EZNS0_12_GLOBAL__N_142type_specialized_broadcast_kernel_launcherILi4EE5applyIN12_GLOBAL__N_110CalcIgammaIfEESt5arrayIPcLm3EES9_IN3c1010ScalarTypeELm3EE16OffsetCalculatorILi3EjLb0EEEEvlT_T0_T1_T2_EUlibE_EEviSJ_.uses_vcc, or(1, .L_ZN12_GLOBAL__N_111calc_igammaIfEET_S1_S1_.uses_vcc, .L_ZN12_GLOBAL__N_112calc_igammacIfEET_S1_S1_.uses_vcc)
	.set _ZN2at6native32elementwise_kernel_manual_unrollILi128ELi4EZNS0_12_GLOBAL__N_142type_specialized_broadcast_kernel_launcherILi4EE5applyIN12_GLOBAL__N_110CalcIgammaIfEESt5arrayIPcLm3EES9_IN3c1010ScalarTypeELm3EE16OffsetCalculatorILi3EjLb0EEEEvlT_T0_T1_T2_EUlibE_EEviSJ_.uses_flat_scratch, or(0, .L_ZN12_GLOBAL__N_111calc_igammaIfEET_S1_S1_.uses_flat_scratch, .L_ZN12_GLOBAL__N_112calc_igammacIfEET_S1_S1_.uses_flat_scratch)
	.set _ZN2at6native32elementwise_kernel_manual_unrollILi128ELi4EZNS0_12_GLOBAL__N_142type_specialized_broadcast_kernel_launcherILi4EE5applyIN12_GLOBAL__N_110CalcIgammaIfEESt5arrayIPcLm3EES9_IN3c1010ScalarTypeELm3EE16OffsetCalculatorILi3EjLb0EEEEvlT_T0_T1_T2_EUlibE_EEviSJ_.has_dyn_sized_stack, or(0, .L_ZN12_GLOBAL__N_111calc_igammaIfEET_S1_S1_.has_dyn_sized_stack, .L_ZN12_GLOBAL__N_112calc_igammacIfEET_S1_S1_.has_dyn_sized_stack)
	.set _ZN2at6native32elementwise_kernel_manual_unrollILi128ELi4EZNS0_12_GLOBAL__N_142type_specialized_broadcast_kernel_launcherILi4EE5applyIN12_GLOBAL__N_110CalcIgammaIfEESt5arrayIPcLm3EES9_IN3c1010ScalarTypeELm3EE16OffsetCalculatorILi3EjLb0EEEEvlT_T0_T1_T2_EUlibE_EEviSJ_.has_recursion, or(0, .L_ZN12_GLOBAL__N_111calc_igammaIfEET_S1_S1_.has_recursion, .L_ZN12_GLOBAL__N_112calc_igammacIfEET_S1_S1_.has_recursion)
	.set _ZN2at6native32elementwise_kernel_manual_unrollILi128ELi4EZNS0_12_GLOBAL__N_142type_specialized_broadcast_kernel_launcherILi4EE5applyIN12_GLOBAL__N_110CalcIgammaIfEESt5arrayIPcLm3EES9_IN3c1010ScalarTypeELm3EE16OffsetCalculatorILi3EjLb0EEEEvlT_T0_T1_T2_EUlibE_EEviSJ_.has_indirect_call, or(0, .L_ZN12_GLOBAL__N_111calc_igammaIfEET_S1_S1_.has_indirect_call, .L_ZN12_GLOBAL__N_112calc_igammacIfEET_S1_S1_.has_indirect_call)
	.section	.AMDGPU.csdata,"",@progbits
; Kernel info:
; codeLenInByte = 6076
; TotalNumSgprs: 75
; NumVgprs: 84
; ScratchSize: 144
; MemoryBound: 0
; FloatMode: 240
; IeeeMode: 1
; LDSByteSize: 0 bytes/workgroup (compile time only)
; SGPRBlocks: 0
; VGPRBlocks: 5
; NumSGPRsForWavesPerEU: 75
; NumVGPRsForWavesPerEU: 84
; NamedBarCnt: 0
; Occupancy: 10
; WaveLimiterHint : 1
; COMPUTE_PGM_RSRC2:SCRATCH_EN: 1
; COMPUTE_PGM_RSRC2:USER_SGPR: 2
; COMPUTE_PGM_RSRC2:TRAP_HANDLER: 0
; COMPUTE_PGM_RSRC2:TGID_X_EN: 1
; COMPUTE_PGM_RSRC2:TGID_Y_EN: 0
; COMPUTE_PGM_RSRC2:TGID_Z_EN: 0
; COMPUTE_PGM_RSRC2:TIDIG_COMP_CNT: 0
	.section	.text._ZN2at6native32elementwise_kernel_manual_unrollILi128ELi4EZNS0_12_GLOBAL__N_142type_specialized_broadcast_kernel_launcherILi5EE5applyIN12_GLOBAL__N_110CalcIgammaIfEESt5arrayIPcLm3EES9_IN3c1010ScalarTypeELm3EE16OffsetCalculatorILi3EjLb0EEEEvlT_T0_T1_T2_EUlibE_EEviSJ_,"axG",@progbits,_ZN2at6native32elementwise_kernel_manual_unrollILi128ELi4EZNS0_12_GLOBAL__N_142type_specialized_broadcast_kernel_launcherILi5EE5applyIN12_GLOBAL__N_110CalcIgammaIfEESt5arrayIPcLm3EES9_IN3c1010ScalarTypeELm3EE16OffsetCalculatorILi3EjLb0EEEEvlT_T0_T1_T2_EUlibE_EEviSJ_,comdat
	.globl	_ZN2at6native32elementwise_kernel_manual_unrollILi128ELi4EZNS0_12_GLOBAL__N_142type_specialized_broadcast_kernel_launcherILi5EE5applyIN12_GLOBAL__N_110CalcIgammaIfEESt5arrayIPcLm3EES9_IN3c1010ScalarTypeELm3EE16OffsetCalculatorILi3EjLb0EEEEvlT_T0_T1_T2_EUlibE_EEviSJ_ ; -- Begin function _ZN2at6native32elementwise_kernel_manual_unrollILi128ELi4EZNS0_12_GLOBAL__N_142type_specialized_broadcast_kernel_launcherILi5EE5applyIN12_GLOBAL__N_110CalcIgammaIfEESt5arrayIPcLm3EES9_IN3c1010ScalarTypeELm3EE16OffsetCalculatorILi3EjLb0EEEEvlT_T0_T1_T2_EUlibE_EEviSJ_
	.p2align	8
	.type	_ZN2at6native32elementwise_kernel_manual_unrollILi128ELi4EZNS0_12_GLOBAL__N_142type_specialized_broadcast_kernel_launcherILi5EE5applyIN12_GLOBAL__N_110CalcIgammaIfEESt5arrayIPcLm3EES9_IN3c1010ScalarTypeELm3EE16OffsetCalculatorILi3EjLb0EEEEvlT_T0_T1_T2_EUlibE_EEviSJ_,@function
_ZN2at6native32elementwise_kernel_manual_unrollILi128ELi4EZNS0_12_GLOBAL__N_142type_specialized_broadcast_kernel_launcherILi5EE5applyIN12_GLOBAL__N_110CalcIgammaIfEESt5arrayIPcLm3EES9_IN3c1010ScalarTypeELm3EE16OffsetCalculatorILi3EjLb0EEEEvlT_T0_T1_T2_EUlibE_EEviSJ_: ; @_ZN2at6native32elementwise_kernel_manual_unrollILi128ELi4EZNS0_12_GLOBAL__N_142type_specialized_broadcast_kernel_launcherILi5EE5applyIN12_GLOBAL__N_110CalcIgammaIfEESt5arrayIPcLm3EES9_IN3c1010ScalarTypeELm3EE16OffsetCalculatorILi3EjLb0EEEEvlT_T0_T1_T2_EUlibE_EEviSJ_
; %bb.0:
	s_clause 0x1
	s_load_b32 s59, s[0:1], 0x8
	s_load_b32 s71, s[0:1], 0x0
	s_bfe_u32 s2, ttmp6, 0x4000c
	s_and_b32 s3, ttmp6, 15
	s_add_co_i32 s2, s2, 1
	s_getreg_b32 s4, hwreg(HW_REG_IB_STS2, 6, 4)
	s_mul_i32 s2, ttmp9, s2
	s_add_nc_u64 s[34:35], s[0:1], 8
	s_add_co_i32 s3, s3, s2
	s_cmp_eq_u32 s4, 0
	s_mov_b32 s61, 0
	s_cselect_b32 s2, ttmp9, s3
	s_mov_b32 s32, 0
	v_lshl_or_b32 v44, s2, 9, v0
	s_wait_xcnt 0x0
	s_mov_b32 s0, exec_lo
	s_delay_alu instid0(VALU_DEP_1) | instskip(SKIP_2) | instid1(SALU_CYCLE_1)
	v_or_b32_e32 v0, 0x180, v44
	s_wait_kmcnt 0x0
	s_add_co_i32 s66, s59, -1
	s_cmp_gt_u32 s66, 1
	s_cselect_b32 s67, -1, 0
	v_cmpx_le_i32_e64 s71, v0
	s_xor_b32 s68, exec_lo, s0
	s_cbranch_execz .LBB50_70
; %bb.1:
	s_clause 0x5
	s_load_b128 s[48:51], s[34:35], 0x4
	s_load_b64 s[46:47], s[34:35], 0x14
	s_load_b96 s[56:58], s[34:35], 0x198
	s_load_b128 s[52:55], s[34:35], 0xc4
	s_load_b64 s[62:63], s[34:35], 0xd4
	s_load_b128 s[36:39], s[34:35], 0x188
	s_cmp_lg_u32 s59, 0
	s_mov_b32 s65, s61
	s_cselect_b32 s72, -1, 0
	s_min_u32 s70, s66, 15
	s_cmp_gt_u32 s59, 1
	s_cselect_b32 s69, -1, 0
	s_wait_kmcnt 0x0
	s_mov_b32 s60, s49
	s_mov_b32 s64, s46
	s_bitcmp1_b32 s58, 0
	s_mov_b32 s49, exec_lo
	s_cselect_b32 s0, -1, 0
	s_delay_alu instid0(SALU_CYCLE_1)
	s_xor_b32 s46, s0, -1
	v_cmpx_gt_i32_e64 s71, v44
	s_cbranch_execnz .LBB50_5
; %bb.2:
	s_or_b32 exec_lo, exec_lo, s49
	s_delay_alu instid0(SALU_CYCLE_1)
	s_mov_b32 s49, exec_lo
	v_cmpx_gt_i32_e64 s71, v44
	s_cbranch_execnz .LBB50_21
.LBB50_3:
	s_or_b32 exec_lo, exec_lo, s49
	s_delay_alu instid0(SALU_CYCLE_1)
	s_mov_b32 s49, exec_lo
	v_cmpx_gt_i32_e64 s71, v44
	s_cbranch_execnz .LBB50_37
.LBB50_4:
	s_or_b32 exec_lo, exec_lo, s49
	s_delay_alu instid0(SALU_CYCLE_1)
	s_mov_b32 s49, exec_lo
	v_cmpx_gt_i32_e64 s71, v44
	s_cbranch_execnz .LBB50_53
	s_branch .LBB50_69
.LBB50_5:
	s_and_not1_b32 vcc_lo, exec_lo, s67
	s_cbranch_vccnz .LBB50_11
; %bb.6:
	s_and_not1_b32 vcc_lo, exec_lo, s72
	s_cbranch_vccnz .LBB50_12
; %bb.7:
	v_dual_mov_b32 v43, 0 :: v_dual_mov_b32 v0, v44
	v_dual_mov_b32 v3, 0 :: v_dual_mov_b32 v2, 0
	s_add_co_i32 s2, s70, 1
	s_mov_b64 s[0:1], 0xffffffffffffffe8
	s_and_b32 s2, s2, 30
	s_add_nc_u64 s[0:1], s[34:35], s[0:1]
.LBB50_8:                               ; =>This Inner Loop Header: Depth=1
	s_clause 0x1
	s_load_b128 s[4:7], s[0:1], 0x1c
	s_load_b64 s[12:13], s[0:1], 0x2c
	s_add_co_i32 s2, s2, -2
	s_delay_alu instid0(SALU_CYCLE_1) | instskip(SKIP_2) | instid1(VALU_DEP_1)
	s_cmp_lg_u32 s2, 0
	s_wait_kmcnt 0x0
	v_mul_hi_u32 v1, s5, v0
	v_add_nc_u32_e32 v1, v0, v1
	s_delay_alu instid0(VALU_DEP_1) | instskip(NEXT) | instid1(VALU_DEP_1)
	v_lshrrev_b32_e32 v1, s6, v1
	v_mul_hi_u32 v4, s12, v1
	v_mul_lo_u32 v5, v1, s4
	s_clause 0x1
	s_load_b128 s[8:11], s[0:1], 0xdc
	s_load_b64 s[4:5], s[0:1], 0xec
	s_wait_xcnt 0x0
	s_add_nc_u64 s[0:1], s[0:1], 24
	s_delay_alu instid0(VALU_DEP_1) | instskip(NEXT) | instid1(VALU_DEP_1)
	v_dual_add_nc_u32 v4, v1, v4 :: v_dual_sub_nc_u32 v5, v0, v5
	v_lshrrev_b32_e32 v0, s13, v4
	s_wait_kmcnt 0x0
	s_delay_alu instid0(VALU_DEP_2) | instskip(NEXT) | instid1(VALU_DEP_2)
	v_mad_u32 v6, v5, s8, v43
	v_mul_lo_u32 v4, v0, s7
	v_mad_u32 v2, v5, s10, v2
	v_mad_u32 v3, v5, s9, v3
	s_delay_alu instid0(VALU_DEP_3) | instskip(NEXT) | instid1(VALU_DEP_1)
	v_sub_nc_u32_e32 v1, v1, v4
	v_mad_u32 v43, v1, s11, v6
	s_delay_alu instid0(VALU_DEP_4) | instskip(NEXT) | instid1(VALU_DEP_4)
	v_mad_u32 v2, v1, s5, v2
	v_mad_u32 v3, v1, s4, v3
	s_cbranch_scc1 .LBB50_8
; %bb.9:
	s_bitcmp1_b32 s70, 0
	s_cselect_b32 s2, -1, 0
	s_delay_alu instid0(SALU_CYCLE_1)
	s_and_b32 vcc_lo, exec_lo, s2
	s_cbranch_vccnz .LBB50_13
; %bb.10:
	s_clause 0x1
	s_load_b96 s[4:6], s[0:1], 0x1c
	s_load_b96 s[8:10], s[0:1], 0xdc
	s_wait_xcnt 0x0
	s_wait_kmcnt 0x0
	v_mul_hi_u32 v1, s5, v0
	s_delay_alu instid0(VALU_DEP_1) | instskip(NEXT) | instid1(VALU_DEP_1)
	v_add_nc_u32_e32 v1, v0, v1
	v_lshrrev_b32_e32 v1, s6, v1
	s_delay_alu instid0(VALU_DEP_1) | instskip(NEXT) | instid1(VALU_DEP_1)
	v_mul_lo_u32 v1, v1, s4
	v_sub_nc_u32_e32 v0, v0, v1
	s_delay_alu instid0(VALU_DEP_1)
	v_mad_u32 v43, v0, s8, v43
	v_mad_u32 v3, v0, s9, v3
	;; [unrolled: 1-line block ×3, first 2 shown]
	s_cbranch_execz .LBB50_14
	s_branch .LBB50_16
.LBB50_11:
                                        ; implicit-def: $vgpr2
                                        ; implicit-def: $vgpr3
                                        ; implicit-def: $vgpr43
	s_branch .LBB50_14
.LBB50_12:
	v_dual_mov_b32 v2, 0 :: v_dual_mov_b32 v3, 0
	v_mov_b32_e32 v43, 0
.LBB50_13:
	s_cbranch_execnz .LBB50_16
.LBB50_14:
	v_mov_b32_e32 v45, 0
	s_and_not1_b32 vcc_lo, exec_lo, s69
	s_delay_alu instid0(VALU_DEP_1) | instskip(NEXT) | instid1(VALU_DEP_1)
	v_mul_u64_e32 v[0:1], s[60:61], v[44:45]
	v_add_nc_u32_e32 v0, v44, v1
	s_delay_alu instid0(VALU_DEP_1) | instskip(NEXT) | instid1(VALU_DEP_1)
	v_lshrrev_b32_e32 v0, s50, v0
	v_mul_lo_u32 v1, v0, s48
	s_delay_alu instid0(VALU_DEP_1) | instskip(NEXT) | instid1(VALU_DEP_1)
	v_sub_nc_u32_e32 v1, v44, v1
	v_mul_lo_u32 v43, v1, s52
	v_mul_lo_u32 v2, v1, s54
	;; [unrolled: 1-line block ×3, first 2 shown]
	s_cbranch_vccnz .LBB50_16
; %bb.15:
	v_mov_b32_e32 v1, v45
	s_delay_alu instid0(VALU_DEP_1) | instskip(NEXT) | instid1(VALU_DEP_1)
	v_mul_u64_e32 v[4:5], s[64:65], v[0:1]
	v_add_nc_u32_e32 v1, v0, v5
	s_delay_alu instid0(VALU_DEP_1) | instskip(NEXT) | instid1(VALU_DEP_1)
	v_lshrrev_b32_e32 v1, s47, v1
	v_mul_lo_u32 v1, v1, s51
	s_delay_alu instid0(VALU_DEP_1) | instskip(NEXT) | instid1(VALU_DEP_1)
	v_sub_nc_u32_e32 v0, v0, v1
	v_mad_u32 v43, v0, s55, v43
	v_mad_u32 v3, v0, s62, v3
	;; [unrolled: 1-line block ×3, first 2 shown]
.LBB50_16:
	global_load_u16 v0, v3, s[38:39]
	global_load_b32 v40, v2, s[56:57]
	s_and_b32 vcc_lo, exec_lo, s46
	s_wait_loadcnt 0x1
	v_cvt_f32_f16_e32 v42, v0
	s_cbranch_vccz .LBB50_18
; %bb.17:
	s_wait_loadcnt 0x0
	s_delay_alu instid0(VALU_DEP_1) | instskip(SKIP_2) | instid1(SALU_CYCLE_1)
	v_dual_mov_b32 v0, v42 :: v_dual_mov_b32 v1, v40
	s_get_pc_i64 s[0:1]
	s_add_nc_u64 s[0:1], s[0:1], _ZN12_GLOBAL__N_111calc_igammaIfEET_S1_S1_@rel64+4
	s_swap_pc_i64 s[30:31], s[0:1]
	s_cbranch_execz .LBB50_19
	s_branch .LBB50_20
.LBB50_18:
                                        ; implicit-def: $vgpr0
.LBB50_19:
	s_wait_loadcnt 0x0
	s_delay_alu instid0(VALU_DEP_1) | instskip(SKIP_2) | instid1(SALU_CYCLE_1)
	v_dual_mov_b32 v0, v42 :: v_dual_mov_b32 v1, v40
	s_get_pc_i64 s[0:1]
	s_add_nc_u64 s[0:1], s[0:1], _ZN12_GLOBAL__N_112calc_igammacIfEET_S1_S1_@rel64+4
	s_swap_pc_i64 s[30:31], s[0:1]
.LBB50_20:
	s_delay_alu instid0(VALU_DEP_1) | instskip(SKIP_4) | instid1(SALU_CYCLE_1)
	v_cvt_f16_f32_e32 v0, v0
	v_add_nc_u32_e32 v44, 0x80, v44
	global_store_b16 v43, v0, s[36:37]
	s_wait_xcnt 0x0
	s_or_b32 exec_lo, exec_lo, s49
	s_mov_b32 s49, exec_lo
	v_cmpx_gt_i32_e64 s71, v44
	s_cbranch_execz .LBB50_3
.LBB50_21:
	s_and_not1_b32 vcc_lo, exec_lo, s67
	s_cbranch_vccnz .LBB50_27
; %bb.22:
	s_and_not1_b32 vcc_lo, exec_lo, s72
	s_cbranch_vccnz .LBB50_28
; %bb.23:
	v_dual_mov_b32 v43, 0 :: v_dual_mov_b32 v0, v44
	v_dual_mov_b32 v3, 0 :: v_dual_mov_b32 v2, 0
	s_add_co_i32 s2, s70, 1
	s_mov_b64 s[0:1], 0xffffffffffffffe8
	s_and_b32 s2, s2, 30
	s_add_nc_u64 s[0:1], s[34:35], s[0:1]
.LBB50_24:                              ; =>This Inner Loop Header: Depth=1
	s_clause 0x1
	s_load_b128 s[4:7], s[0:1], 0x1c
	s_load_b64 s[12:13], s[0:1], 0x2c
	s_add_co_i32 s2, s2, -2
	s_delay_alu instid0(SALU_CYCLE_1) | instskip(SKIP_2) | instid1(VALU_DEP_1)
	s_cmp_eq_u32 s2, 0
	s_wait_kmcnt 0x0
	v_mul_hi_u32 v1, s5, v0
	v_add_nc_u32_e32 v1, v0, v1
	s_delay_alu instid0(VALU_DEP_1) | instskip(NEXT) | instid1(VALU_DEP_1)
	v_lshrrev_b32_e32 v1, s6, v1
	v_mul_hi_u32 v4, s12, v1
	v_mul_lo_u32 v5, v1, s4
	s_clause 0x1
	s_load_b128 s[8:11], s[0:1], 0xdc
	s_load_b64 s[4:5], s[0:1], 0xec
	s_wait_xcnt 0x0
	s_add_nc_u64 s[0:1], s[0:1], 24
	s_delay_alu instid0(VALU_DEP_1) | instskip(NEXT) | instid1(VALU_DEP_1)
	v_dual_add_nc_u32 v4, v1, v4 :: v_dual_sub_nc_u32 v5, v0, v5
	v_lshrrev_b32_e32 v0, s13, v4
	s_wait_kmcnt 0x0
	s_delay_alu instid0(VALU_DEP_2) | instskip(NEXT) | instid1(VALU_DEP_2)
	v_mad_u32 v6, v5, s8, v43
	v_mul_lo_u32 v4, v0, s7
	v_mad_u32 v2, v5, s10, v2
	v_mad_u32 v3, v5, s9, v3
	s_delay_alu instid0(VALU_DEP_3) | instskip(NEXT) | instid1(VALU_DEP_1)
	v_sub_nc_u32_e32 v1, v1, v4
	v_mad_u32 v43, v1, s11, v6
	s_delay_alu instid0(VALU_DEP_4) | instskip(NEXT) | instid1(VALU_DEP_4)
	v_mad_u32 v2, v1, s5, v2
	v_mad_u32 v3, v1, s4, v3
	s_cbranch_scc0 .LBB50_24
; %bb.25:
	s_bitcmp1_b32 s70, 0
	s_cselect_b32 s2, -1, 0
	s_delay_alu instid0(SALU_CYCLE_1)
	s_and_b32 vcc_lo, exec_lo, s2
	s_cbranch_vccnz .LBB50_29
; %bb.26:
	s_clause 0x1
	s_load_b96 s[4:6], s[0:1], 0x1c
	s_load_b96 s[8:10], s[0:1], 0xdc
	s_wait_kmcnt 0x0
	v_mul_hi_u32 v1, s5, v0
	s_delay_alu instid0(VALU_DEP_1) | instskip(NEXT) | instid1(VALU_DEP_1)
	v_add_nc_u32_e32 v1, v0, v1
	v_lshrrev_b32_e32 v1, s6, v1
	s_delay_alu instid0(VALU_DEP_1) | instskip(NEXT) | instid1(VALU_DEP_1)
	v_mul_lo_u32 v1, v1, s4
	v_sub_nc_u32_e32 v0, v0, v1
	s_delay_alu instid0(VALU_DEP_1)
	v_mad_u32 v43, v0, s8, v43
	v_mad_u32 v3, v0, s9, v3
	;; [unrolled: 1-line block ×3, first 2 shown]
	s_branch .LBB50_29
.LBB50_27:
                                        ; implicit-def: $vgpr2
                                        ; implicit-def: $vgpr3
                                        ; implicit-def: $vgpr43
	s_branch .LBB50_30
.LBB50_28:
	v_dual_mov_b32 v2, 0 :: v_dual_mov_b32 v3, 0
	v_mov_b32_e32 v43, 0
.LBB50_29:
	s_cbranch_execnz .LBB50_32
.LBB50_30:
	v_mov_b32_e32 v45, 0
	s_and_not1_b32 vcc_lo, exec_lo, s69
	s_delay_alu instid0(VALU_DEP_1) | instskip(NEXT) | instid1(VALU_DEP_1)
	v_mul_u64_e32 v[0:1], s[60:61], v[44:45]
	v_add_nc_u32_e32 v0, v44, v1
	s_delay_alu instid0(VALU_DEP_1) | instskip(NEXT) | instid1(VALU_DEP_1)
	v_lshrrev_b32_e32 v0, s50, v0
	v_mul_lo_u32 v1, v0, s48
	s_delay_alu instid0(VALU_DEP_1) | instskip(NEXT) | instid1(VALU_DEP_1)
	v_sub_nc_u32_e32 v1, v44, v1
	v_mul_lo_u32 v43, v1, s52
	v_mul_lo_u32 v2, v1, s54
	;; [unrolled: 1-line block ×3, first 2 shown]
	s_cbranch_vccnz .LBB50_32
; %bb.31:
	v_mov_b32_e32 v1, v45
	s_delay_alu instid0(VALU_DEP_1) | instskip(NEXT) | instid1(VALU_DEP_1)
	v_mul_u64_e32 v[4:5], s[64:65], v[0:1]
	v_add_nc_u32_e32 v1, v0, v5
	s_delay_alu instid0(VALU_DEP_1) | instskip(NEXT) | instid1(VALU_DEP_1)
	v_lshrrev_b32_e32 v1, s47, v1
	v_mul_lo_u32 v1, v1, s51
	s_delay_alu instid0(VALU_DEP_1) | instskip(NEXT) | instid1(VALU_DEP_1)
	v_sub_nc_u32_e32 v0, v0, v1
	v_mad_u32 v43, v0, s55, v43
	v_mad_u32 v3, v0, s62, v3
	;; [unrolled: 1-line block ×3, first 2 shown]
.LBB50_32:
	global_load_u16 v0, v3, s[38:39]
	s_wait_loadcnt 0x1
	global_load_b32 v40, v2, s[56:57]
	s_and_not1_b32 vcc_lo, exec_lo, s46
	s_wait_loadcnt 0x1
	v_cvt_f32_f16_e32 v42, v0
	s_cbranch_vccnz .LBB50_34
; %bb.33:
	s_wait_loadcnt 0x0
	s_delay_alu instid0(VALU_DEP_1) | instskip(SKIP_2) | instid1(SALU_CYCLE_1)
	v_dual_mov_b32 v0, v42 :: v_dual_mov_b32 v1, v40
	s_get_pc_i64 s[0:1]
	s_add_nc_u64 s[0:1], s[0:1], _ZN12_GLOBAL__N_111calc_igammaIfEET_S1_S1_@rel64+4
	s_swap_pc_i64 s[30:31], s[0:1]
	s_cbranch_execz .LBB50_35
	s_branch .LBB50_36
.LBB50_34:
                                        ; implicit-def: $vgpr0
.LBB50_35:
	s_wait_loadcnt 0x0
	s_delay_alu instid0(VALU_DEP_1) | instskip(SKIP_2) | instid1(SALU_CYCLE_1)
	v_dual_mov_b32 v0, v42 :: v_dual_mov_b32 v1, v40
	s_get_pc_i64 s[0:1]
	s_add_nc_u64 s[0:1], s[0:1], _ZN12_GLOBAL__N_112calc_igammacIfEET_S1_S1_@rel64+4
	s_swap_pc_i64 s[30:31], s[0:1]
.LBB50_36:
	s_delay_alu instid0(VALU_DEP_1) | instskip(SKIP_4) | instid1(SALU_CYCLE_1)
	v_cvt_f16_f32_e32 v0, v0
	v_add_nc_u32_e32 v44, 0x80, v44
	global_store_b16 v43, v0, s[36:37]
	s_wait_xcnt 0x0
	s_or_b32 exec_lo, exec_lo, s49
	s_mov_b32 s49, exec_lo
	v_cmpx_gt_i32_e64 s71, v44
	s_cbranch_execz .LBB50_4
.LBB50_37:
	s_and_not1_b32 vcc_lo, exec_lo, s67
	s_cbranch_vccnz .LBB50_43
; %bb.38:
	s_and_not1_b32 vcc_lo, exec_lo, s72
	s_cbranch_vccnz .LBB50_44
; %bb.39:
	v_dual_mov_b32 v43, 0 :: v_dual_mov_b32 v0, v44
	v_dual_mov_b32 v3, 0 :: v_dual_mov_b32 v2, 0
	s_add_co_i32 s2, s70, 1
	s_mov_b64 s[0:1], 0xffffffffffffffe8
	s_and_b32 s2, s2, 30
	s_add_nc_u64 s[0:1], s[34:35], s[0:1]
.LBB50_40:                              ; =>This Inner Loop Header: Depth=1
	s_clause 0x1
	s_load_b128 s[4:7], s[0:1], 0x1c
	s_load_b64 s[12:13], s[0:1], 0x2c
	s_add_co_i32 s2, s2, -2
	s_delay_alu instid0(SALU_CYCLE_1) | instskip(SKIP_2) | instid1(VALU_DEP_1)
	s_cmp_eq_u32 s2, 0
	s_wait_kmcnt 0x0
	v_mul_hi_u32 v1, s5, v0
	v_add_nc_u32_e32 v1, v0, v1
	s_delay_alu instid0(VALU_DEP_1) | instskip(NEXT) | instid1(VALU_DEP_1)
	v_lshrrev_b32_e32 v1, s6, v1
	v_mul_hi_u32 v4, s12, v1
	v_mul_lo_u32 v5, v1, s4
	s_clause 0x1
	s_load_b128 s[8:11], s[0:1], 0xdc
	s_load_b64 s[4:5], s[0:1], 0xec
	s_wait_xcnt 0x0
	s_add_nc_u64 s[0:1], s[0:1], 24
	s_delay_alu instid0(VALU_DEP_1) | instskip(NEXT) | instid1(VALU_DEP_1)
	v_dual_add_nc_u32 v4, v1, v4 :: v_dual_sub_nc_u32 v5, v0, v5
	v_lshrrev_b32_e32 v0, s13, v4
	s_wait_kmcnt 0x0
	s_delay_alu instid0(VALU_DEP_2) | instskip(NEXT) | instid1(VALU_DEP_2)
	v_mad_u32 v6, v5, s8, v43
	v_mul_lo_u32 v4, v0, s7
	v_mad_u32 v2, v5, s10, v2
	v_mad_u32 v3, v5, s9, v3
	s_delay_alu instid0(VALU_DEP_3) | instskip(NEXT) | instid1(VALU_DEP_1)
	v_sub_nc_u32_e32 v1, v1, v4
	v_mad_u32 v43, v1, s11, v6
	s_delay_alu instid0(VALU_DEP_4) | instskip(NEXT) | instid1(VALU_DEP_4)
	v_mad_u32 v2, v1, s5, v2
	v_mad_u32 v3, v1, s4, v3
	s_cbranch_scc0 .LBB50_40
; %bb.41:
	s_bitcmp1_b32 s70, 0
	s_cselect_b32 s2, -1, 0
	s_delay_alu instid0(SALU_CYCLE_1)
	s_and_b32 vcc_lo, exec_lo, s2
	s_cbranch_vccnz .LBB50_45
; %bb.42:
	s_clause 0x1
	s_load_b96 s[4:6], s[0:1], 0x1c
	s_load_b96 s[8:10], s[0:1], 0xdc
	s_wait_kmcnt 0x0
	v_mul_hi_u32 v1, s5, v0
	s_delay_alu instid0(VALU_DEP_1) | instskip(NEXT) | instid1(VALU_DEP_1)
	v_add_nc_u32_e32 v1, v0, v1
	v_lshrrev_b32_e32 v1, s6, v1
	s_delay_alu instid0(VALU_DEP_1) | instskip(NEXT) | instid1(VALU_DEP_1)
	v_mul_lo_u32 v1, v1, s4
	v_sub_nc_u32_e32 v0, v0, v1
	s_delay_alu instid0(VALU_DEP_1)
	v_mad_u32 v43, v0, s8, v43
	v_mad_u32 v3, v0, s9, v3
	v_mad_u32 v2, v0, s10, v2
	s_branch .LBB50_45
.LBB50_43:
                                        ; implicit-def: $vgpr2
                                        ; implicit-def: $vgpr3
                                        ; implicit-def: $vgpr43
	s_branch .LBB50_46
.LBB50_44:
	v_dual_mov_b32 v2, 0 :: v_dual_mov_b32 v3, 0
	v_mov_b32_e32 v43, 0
.LBB50_45:
	s_cbranch_execnz .LBB50_48
.LBB50_46:
	v_mov_b32_e32 v45, 0
	s_and_not1_b32 vcc_lo, exec_lo, s69
	s_delay_alu instid0(VALU_DEP_1) | instskip(NEXT) | instid1(VALU_DEP_1)
	v_mul_u64_e32 v[0:1], s[60:61], v[44:45]
	v_add_nc_u32_e32 v0, v44, v1
	s_delay_alu instid0(VALU_DEP_1) | instskip(NEXT) | instid1(VALU_DEP_1)
	v_lshrrev_b32_e32 v0, s50, v0
	v_mul_lo_u32 v1, v0, s48
	s_delay_alu instid0(VALU_DEP_1) | instskip(NEXT) | instid1(VALU_DEP_1)
	v_sub_nc_u32_e32 v1, v44, v1
	v_mul_lo_u32 v43, v1, s52
	v_mul_lo_u32 v2, v1, s54
	;; [unrolled: 1-line block ×3, first 2 shown]
	s_cbranch_vccnz .LBB50_48
; %bb.47:
	v_mov_b32_e32 v1, v45
	s_delay_alu instid0(VALU_DEP_1) | instskip(NEXT) | instid1(VALU_DEP_1)
	v_mul_u64_e32 v[4:5], s[64:65], v[0:1]
	v_add_nc_u32_e32 v1, v0, v5
	s_delay_alu instid0(VALU_DEP_1) | instskip(NEXT) | instid1(VALU_DEP_1)
	v_lshrrev_b32_e32 v1, s47, v1
	v_mul_lo_u32 v1, v1, s51
	s_delay_alu instid0(VALU_DEP_1) | instskip(NEXT) | instid1(VALU_DEP_1)
	v_sub_nc_u32_e32 v0, v0, v1
	v_mad_u32 v43, v0, s55, v43
	v_mad_u32 v3, v0, s62, v3
	;; [unrolled: 1-line block ×3, first 2 shown]
.LBB50_48:
	global_load_u16 v0, v3, s[38:39]
	s_wait_loadcnt 0x1
	global_load_b32 v40, v2, s[56:57]
	s_and_not1_b32 vcc_lo, exec_lo, s46
	s_wait_loadcnt 0x1
	v_cvt_f32_f16_e32 v42, v0
	s_cbranch_vccnz .LBB50_50
; %bb.49:
	s_wait_loadcnt 0x0
	s_delay_alu instid0(VALU_DEP_1) | instskip(SKIP_2) | instid1(SALU_CYCLE_1)
	v_dual_mov_b32 v0, v42 :: v_dual_mov_b32 v1, v40
	s_get_pc_i64 s[0:1]
	s_add_nc_u64 s[0:1], s[0:1], _ZN12_GLOBAL__N_111calc_igammaIfEET_S1_S1_@rel64+4
	s_swap_pc_i64 s[30:31], s[0:1]
	s_cbranch_execz .LBB50_51
	s_branch .LBB50_52
.LBB50_50:
                                        ; implicit-def: $vgpr0
.LBB50_51:
	s_wait_loadcnt 0x0
	s_delay_alu instid0(VALU_DEP_1) | instskip(SKIP_2) | instid1(SALU_CYCLE_1)
	v_dual_mov_b32 v0, v42 :: v_dual_mov_b32 v1, v40
	s_get_pc_i64 s[0:1]
	s_add_nc_u64 s[0:1], s[0:1], _ZN12_GLOBAL__N_112calc_igammacIfEET_S1_S1_@rel64+4
	s_swap_pc_i64 s[30:31], s[0:1]
.LBB50_52:
	s_delay_alu instid0(VALU_DEP_1) | instskip(SKIP_4) | instid1(SALU_CYCLE_1)
	v_cvt_f16_f32_e32 v0, v0
	v_add_nc_u32_e32 v44, 0x80, v44
	global_store_b16 v43, v0, s[36:37]
	s_wait_xcnt 0x0
	s_or_b32 exec_lo, exec_lo, s49
	s_mov_b32 s49, exec_lo
	v_cmpx_gt_i32_e64 s71, v44
	s_cbranch_execz .LBB50_69
.LBB50_53:
	s_and_not1_b32 vcc_lo, exec_lo, s67
	s_cbranch_vccnz .LBB50_59
; %bb.54:
	s_and_not1_b32 vcc_lo, exec_lo, s72
	s_cbranch_vccnz .LBB50_60
; %bb.55:
	v_dual_mov_b32 v43, 0 :: v_dual_mov_b32 v0, v44
	v_dual_mov_b32 v3, 0 :: v_dual_mov_b32 v2, 0
	s_add_co_i32 s2, s70, 1
	s_mov_b64 s[0:1], 0xffffffffffffffe8
	s_and_b32 s2, s2, 30
	s_add_nc_u64 s[0:1], s[34:35], s[0:1]
.LBB50_56:                              ; =>This Inner Loop Header: Depth=1
	s_clause 0x1
	s_load_b128 s[4:7], s[0:1], 0x1c
	s_load_b64 s[12:13], s[0:1], 0x2c
	s_add_co_i32 s2, s2, -2
	s_delay_alu instid0(SALU_CYCLE_1) | instskip(SKIP_2) | instid1(VALU_DEP_1)
	s_cmp_eq_u32 s2, 0
	s_wait_kmcnt 0x0
	v_mul_hi_u32 v1, s5, v0
	v_add_nc_u32_e32 v1, v0, v1
	s_delay_alu instid0(VALU_DEP_1) | instskip(NEXT) | instid1(VALU_DEP_1)
	v_lshrrev_b32_e32 v1, s6, v1
	v_mul_hi_u32 v4, s12, v1
	v_mul_lo_u32 v5, v1, s4
	s_clause 0x1
	s_load_b128 s[8:11], s[0:1], 0xdc
	s_load_b64 s[4:5], s[0:1], 0xec
	s_wait_xcnt 0x0
	s_add_nc_u64 s[0:1], s[0:1], 24
	s_delay_alu instid0(VALU_DEP_1) | instskip(NEXT) | instid1(VALU_DEP_1)
	v_dual_add_nc_u32 v4, v1, v4 :: v_dual_sub_nc_u32 v5, v0, v5
	v_lshrrev_b32_e32 v0, s13, v4
	s_wait_kmcnt 0x0
	s_delay_alu instid0(VALU_DEP_2) | instskip(NEXT) | instid1(VALU_DEP_2)
	v_mad_u32 v6, v5, s8, v43
	v_mul_lo_u32 v4, v0, s7
	v_mad_u32 v2, v5, s10, v2
	v_mad_u32 v3, v5, s9, v3
	s_delay_alu instid0(VALU_DEP_3) | instskip(NEXT) | instid1(VALU_DEP_1)
	v_sub_nc_u32_e32 v1, v1, v4
	v_mad_u32 v43, v1, s11, v6
	s_delay_alu instid0(VALU_DEP_4) | instskip(NEXT) | instid1(VALU_DEP_4)
	v_mad_u32 v2, v1, s5, v2
	v_mad_u32 v3, v1, s4, v3
	s_cbranch_scc0 .LBB50_56
; %bb.57:
	s_bitcmp1_b32 s70, 0
	s_cselect_b32 s2, -1, 0
	s_delay_alu instid0(SALU_CYCLE_1)
	s_and_b32 vcc_lo, exec_lo, s2
	s_cbranch_vccnz .LBB50_61
; %bb.58:
	s_clause 0x1
	s_load_b96 s[4:6], s[0:1], 0x1c
	s_load_b96 s[8:10], s[0:1], 0xdc
	s_wait_kmcnt 0x0
	v_mul_hi_u32 v1, s5, v0
	s_delay_alu instid0(VALU_DEP_1) | instskip(NEXT) | instid1(VALU_DEP_1)
	v_add_nc_u32_e32 v1, v0, v1
	v_lshrrev_b32_e32 v1, s6, v1
	s_delay_alu instid0(VALU_DEP_1) | instskip(NEXT) | instid1(VALU_DEP_1)
	v_mul_lo_u32 v1, v1, s4
	v_sub_nc_u32_e32 v0, v0, v1
	s_delay_alu instid0(VALU_DEP_1)
	v_mad_u32 v43, v0, s8, v43
	v_mad_u32 v3, v0, s9, v3
	;; [unrolled: 1-line block ×3, first 2 shown]
	s_branch .LBB50_61
.LBB50_59:
                                        ; implicit-def: $vgpr2
                                        ; implicit-def: $vgpr3
                                        ; implicit-def: $vgpr43
	s_branch .LBB50_62
.LBB50_60:
	v_dual_mov_b32 v2, 0 :: v_dual_mov_b32 v3, 0
	v_mov_b32_e32 v43, 0
.LBB50_61:
	s_cbranch_execnz .LBB50_64
.LBB50_62:
	v_mov_b32_e32 v45, 0
	s_and_not1_b32 vcc_lo, exec_lo, s69
	s_delay_alu instid0(VALU_DEP_1) | instskip(NEXT) | instid1(VALU_DEP_1)
	v_mul_u64_e32 v[0:1], s[60:61], v[44:45]
	v_add_nc_u32_e32 v0, v44, v1
	s_delay_alu instid0(VALU_DEP_1) | instskip(NEXT) | instid1(VALU_DEP_1)
	v_lshrrev_b32_e32 v0, s50, v0
	v_mul_lo_u32 v1, v0, s48
	s_delay_alu instid0(VALU_DEP_1) | instskip(NEXT) | instid1(VALU_DEP_1)
	v_sub_nc_u32_e32 v1, v44, v1
	v_mul_lo_u32 v43, v1, s52
	v_mul_lo_u32 v2, v1, s54
	;; [unrolled: 1-line block ×3, first 2 shown]
	s_cbranch_vccnz .LBB50_64
; %bb.63:
	v_mov_b32_e32 v1, v45
	s_delay_alu instid0(VALU_DEP_1) | instskip(NEXT) | instid1(VALU_DEP_1)
	v_mul_u64_e32 v[4:5], s[64:65], v[0:1]
	v_add_nc_u32_e32 v1, v0, v5
	s_delay_alu instid0(VALU_DEP_1) | instskip(NEXT) | instid1(VALU_DEP_1)
	v_lshrrev_b32_e32 v1, s47, v1
	v_mul_lo_u32 v1, v1, s51
	s_delay_alu instid0(VALU_DEP_1) | instskip(NEXT) | instid1(VALU_DEP_1)
	v_sub_nc_u32_e32 v0, v0, v1
	v_mad_u32 v43, v0, s55, v43
	v_mad_u32 v3, v0, s62, v3
	;; [unrolled: 1-line block ×3, first 2 shown]
.LBB50_64:
	global_load_u16 v0, v3, s[38:39]
	s_wait_loadcnt 0x1
	global_load_b32 v40, v2, s[56:57]
	s_and_not1_b32 vcc_lo, exec_lo, s46
	s_wait_loadcnt 0x1
	v_cvt_f32_f16_e32 v42, v0
	s_cbranch_vccnz .LBB50_66
; %bb.65:
	s_wait_loadcnt 0x0
	s_delay_alu instid0(VALU_DEP_1) | instskip(SKIP_2) | instid1(SALU_CYCLE_1)
	v_dual_mov_b32 v0, v42 :: v_dual_mov_b32 v1, v40
	s_get_pc_i64 s[0:1]
	s_add_nc_u64 s[0:1], s[0:1], _ZN12_GLOBAL__N_111calc_igammaIfEET_S1_S1_@rel64+4
	s_swap_pc_i64 s[30:31], s[0:1]
	s_cbranch_execz .LBB50_67
	s_branch .LBB50_68
.LBB50_66:
                                        ; implicit-def: $vgpr0
.LBB50_67:
	s_wait_loadcnt 0x0
	s_delay_alu instid0(VALU_DEP_1) | instskip(SKIP_2) | instid1(SALU_CYCLE_1)
	v_dual_mov_b32 v0, v42 :: v_dual_mov_b32 v1, v40
	s_get_pc_i64 s[0:1]
	s_add_nc_u64 s[0:1], s[0:1], _ZN12_GLOBAL__N_112calc_igammacIfEET_S1_S1_@rel64+4
	s_swap_pc_i64 s[30:31], s[0:1]
.LBB50_68:
	s_delay_alu instid0(VALU_DEP_1)
	v_cvt_f16_f32_e32 v0, v0
	global_store_b16 v43, v0, s[36:37]
.LBB50_69:
	s_wait_xcnt 0x0
	s_or_b32 exec_lo, exec_lo, s49
                                        ; implicit-def: $vgpr0
                                        ; implicit-def: $vgpr44
.LBB50_70:
	s_and_not1_saveexec_b32 s0, s68
	s_cbranch_execz .LBB50_77
; %bb.71:
	v_cndmask_b32_e64 v3, 0, 1, s67
	s_and_not1_b32 vcc_lo, exec_lo, s67
	s_cbranch_vccnz .LBB50_78
; %bb.72:
	s_cmp_lg_u32 s59, 0
	s_mov_b32 s2, 0
	s_cbranch_scc0 .LBB50_82
; %bb.73:
	s_min_u32 s3, s66, 15
	v_dual_mov_b32 v46, 0 :: v_dual_mov_b32 v4, v44
	v_dual_mov_b32 v2, 0 :: v_dual_mov_b32 v1, 0
	s_add_co_i32 s4, s3, 1
	s_mov_b64 s[0:1], 0xffffffffffffffe8
	s_and_b32 s4, s4, 30
	s_add_nc_u64 s[0:1], s[34:35], s[0:1]
.LBB50_74:                              ; =>This Inner Loop Header: Depth=1
	s_clause 0x1
	s_load_b128 s[8:11], s[0:1], 0x1c
	s_load_b64 s[6:7], s[0:1], 0x2c
	s_add_co_i32 s4, s4, -2
	s_delay_alu instid0(SALU_CYCLE_1) | instskip(SKIP_2) | instid1(VALU_DEP_1)
	s_cmp_lg_u32 s4, 0
	s_wait_kmcnt 0x0
	v_mul_hi_u32 v5, s9, v4
	v_add_nc_u32_e32 v5, v4, v5
	s_delay_alu instid0(VALU_DEP_1) | instskip(NEXT) | instid1(VALU_DEP_1)
	v_lshrrev_b32_e32 v5, s10, v5
	v_mul_hi_u32 v6, s6, v5
	v_mul_lo_u32 v7, v5, s8
	s_clause 0x1
	s_load_b128 s[12:15], s[0:1], 0xdc
	s_load_b64 s[8:9], s[0:1], 0xec
	s_wait_xcnt 0x0
	s_add_nc_u64 s[0:1], s[0:1], 24
	s_delay_alu instid0(VALU_DEP_1) | instskip(NEXT) | instid1(VALU_DEP_1)
	v_dual_add_nc_u32 v6, v5, v6 :: v_dual_sub_nc_u32 v7, v4, v7
	v_lshrrev_b32_e32 v4, s7, v6
	s_wait_kmcnt 0x0
	s_delay_alu instid0(VALU_DEP_2) | instskip(NEXT) | instid1(VALU_DEP_2)
	v_mad_u32 v8, v7, s12, v46
	v_mul_lo_u32 v6, v4, s11
	v_mad_u32 v1, v7, s14, v1
	v_mad_u32 v2, v7, s13, v2
	s_delay_alu instid0(VALU_DEP_3) | instskip(NEXT) | instid1(VALU_DEP_1)
	v_sub_nc_u32_e32 v5, v5, v6
	v_mad_u32 v46, v5, s15, v8
	s_delay_alu instid0(VALU_DEP_4) | instskip(NEXT) | instid1(VALU_DEP_4)
	v_mad_u32 v1, v5, s9, v1
	v_mad_u32 v2, v5, s8, v2
	s_cbranch_scc1 .LBB50_74
; %bb.75:
	s_bitcmp1_b32 s3, 0
	s_cselect_b32 s3, -1, 0
	s_delay_alu instid0(SALU_CYCLE_1)
	s_and_b32 vcc_lo, exec_lo, s3
	s_cbranch_vccnz .LBB50_79
; %bb.76:
	s_clause 0x1
	s_load_b96 s[4:6], s[0:1], 0x1c
	s_load_b96 s[8:10], s[0:1], 0xdc
	s_wait_kmcnt 0x0
	v_mul_hi_u32 v5, s5, v4
	s_delay_alu instid0(VALU_DEP_1) | instskip(NEXT) | instid1(VALU_DEP_1)
	v_add_nc_u32_e32 v5, v4, v5
	v_lshrrev_b32_e32 v5, s6, v5
	s_delay_alu instid0(VALU_DEP_1) | instskip(NEXT) | instid1(VALU_DEP_1)
	v_mul_lo_u32 v5, v5, s4
	v_sub_nc_u32_e32 v4, v4, v5
	s_delay_alu instid0(VALU_DEP_1)
	v_mad_u32 v46, v4, s8, v46
	v_mad_u32 v2, v4, s9, v2
	;; [unrolled: 1-line block ×3, first 2 shown]
	s_and_not1_b32 vcc_lo, exec_lo, s2
	s_cbranch_vccz .LBB50_80
	s_branch .LBB50_83
.LBB50_77:
	s_endpgm
.LBB50_78:
	s_mov_b32 s2, -1
                                        ; implicit-def: $vgpr1
                                        ; implicit-def: $vgpr2
                                        ; implicit-def: $vgpr46
.LBB50_79:
	s_delay_alu instid0(SALU_CYCLE_1)
	s_and_not1_b32 vcc_lo, exec_lo, s2
	s_cbranch_vccnz .LBB50_83
.LBB50_80:
	s_clause 0x1
	s_load_b96 s[0:2], s[34:35], 0x4
	s_load_b96 s[4:6], s[34:35], 0xc4
	s_cmp_lt_u32 s59, 2
	s_wait_kmcnt 0x0
	v_mul_hi_u32 v1, s1, v44
	s_delay_alu instid0(VALU_DEP_1) | instskip(NEXT) | instid1(VALU_DEP_1)
	v_add_nc_u32_e32 v1, v44, v1
	v_lshrrev_b32_e32 v4, s2, v1
	s_delay_alu instid0(VALU_DEP_1) | instskip(NEXT) | instid1(VALU_DEP_1)
	v_mul_lo_u32 v1, v4, s0
	v_sub_nc_u32_e32 v2, v44, v1
	s_delay_alu instid0(VALU_DEP_1)
	v_mul_lo_u32 v46, v2, s4
	v_mul_lo_u32 v1, v2, s6
	;; [unrolled: 1-line block ×3, first 2 shown]
	s_cbranch_scc1 .LBB50_83
; %bb.81:
	s_clause 0x1
	s_load_b96 s[0:2], s[34:35], 0x10
	s_load_b96 s[4:6], s[34:35], 0xd0
	s_wait_kmcnt 0x0
	v_mul_hi_u32 v5, s1, v4
	s_delay_alu instid0(VALU_DEP_1) | instskip(NEXT) | instid1(VALU_DEP_1)
	v_add_nc_u32_e32 v5, v4, v5
	v_lshrrev_b32_e32 v5, s2, v5
	s_delay_alu instid0(VALU_DEP_1) | instskip(NEXT) | instid1(VALU_DEP_1)
	v_mul_lo_u32 v5, v5, s0
	v_sub_nc_u32_e32 v4, v4, v5
	s_delay_alu instid0(VALU_DEP_1)
	v_mad_u32 v46, v4, s4, v46
	v_mad_u32 v2, v4, s5, v2
	;; [unrolled: 1-line block ×3, first 2 shown]
	s_branch .LBB50_83
.LBB50_82:
	v_dual_mov_b32 v1, 0 :: v_dual_mov_b32 v2, 0
	v_mov_b32_e32 v46, 0
	s_and_not1_b32 vcc_lo, exec_lo, s2
	s_cbranch_vccz .LBB50_80
.LBB50_83:
	v_cmp_ne_u32_e32 vcc_lo, 1, v3
	v_add_nc_u32_e32 v4, 0x80, v44
	s_cbranch_vccnz .LBB50_89
; %bb.84:
	s_cmp_lg_u32 s59, 0
	s_mov_b32 s2, 0
	s_cbranch_scc0 .LBB50_93
; %bb.85:
	s_min_u32 s3, s66, 15
	v_dual_mov_b32 v47, 0 :: v_dual_mov_b32 v5, v4
	v_dual_mov_b32 v56, 0 :: v_dual_mov_b32 v45, 0
	s_add_co_i32 s4, s3, 1
	s_mov_b64 s[0:1], 0xffffffffffffffe8
	s_and_b32 s4, s4, 30
	s_add_nc_u64 s[0:1], s[34:35], s[0:1]
.LBB50_86:                              ; =>This Inner Loop Header: Depth=1
	s_clause 0x1
	s_load_b128 s[8:11], s[0:1], 0x1c
	s_load_b64 s[6:7], s[0:1], 0x2c
	s_add_co_i32 s4, s4, -2
	s_delay_alu instid0(SALU_CYCLE_1) | instskip(SKIP_2) | instid1(VALU_DEP_1)
	s_cmp_lg_u32 s4, 0
	s_wait_kmcnt 0x0
	v_mul_hi_u32 v6, s9, v5
	v_add_nc_u32_e32 v6, v5, v6
	s_delay_alu instid0(VALU_DEP_1) | instskip(NEXT) | instid1(VALU_DEP_1)
	v_lshrrev_b32_e32 v6, s10, v6
	v_mul_hi_u32 v7, s6, v6
	v_mul_lo_u32 v8, v6, s8
	s_clause 0x1
	s_load_b128 s[12:15], s[0:1], 0xdc
	s_load_b64 s[8:9], s[0:1], 0xec
	s_wait_xcnt 0x0
	s_add_nc_u64 s[0:1], s[0:1], 24
	s_delay_alu instid0(VALU_DEP_1) | instskip(NEXT) | instid1(VALU_DEP_1)
	v_dual_add_nc_u32 v7, v6, v7 :: v_dual_sub_nc_u32 v8, v5, v8
	v_lshrrev_b32_e32 v5, s7, v7
	s_wait_kmcnt 0x0
	s_delay_alu instid0(VALU_DEP_2) | instskip(NEXT) | instid1(VALU_DEP_2)
	v_mad_u32 v9, v8, s12, v47
	v_mul_lo_u32 v7, v5, s11
	v_mad_u32 v10, v8, s14, v45
	v_mad_u32 v8, v8, s13, v56
	s_delay_alu instid0(VALU_DEP_3) | instskip(NEXT) | instid1(VALU_DEP_1)
	v_sub_nc_u32_e32 v6, v6, v7
	v_mad_u32 v47, v6, s15, v9
	s_delay_alu instid0(VALU_DEP_4) | instskip(NEXT) | instid1(VALU_DEP_4)
	v_mad_u32 v45, v6, s9, v10
	v_mad_u32 v56, v6, s8, v8
	s_cbranch_scc1 .LBB50_86
; %bb.87:
	s_bitcmp1_b32 s3, 0
	s_cselect_b32 s3, -1, 0
	s_delay_alu instid0(SALU_CYCLE_1)
	s_and_b32 vcc_lo, exec_lo, s3
	s_cbranch_vccnz .LBB50_90
; %bb.88:
	s_clause 0x1
	s_load_b96 s[4:6], s[0:1], 0x1c
	s_load_b96 s[8:10], s[0:1], 0xdc
	s_wait_kmcnt 0x0
	v_mul_hi_u32 v6, s5, v5
	s_delay_alu instid0(VALU_DEP_1) | instskip(NEXT) | instid1(VALU_DEP_1)
	v_add_nc_u32_e32 v6, v5, v6
	v_lshrrev_b32_e32 v6, s6, v6
	s_delay_alu instid0(VALU_DEP_1) | instskip(NEXT) | instid1(VALU_DEP_1)
	v_mul_lo_u32 v6, v6, s4
	v_sub_nc_u32_e32 v5, v5, v6
	s_delay_alu instid0(VALU_DEP_1)
	v_mad_u32 v47, v5, s8, v47
	v_mad_u32 v56, v5, s9, v56
	v_mad_u32 v45, v5, s10, v45
	s_and_not1_b32 vcc_lo, exec_lo, s2
	s_cbranch_vccz .LBB50_91
	s_branch .LBB50_94
.LBB50_89:
	s_mov_b32 s2, -1
                                        ; implicit-def: $vgpr45
                                        ; implicit-def: $vgpr56
                                        ; implicit-def: $vgpr47
.LBB50_90:
	s_delay_alu instid0(SALU_CYCLE_1)
	s_and_not1_b32 vcc_lo, exec_lo, s2
	s_cbranch_vccnz .LBB50_94
.LBB50_91:
	s_clause 0x1
	s_load_b96 s[0:2], s[34:35], 0x4
	s_load_b96 s[4:6], s[34:35], 0xc4
	s_cmp_lt_u32 s59, 2
	s_wait_kmcnt 0x0
	v_mul_hi_u32 v5, s1, v4
	s_delay_alu instid0(VALU_DEP_1) | instskip(NEXT) | instid1(VALU_DEP_1)
	v_add_nc_u32_e32 v5, v4, v5
	v_lshrrev_b32_e32 v5, s2, v5
	s_delay_alu instid0(VALU_DEP_1) | instskip(NEXT) | instid1(VALU_DEP_1)
	v_mul_lo_u32 v6, v5, s0
	v_sub_nc_u32_e32 v4, v4, v6
	s_delay_alu instid0(VALU_DEP_1)
	v_mul_lo_u32 v47, v4, s4
	v_mul_lo_u32 v45, v4, s6
	;; [unrolled: 1-line block ×3, first 2 shown]
	s_cbranch_scc1 .LBB50_94
; %bb.92:
	s_clause 0x1
	s_load_b96 s[0:2], s[34:35], 0x10
	s_load_b96 s[4:6], s[34:35], 0xd0
	s_wait_kmcnt 0x0
	v_mul_hi_u32 v4, s1, v5
	s_delay_alu instid0(VALU_DEP_1) | instskip(NEXT) | instid1(VALU_DEP_1)
	v_add_nc_u32_e32 v4, v5, v4
	v_lshrrev_b32_e32 v4, s2, v4
	s_delay_alu instid0(VALU_DEP_1) | instskip(NEXT) | instid1(VALU_DEP_1)
	v_mul_lo_u32 v4, v4, s0
	v_sub_nc_u32_e32 v4, v5, v4
	s_delay_alu instid0(VALU_DEP_1)
	v_mad_u32 v47, v4, s4, v47
	v_mad_u32 v56, v4, s5, v56
	;; [unrolled: 1-line block ×3, first 2 shown]
	s_branch .LBB50_94
.LBB50_93:
	v_dual_mov_b32 v45, 0 :: v_dual_mov_b32 v56, 0
	v_mov_b32_e32 v47, 0
	s_and_not1_b32 vcc_lo, exec_lo, s2
	s_cbranch_vccz .LBB50_91
.LBB50_94:
	v_cmp_ne_u32_e32 vcc_lo, 1, v3
	v_add_nc_u32_e32 v4, 0x100, v44
	s_cbranch_vccnz .LBB50_100
; %bb.95:
	s_cmp_lg_u32 s59, 0
	s_mov_b32 s2, 0
	s_cbranch_scc0 .LBB50_104
; %bb.96:
	s_min_u32 s3, s66, 15
	v_dual_mov_b32 v57, 0 :: v_dual_mov_b32 v5, v4
	v_dual_mov_b32 v59, 0 :: v_dual_mov_b32 v58, 0
	s_add_co_i32 s4, s3, 1
	s_mov_b64 s[0:1], 0xffffffffffffffe8
	s_and_b32 s4, s4, 30
	s_add_nc_u64 s[0:1], s[34:35], s[0:1]
.LBB50_97:                              ; =>This Inner Loop Header: Depth=1
	s_clause 0x1
	s_load_b128 s[8:11], s[0:1], 0x1c
	s_load_b64 s[6:7], s[0:1], 0x2c
	s_add_co_i32 s4, s4, -2
	s_delay_alu instid0(SALU_CYCLE_1) | instskip(SKIP_2) | instid1(VALU_DEP_1)
	s_cmp_lg_u32 s4, 0
	s_wait_kmcnt 0x0
	v_mul_hi_u32 v6, s9, v5
	v_add_nc_u32_e32 v6, v5, v6
	s_delay_alu instid0(VALU_DEP_1) | instskip(NEXT) | instid1(VALU_DEP_1)
	v_lshrrev_b32_e32 v6, s10, v6
	v_mul_hi_u32 v7, s6, v6
	v_mul_lo_u32 v8, v6, s8
	s_clause 0x1
	s_load_b128 s[12:15], s[0:1], 0xdc
	s_load_b64 s[8:9], s[0:1], 0xec
	s_wait_xcnt 0x0
	s_add_nc_u64 s[0:1], s[0:1], 24
	s_delay_alu instid0(VALU_DEP_1) | instskip(NEXT) | instid1(VALU_DEP_1)
	v_dual_add_nc_u32 v7, v6, v7 :: v_dual_sub_nc_u32 v8, v5, v8
	v_lshrrev_b32_e32 v5, s7, v7
	s_wait_kmcnt 0x0
	s_delay_alu instid0(VALU_DEP_2) | instskip(NEXT) | instid1(VALU_DEP_2)
	v_mad_u32 v9, v8, s12, v57
	v_mul_lo_u32 v7, v5, s11
	v_mad_u32 v10, v8, s14, v58
	v_mad_u32 v8, v8, s13, v59
	s_delay_alu instid0(VALU_DEP_3) | instskip(NEXT) | instid1(VALU_DEP_1)
	v_sub_nc_u32_e32 v6, v6, v7
	v_mad_u32 v57, v6, s15, v9
	s_delay_alu instid0(VALU_DEP_4) | instskip(NEXT) | instid1(VALU_DEP_4)
	v_mad_u32 v58, v6, s9, v10
	v_mad_u32 v59, v6, s8, v8
	s_cbranch_scc1 .LBB50_97
; %bb.98:
	s_bitcmp1_b32 s3, 0
	s_cselect_b32 s3, -1, 0
	s_delay_alu instid0(SALU_CYCLE_1)
	s_and_b32 vcc_lo, exec_lo, s3
	s_cbranch_vccnz .LBB50_101
; %bb.99:
	s_clause 0x1
	s_load_b96 s[4:6], s[0:1], 0x1c
	s_load_b96 s[8:10], s[0:1], 0xdc
	s_wait_kmcnt 0x0
	v_mul_hi_u32 v6, s5, v5
	s_delay_alu instid0(VALU_DEP_1) | instskip(NEXT) | instid1(VALU_DEP_1)
	v_add_nc_u32_e32 v6, v5, v6
	v_lshrrev_b32_e32 v6, s6, v6
	s_delay_alu instid0(VALU_DEP_1) | instskip(NEXT) | instid1(VALU_DEP_1)
	v_mul_lo_u32 v6, v6, s4
	v_sub_nc_u32_e32 v5, v5, v6
	s_delay_alu instid0(VALU_DEP_1)
	v_mad_u32 v57, v5, s8, v57
	v_mad_u32 v59, v5, s9, v59
	;; [unrolled: 1-line block ×3, first 2 shown]
	s_and_not1_b32 vcc_lo, exec_lo, s2
	s_cbranch_vccz .LBB50_102
	s_branch .LBB50_105
.LBB50_100:
	s_mov_b32 s2, -1
                                        ; implicit-def: $vgpr58
                                        ; implicit-def: $vgpr59
                                        ; implicit-def: $vgpr57
.LBB50_101:
	s_delay_alu instid0(SALU_CYCLE_1)
	s_and_not1_b32 vcc_lo, exec_lo, s2
	s_cbranch_vccnz .LBB50_105
.LBB50_102:
	s_clause 0x1
	s_load_b96 s[0:2], s[34:35], 0x4
	s_load_b96 s[4:6], s[34:35], 0xc4
	s_cmp_lt_u32 s59, 2
	s_wait_kmcnt 0x0
	v_mul_hi_u32 v5, s1, v4
	s_delay_alu instid0(VALU_DEP_1) | instskip(NEXT) | instid1(VALU_DEP_1)
	v_add_nc_u32_e32 v5, v4, v5
	v_lshrrev_b32_e32 v5, s2, v5
	s_delay_alu instid0(VALU_DEP_1) | instskip(NEXT) | instid1(VALU_DEP_1)
	v_mul_lo_u32 v6, v5, s0
	v_sub_nc_u32_e32 v4, v4, v6
	s_delay_alu instid0(VALU_DEP_1)
	v_mul_lo_u32 v57, v4, s4
	v_mul_lo_u32 v58, v4, s6
	;; [unrolled: 1-line block ×3, first 2 shown]
	s_cbranch_scc1 .LBB50_105
; %bb.103:
	s_clause 0x1
	s_load_b96 s[0:2], s[34:35], 0x10
	s_load_b96 s[4:6], s[34:35], 0xd0
	s_wait_kmcnt 0x0
	v_mul_hi_u32 v4, s1, v5
	s_delay_alu instid0(VALU_DEP_1) | instskip(NEXT) | instid1(VALU_DEP_1)
	v_add_nc_u32_e32 v4, v5, v4
	v_lshrrev_b32_e32 v4, s2, v4
	s_delay_alu instid0(VALU_DEP_1) | instskip(NEXT) | instid1(VALU_DEP_1)
	v_mul_lo_u32 v4, v4, s0
	v_sub_nc_u32_e32 v4, v5, v4
	s_delay_alu instid0(VALU_DEP_1)
	v_mad_u32 v57, v4, s4, v57
	v_mad_u32 v59, v4, s5, v59
	;; [unrolled: 1-line block ×3, first 2 shown]
	s_branch .LBB50_105
.LBB50_104:
	v_dual_mov_b32 v58, 0 :: v_dual_mov_b32 v59, 0
	v_mov_b32_e32 v57, 0
	s_and_not1_b32 vcc_lo, exec_lo, s2
	s_cbranch_vccz .LBB50_102
.LBB50_105:
	v_cmp_ne_u32_e32 vcc_lo, 1, v3
	s_cbranch_vccnz .LBB50_111
; %bb.106:
	s_cmp_lg_u32 s59, 0
	s_mov_b32 s2, 0
	s_cbranch_scc0 .LBB50_115
; %bb.107:
	s_min_u32 s3, s66, 15
	v_dual_mov_b32 v60, 0 :: v_dual_mov_b32 v3, v0
	v_dual_mov_b32 v62, 0 :: v_dual_mov_b32 v61, 0
	s_add_co_i32 s4, s3, 1
	s_mov_b64 s[0:1], 0xffffffffffffffe8
	s_and_b32 s4, s4, 30
	s_add_nc_u64 s[0:1], s[34:35], s[0:1]
.LBB50_108:                             ; =>This Inner Loop Header: Depth=1
	s_clause 0x1
	s_load_b128 s[8:11], s[0:1], 0x1c
	s_load_b64 s[6:7], s[0:1], 0x2c
	s_add_co_i32 s4, s4, -2
	s_delay_alu instid0(SALU_CYCLE_1) | instskip(SKIP_2) | instid1(VALU_DEP_1)
	s_cmp_lg_u32 s4, 0
	s_wait_kmcnt 0x0
	v_mul_hi_u32 v4, s9, v3
	v_add_nc_u32_e32 v4, v3, v4
	s_delay_alu instid0(VALU_DEP_1) | instskip(NEXT) | instid1(VALU_DEP_1)
	v_lshrrev_b32_e32 v4, s10, v4
	v_mul_hi_u32 v5, s6, v4
	v_mul_lo_u32 v6, v4, s8
	s_clause 0x1
	s_load_b128 s[12:15], s[0:1], 0xdc
	s_load_b64 s[8:9], s[0:1], 0xec
	s_wait_xcnt 0x0
	s_add_nc_u64 s[0:1], s[0:1], 24
	s_delay_alu instid0(VALU_DEP_1) | instskip(NEXT) | instid1(VALU_DEP_1)
	v_dual_add_nc_u32 v5, v4, v5 :: v_dual_sub_nc_u32 v6, v3, v6
	v_lshrrev_b32_e32 v3, s7, v5
	s_wait_kmcnt 0x0
	s_delay_alu instid0(VALU_DEP_2) | instskip(NEXT) | instid1(VALU_DEP_2)
	v_mad_u32 v7, v6, s12, v60
	v_mul_lo_u32 v5, v3, s11
	v_mad_u32 v8, v6, s14, v61
	v_mad_u32 v6, v6, s13, v62
	s_delay_alu instid0(VALU_DEP_3) | instskip(NEXT) | instid1(VALU_DEP_1)
	v_sub_nc_u32_e32 v4, v4, v5
	v_mad_u32 v60, v4, s15, v7
	s_delay_alu instid0(VALU_DEP_4) | instskip(NEXT) | instid1(VALU_DEP_4)
	v_mad_u32 v61, v4, s9, v8
	v_mad_u32 v62, v4, s8, v6
	s_cbranch_scc1 .LBB50_108
; %bb.109:
	s_bitcmp1_b32 s3, 0
	s_cselect_b32 s3, -1, 0
	s_delay_alu instid0(SALU_CYCLE_1)
	s_and_b32 vcc_lo, exec_lo, s3
	s_cbranch_vccnz .LBB50_112
; %bb.110:
	s_clause 0x1
	s_load_b96 s[4:6], s[0:1], 0x1c
	s_load_b96 s[8:10], s[0:1], 0xdc
	s_wait_kmcnt 0x0
	v_mul_hi_u32 v4, s5, v3
	s_delay_alu instid0(VALU_DEP_1) | instskip(NEXT) | instid1(VALU_DEP_1)
	v_add_nc_u32_e32 v4, v3, v4
	v_lshrrev_b32_e32 v4, s6, v4
	s_delay_alu instid0(VALU_DEP_1) | instskip(NEXT) | instid1(VALU_DEP_1)
	v_mul_lo_u32 v4, v4, s4
	v_sub_nc_u32_e32 v3, v3, v4
	s_delay_alu instid0(VALU_DEP_1)
	v_mad_u32 v60, v3, s8, v60
	v_mad_u32 v62, v3, s9, v62
	;; [unrolled: 1-line block ×3, first 2 shown]
	s_and_not1_b32 vcc_lo, exec_lo, s2
	s_cbranch_vccz .LBB50_113
	s_branch .LBB50_116
.LBB50_111:
	s_mov_b32 s2, -1
                                        ; implicit-def: $vgpr61
                                        ; implicit-def: $vgpr62
                                        ; implicit-def: $vgpr60
.LBB50_112:
	s_delay_alu instid0(SALU_CYCLE_1)
	s_and_not1_b32 vcc_lo, exec_lo, s2
	s_cbranch_vccnz .LBB50_116
.LBB50_113:
	s_clause 0x1
	s_load_b96 s[0:2], s[34:35], 0x4
	s_load_b96 s[4:6], s[34:35], 0xc4
	s_cmp_lt_u32 s59, 2
	s_wait_kmcnt 0x0
	v_mul_hi_u32 v3, s1, v0
	s_delay_alu instid0(VALU_DEP_1) | instskip(NEXT) | instid1(VALU_DEP_1)
	v_add_nc_u32_e32 v3, v0, v3
	v_lshrrev_b32_e32 v3, s2, v3
	s_delay_alu instid0(VALU_DEP_1) | instskip(NEXT) | instid1(VALU_DEP_1)
	v_mul_lo_u32 v4, v3, s0
	v_sub_nc_u32_e32 v0, v0, v4
	s_delay_alu instid0(VALU_DEP_1)
	v_mul_lo_u32 v60, v0, s4
	v_mul_lo_u32 v61, v0, s6
	;; [unrolled: 1-line block ×3, first 2 shown]
	s_cbranch_scc1 .LBB50_116
; %bb.114:
	s_clause 0x1
	s_load_b96 s[0:2], s[34:35], 0x10
	s_load_b96 s[4:6], s[34:35], 0xd0
	s_wait_kmcnt 0x0
	v_mul_hi_u32 v0, s1, v3
	s_delay_alu instid0(VALU_DEP_1) | instskip(NEXT) | instid1(VALU_DEP_1)
	v_add_nc_u32_e32 v0, v3, v0
	v_lshrrev_b32_e32 v0, s2, v0
	s_delay_alu instid0(VALU_DEP_1) | instskip(NEXT) | instid1(VALU_DEP_1)
	v_mul_lo_u32 v0, v0, s0
	v_sub_nc_u32_e32 v0, v3, v0
	s_delay_alu instid0(VALU_DEP_1)
	v_mad_u32 v60, v0, s4, v60
	v_mad_u32 v62, v0, s5, v62
	;; [unrolled: 1-line block ×3, first 2 shown]
	s_branch .LBB50_116
.LBB50_115:
	v_dual_mov_b32 v61, 0 :: v_dual_mov_b32 v62, 0
	v_mov_b32_e32 v60, 0
	s_and_not1_b32 vcc_lo, exec_lo, s2
	s_cbranch_vccz .LBB50_113
.LBB50_116:
	s_clause 0x1
	s_load_b128 s[36:39], s[34:35], 0x188
	s_load_b96 s[48:50], s[34:35], 0x198
	s_get_pc_i64 s[46:47]
	s_add_nc_u64 s[46:47], s[46:47], _ZN12_GLOBAL__N_111calc_igammaIfEET_S1_S1_@rel64+4
                                        ; implicit-def: $vgpr42
	s_wait_kmcnt 0x0
	global_load_u16 v0, v2, s[38:39]
	s_wait_loadcnt 0x1
	global_load_b32 v40, v1, s[48:49]
	s_bitcmp1_b32 s50, 0
	s_cselect_b32 s0, -1, 0
	s_delay_alu instid0(SALU_CYCLE_1)
	s_xor_b32 s50, s0, -1
	s_mov_b32 s0, -1
	s_and_b32 vcc_lo, exec_lo, s50
	s_wait_loadcnt 0x1
	v_cvt_f32_f16_e32 v43, v0
	s_cbranch_vccz .LBB50_118
; %bb.117:
	s_wait_loadcnt 0x0
	s_delay_alu instid0(VALU_DEP_1) | instskip(SKIP_1) | instid1(VALU_DEP_1)
	v_dual_mov_b32 v0, v43 :: v_dual_mov_b32 v1, v40
	s_swap_pc_i64 s[30:31], s[46:47]
	v_mov_b32_e32 v42, v0
	s_mov_b32 s0, 0
.LBB50_118:
	s_delay_alu instid0(SALU_CYCLE_1)
	s_and_not1_b32 vcc_lo, exec_lo, s0
	s_get_pc_i64 s[34:35]
	s_add_nc_u64 s[34:35], s[34:35], _ZN12_GLOBAL__N_112calc_igammacIfEET_S1_S1_@rel64+4
	s_cbranch_vccnz .LBB50_120
; %bb.119:
	s_wait_loadcnt 0x0
	v_dual_mov_b32 v0, v43 :: v_dual_mov_b32 v1, v40
	s_swap_pc_i64 s[30:31], s[34:35]
	s_delay_alu instid0(VALU_DEP_1)
	v_mov_b32_e32 v42, v0
.LBB50_120:
	global_load_u16 v0, v56, s[38:39]
	s_wait_loadcnt 0x1
	global_load_b32 v40, v45, s[48:49]
	s_and_b32 vcc_lo, exec_lo, s50
	s_wait_loadcnt 0x1
	v_cvt_f32_f16_e32 v44, v0
	s_cbranch_vccz .LBB50_122
; %bb.121:
	s_wait_loadcnt 0x0
	s_wait_xcnt 0x2
	s_delay_alu instid0(VALU_DEP_1) | instskip(SKIP_1) | instid1(VALU_DEP_1)
	v_dual_mov_b32 v0, v44 :: v_dual_mov_b32 v1, v40
	s_swap_pc_i64 s[30:31], s[46:47]
	v_mov_b32_e32 v43, v0
	s_cbranch_execz .LBB50_123
	s_branch .LBB50_124
.LBB50_122:
                                        ; implicit-def: $vgpr43
.LBB50_123:
	s_wait_loadcnt 0x0
	s_wait_xcnt 0x2
	s_delay_alu instid0(VALU_DEP_1) | instskip(SKIP_1) | instid1(VALU_DEP_1)
	v_dual_mov_b32 v0, v44 :: v_dual_mov_b32 v1, v40
	s_swap_pc_i64 s[30:31], s[34:35]
	v_mov_b32_e32 v43, v0
.LBB50_124:
	global_load_u16 v0, v59, s[38:39]
	s_wait_loadcnt 0x1
	global_load_b32 v40, v58, s[48:49]
	s_and_b32 vcc_lo, exec_lo, s50
	s_wait_loadcnt 0x1
	s_wait_xcnt 0x2
	v_cvt_f32_f16_e32 v45, v0
	s_cbranch_vccz .LBB50_126
; %bb.125:
	s_wait_loadcnt 0x0
	s_delay_alu instid0(VALU_DEP_1) | instskip(SKIP_1) | instid1(VALU_DEP_1)
	v_dual_mov_b32 v0, v45 :: v_dual_mov_b32 v1, v40
	s_swap_pc_i64 s[30:31], s[46:47]
	v_mov_b32_e32 v44, v0
	s_cbranch_execz .LBB50_127
	s_branch .LBB50_128
.LBB50_126:
                                        ; implicit-def: $vgpr44
.LBB50_127:
	s_wait_loadcnt 0x0
	s_delay_alu instid0(VALU_DEP_1) | instskip(SKIP_1) | instid1(VALU_DEP_1)
	v_dual_mov_b32 v0, v45 :: v_dual_mov_b32 v1, v40
	s_swap_pc_i64 s[30:31], s[34:35]
	v_mov_b32_e32 v44, v0
.LBB50_128:
	global_load_u16 v0, v62, s[38:39]
	s_wait_loadcnt 0x1
	global_load_b32 v40, v61, s[48:49]
	s_and_b32 vcc_lo, exec_lo, s50
	s_wait_loadcnt 0x1
	v_cvt_f32_f16_e32 v45, v0
	s_cbranch_vccz .LBB50_130
; %bb.129:
	s_wait_loadcnt 0x0
	s_delay_alu instid0(VALU_DEP_1)
	v_dual_mov_b32 v0, v45 :: v_dual_mov_b32 v1, v40
	s_swap_pc_i64 s[30:31], s[46:47]
	s_cbranch_execz .LBB50_131
	s_branch .LBB50_132
.LBB50_130:
                                        ; implicit-def: $vgpr0
.LBB50_131:
	s_wait_loadcnt 0x0
	s_delay_alu instid0(VALU_DEP_1)
	v_dual_mov_b32 v0, v45 :: v_dual_mov_b32 v1, v40
	s_swap_pc_i64 s[30:31], s[34:35]
.LBB50_132:
	v_cvt_f16_f32_e32 v1, v42
	v_cvt_f16_f32_e32 v2, v43
	;; [unrolled: 1-line block ×4, first 2 shown]
	s_clause 0x3
	global_store_b16 v46, v1, s[36:37]
	global_store_b16 v47, v2, s[36:37]
	;; [unrolled: 1-line block ×4, first 2 shown]
	s_endpgm
	.section	.rodata,"a",@progbits
	.p2align	6, 0x0
	.amdhsa_kernel _ZN2at6native32elementwise_kernel_manual_unrollILi128ELi4EZNS0_12_GLOBAL__N_142type_specialized_broadcast_kernel_launcherILi5EE5applyIN12_GLOBAL__N_110CalcIgammaIfEESt5arrayIPcLm3EES9_IN3c1010ScalarTypeELm3EE16OffsetCalculatorILi3EjLb0EEEEvlT_T0_T1_T2_EUlibE_EEviSJ_
		.amdhsa_group_segment_fixed_size 0
		.amdhsa_private_segment_fixed_size 144
		.amdhsa_kernarg_size 432
		.amdhsa_user_sgpr_count 2
		.amdhsa_user_sgpr_dispatch_ptr 0
		.amdhsa_user_sgpr_queue_ptr 0
		.amdhsa_user_sgpr_kernarg_segment_ptr 1
		.amdhsa_user_sgpr_dispatch_id 0
		.amdhsa_user_sgpr_kernarg_preload_length 0
		.amdhsa_user_sgpr_kernarg_preload_offset 0
		.amdhsa_user_sgpr_private_segment_size 0
		.amdhsa_wavefront_size32 1
		.amdhsa_uses_dynamic_stack 0
		.amdhsa_enable_private_segment 1
		.amdhsa_system_sgpr_workgroup_id_x 1
		.amdhsa_system_sgpr_workgroup_id_y 0
		.amdhsa_system_sgpr_workgroup_id_z 0
		.amdhsa_system_sgpr_workgroup_info 0
		.amdhsa_system_vgpr_workitem_id 0
		.amdhsa_next_free_vgpr 84
		.amdhsa_next_free_sgpr 73
		.amdhsa_named_barrier_count 0
		.amdhsa_reserve_vcc 1
		.amdhsa_float_round_mode_32 0
		.amdhsa_float_round_mode_16_64 0
		.amdhsa_float_denorm_mode_32 3
		.amdhsa_float_denorm_mode_16_64 3
		.amdhsa_fp16_overflow 0
		.amdhsa_memory_ordered 1
		.amdhsa_forward_progress 1
		.amdhsa_inst_pref_size 48
		.amdhsa_round_robin_scheduling 0
		.amdhsa_exception_fp_ieee_invalid_op 0
		.amdhsa_exception_fp_denorm_src 0
		.amdhsa_exception_fp_ieee_div_zero 0
		.amdhsa_exception_fp_ieee_overflow 0
		.amdhsa_exception_fp_ieee_underflow 0
		.amdhsa_exception_fp_ieee_inexact 0
		.amdhsa_exception_int_div_zero 0
	.end_amdhsa_kernel
	.section	.text._ZN2at6native32elementwise_kernel_manual_unrollILi128ELi4EZNS0_12_GLOBAL__N_142type_specialized_broadcast_kernel_launcherILi5EE5applyIN12_GLOBAL__N_110CalcIgammaIfEESt5arrayIPcLm3EES9_IN3c1010ScalarTypeELm3EE16OffsetCalculatorILi3EjLb0EEEEvlT_T0_T1_T2_EUlibE_EEviSJ_,"axG",@progbits,_ZN2at6native32elementwise_kernel_manual_unrollILi128ELi4EZNS0_12_GLOBAL__N_142type_specialized_broadcast_kernel_launcherILi5EE5applyIN12_GLOBAL__N_110CalcIgammaIfEESt5arrayIPcLm3EES9_IN3c1010ScalarTypeELm3EE16OffsetCalculatorILi3EjLb0EEEEvlT_T0_T1_T2_EUlibE_EEviSJ_,comdat
.Lfunc_end50:
	.size	_ZN2at6native32elementwise_kernel_manual_unrollILi128ELi4EZNS0_12_GLOBAL__N_142type_specialized_broadcast_kernel_launcherILi5EE5applyIN12_GLOBAL__N_110CalcIgammaIfEESt5arrayIPcLm3EES9_IN3c1010ScalarTypeELm3EE16OffsetCalculatorILi3EjLb0EEEEvlT_T0_T1_T2_EUlibE_EEviSJ_, .Lfunc_end50-_ZN2at6native32elementwise_kernel_manual_unrollILi128ELi4EZNS0_12_GLOBAL__N_142type_specialized_broadcast_kernel_launcherILi5EE5applyIN12_GLOBAL__N_110CalcIgammaIfEESt5arrayIPcLm3EES9_IN3c1010ScalarTypeELm3EE16OffsetCalculatorILi3EjLb0EEEEvlT_T0_T1_T2_EUlibE_EEviSJ_
                                        ; -- End function
	.set _ZN2at6native32elementwise_kernel_manual_unrollILi128ELi4EZNS0_12_GLOBAL__N_142type_specialized_broadcast_kernel_launcherILi5EE5applyIN12_GLOBAL__N_110CalcIgammaIfEESt5arrayIPcLm3EES9_IN3c1010ScalarTypeELm3EE16OffsetCalculatorILi3EjLb0EEEEvlT_T0_T1_T2_EUlibE_EEviSJ_.num_vgpr, max(63, .L_ZN12_GLOBAL__N_111calc_igammaIfEET_S1_S1_.num_vgpr, .L_ZN12_GLOBAL__N_112calc_igammacIfEET_S1_S1_.num_vgpr)
	.set _ZN2at6native32elementwise_kernel_manual_unrollILi128ELi4EZNS0_12_GLOBAL__N_142type_specialized_broadcast_kernel_launcherILi5EE5applyIN12_GLOBAL__N_110CalcIgammaIfEESt5arrayIPcLm3EES9_IN3c1010ScalarTypeELm3EE16OffsetCalculatorILi3EjLb0EEEEvlT_T0_T1_T2_EUlibE_EEviSJ_.num_agpr, max(0, .L_ZN12_GLOBAL__N_111calc_igammaIfEET_S1_S1_.num_agpr, .L_ZN12_GLOBAL__N_112calc_igammacIfEET_S1_S1_.num_agpr)
	.set _ZN2at6native32elementwise_kernel_manual_unrollILi128ELi4EZNS0_12_GLOBAL__N_142type_specialized_broadcast_kernel_launcherILi5EE5applyIN12_GLOBAL__N_110CalcIgammaIfEESt5arrayIPcLm3EES9_IN3c1010ScalarTypeELm3EE16OffsetCalculatorILi3EjLb0EEEEvlT_T0_T1_T2_EUlibE_EEviSJ_.numbered_sgpr, max(73, .L_ZN12_GLOBAL__N_111calc_igammaIfEET_S1_S1_.numbered_sgpr, .L_ZN12_GLOBAL__N_112calc_igammacIfEET_S1_S1_.numbered_sgpr)
	.set _ZN2at6native32elementwise_kernel_manual_unrollILi128ELi4EZNS0_12_GLOBAL__N_142type_specialized_broadcast_kernel_launcherILi5EE5applyIN12_GLOBAL__N_110CalcIgammaIfEESt5arrayIPcLm3EES9_IN3c1010ScalarTypeELm3EE16OffsetCalculatorILi3EjLb0EEEEvlT_T0_T1_T2_EUlibE_EEviSJ_.num_named_barrier, max(0, .L_ZN12_GLOBAL__N_111calc_igammaIfEET_S1_S1_.num_named_barrier, .L_ZN12_GLOBAL__N_112calc_igammacIfEET_S1_S1_.num_named_barrier)
	.set _ZN2at6native32elementwise_kernel_manual_unrollILi128ELi4EZNS0_12_GLOBAL__N_142type_specialized_broadcast_kernel_launcherILi5EE5applyIN12_GLOBAL__N_110CalcIgammaIfEESt5arrayIPcLm3EES9_IN3c1010ScalarTypeELm3EE16OffsetCalculatorILi3EjLb0EEEEvlT_T0_T1_T2_EUlibE_EEviSJ_.private_seg_size, 0+max(.L_ZN12_GLOBAL__N_111calc_igammaIfEET_S1_S1_.private_seg_size, .L_ZN12_GLOBAL__N_112calc_igammacIfEET_S1_S1_.private_seg_size)
	.set _ZN2at6native32elementwise_kernel_manual_unrollILi128ELi4EZNS0_12_GLOBAL__N_142type_specialized_broadcast_kernel_launcherILi5EE5applyIN12_GLOBAL__N_110CalcIgammaIfEESt5arrayIPcLm3EES9_IN3c1010ScalarTypeELm3EE16OffsetCalculatorILi3EjLb0EEEEvlT_T0_T1_T2_EUlibE_EEviSJ_.uses_vcc, or(1, .L_ZN12_GLOBAL__N_111calc_igammaIfEET_S1_S1_.uses_vcc, .L_ZN12_GLOBAL__N_112calc_igammacIfEET_S1_S1_.uses_vcc)
	.set _ZN2at6native32elementwise_kernel_manual_unrollILi128ELi4EZNS0_12_GLOBAL__N_142type_specialized_broadcast_kernel_launcherILi5EE5applyIN12_GLOBAL__N_110CalcIgammaIfEESt5arrayIPcLm3EES9_IN3c1010ScalarTypeELm3EE16OffsetCalculatorILi3EjLb0EEEEvlT_T0_T1_T2_EUlibE_EEviSJ_.uses_flat_scratch, or(0, .L_ZN12_GLOBAL__N_111calc_igammaIfEET_S1_S1_.uses_flat_scratch, .L_ZN12_GLOBAL__N_112calc_igammacIfEET_S1_S1_.uses_flat_scratch)
	.set _ZN2at6native32elementwise_kernel_manual_unrollILi128ELi4EZNS0_12_GLOBAL__N_142type_specialized_broadcast_kernel_launcherILi5EE5applyIN12_GLOBAL__N_110CalcIgammaIfEESt5arrayIPcLm3EES9_IN3c1010ScalarTypeELm3EE16OffsetCalculatorILi3EjLb0EEEEvlT_T0_T1_T2_EUlibE_EEviSJ_.has_dyn_sized_stack, or(0, .L_ZN12_GLOBAL__N_111calc_igammaIfEET_S1_S1_.has_dyn_sized_stack, .L_ZN12_GLOBAL__N_112calc_igammacIfEET_S1_S1_.has_dyn_sized_stack)
	.set _ZN2at6native32elementwise_kernel_manual_unrollILi128ELi4EZNS0_12_GLOBAL__N_142type_specialized_broadcast_kernel_launcherILi5EE5applyIN12_GLOBAL__N_110CalcIgammaIfEESt5arrayIPcLm3EES9_IN3c1010ScalarTypeELm3EE16OffsetCalculatorILi3EjLb0EEEEvlT_T0_T1_T2_EUlibE_EEviSJ_.has_recursion, or(0, .L_ZN12_GLOBAL__N_111calc_igammaIfEET_S1_S1_.has_recursion, .L_ZN12_GLOBAL__N_112calc_igammacIfEET_S1_S1_.has_recursion)
	.set _ZN2at6native32elementwise_kernel_manual_unrollILi128ELi4EZNS0_12_GLOBAL__N_142type_specialized_broadcast_kernel_launcherILi5EE5applyIN12_GLOBAL__N_110CalcIgammaIfEESt5arrayIPcLm3EES9_IN3c1010ScalarTypeELm3EE16OffsetCalculatorILi3EjLb0EEEEvlT_T0_T1_T2_EUlibE_EEviSJ_.has_indirect_call, or(0, .L_ZN12_GLOBAL__N_111calc_igammaIfEET_S1_S1_.has_indirect_call, .L_ZN12_GLOBAL__N_112calc_igammacIfEET_S1_S1_.has_indirect_call)
	.section	.AMDGPU.csdata,"",@progbits
; Kernel info:
; codeLenInByte = 6112
; TotalNumSgprs: 75
; NumVgprs: 84
; ScratchSize: 144
; MemoryBound: 0
; FloatMode: 240
; IeeeMode: 1
; LDSByteSize: 0 bytes/workgroup (compile time only)
; SGPRBlocks: 0
; VGPRBlocks: 5
; NumSGPRsForWavesPerEU: 75
; NumVGPRsForWavesPerEU: 84
; NamedBarCnt: 0
; Occupancy: 10
; WaveLimiterHint : 1
; COMPUTE_PGM_RSRC2:SCRATCH_EN: 1
; COMPUTE_PGM_RSRC2:USER_SGPR: 2
; COMPUTE_PGM_RSRC2:TRAP_HANDLER: 0
; COMPUTE_PGM_RSRC2:TGID_X_EN: 1
; COMPUTE_PGM_RSRC2:TGID_Y_EN: 0
; COMPUTE_PGM_RSRC2:TGID_Z_EN: 0
; COMPUTE_PGM_RSRC2:TIDIG_COMP_CNT: 0
	.section	.text._ZN2at6native32elementwise_kernel_manual_unrollILi128ELi4EZNS0_15gpu_kernel_implIN12_GLOBAL__N_110CalcIgammaIfEEEEvRNS_18TensorIteratorBaseERKT_EUlibE0_EEviT1_,"axG",@progbits,_ZN2at6native32elementwise_kernel_manual_unrollILi128ELi4EZNS0_15gpu_kernel_implIN12_GLOBAL__N_110CalcIgammaIfEEEEvRNS_18TensorIteratorBaseERKT_EUlibE0_EEviT1_,comdat
	.globl	_ZN2at6native32elementwise_kernel_manual_unrollILi128ELi4EZNS0_15gpu_kernel_implIN12_GLOBAL__N_110CalcIgammaIfEEEEvRNS_18TensorIteratorBaseERKT_EUlibE0_EEviT1_ ; -- Begin function _ZN2at6native32elementwise_kernel_manual_unrollILi128ELi4EZNS0_15gpu_kernel_implIN12_GLOBAL__N_110CalcIgammaIfEEEEvRNS_18TensorIteratorBaseERKT_EUlibE0_EEviT1_
	.p2align	8
	.type	_ZN2at6native32elementwise_kernel_manual_unrollILi128ELi4EZNS0_15gpu_kernel_implIN12_GLOBAL__N_110CalcIgammaIfEEEEvRNS_18TensorIteratorBaseERKT_EUlibE0_EEviT1_,@function
_ZN2at6native32elementwise_kernel_manual_unrollILi128ELi4EZNS0_15gpu_kernel_implIN12_GLOBAL__N_110CalcIgammaIfEEEEvRNS_18TensorIteratorBaseERKT_EUlibE0_EEviT1_: ; @_ZN2at6native32elementwise_kernel_manual_unrollILi128ELi4EZNS0_15gpu_kernel_implIN12_GLOBAL__N_110CalcIgammaIfEEEEvRNS_18TensorIteratorBaseERKT_EUlibE0_EEviT1_
; %bb.0:
	s_clause 0x1
	s_load_b32 s64, s[0:1], 0x8
	s_load_b32 s74, s[0:1], 0x0
	s_bfe_u32 s2, ttmp6, 0x4000c
	s_and_b32 s3, ttmp6, 15
	s_add_co_i32 s2, s2, 1
	s_getreg_b32 s4, hwreg(HW_REG_IB_STS2, 6, 4)
	s_mul_i32 s2, ttmp9, s2
	s_mov_b32 s66, 0
	s_add_co_i32 s3, s3, s2
	s_cmp_eq_u32 s4, 0
	s_add_nc_u64 s[34:35], s[0:1], 8
	s_cselect_b32 s2, ttmp9, s3
	s_mov_b32 s48, 0
	v_lshl_or_b32 v44, s2, 9, v0
	s_mov_b32 s2, -1
	s_mov_b32 s32, 0
	s_wait_xcnt 0x0
	s_mov_b32 s0, exec_lo
	v_or_b32_e32 v1, 0x180, v44
	s_wait_kmcnt 0x0
	s_add_co_i32 s65, s64, -1
	s_delay_alu instid0(SALU_CYCLE_1)
	s_cmp_gt_u32 s65, 1
	s_cselect_b32 s67, -1, 0
	v_cmpx_le_i32_e64 s74, v1
	s_xor_b32 s68, exec_lo, s0
	s_cbranch_execz .LBB51_1612
; %bb.1:
	s_clause 0x5
	s_load_b96 s[56:58], s[34:35], 0x198
	s_load_b128 s[48:51], s[34:35], 0x4
	s_load_b64 s[62:63], s[34:35], 0x14
	s_load_b128 s[52:55], s[34:35], 0xc4
	s_load_b64 s[60:61], s[34:35], 0xd4
	s_load_b128 s[36:39], s[34:35], 0x188
	s_cmp_lg_u32 s64, 0
	s_mov_b32 s47, 0
	s_cselect_b32 s75, -1, 0
	s_min_u32 s73, s65, 15
	s_cmp_gt_u32 s64, 1
	s_mov_b32 s59, s47
	s_cselect_b32 s72, -1, 0
	s_mov_b32 s77, s47
	s_mov_b32 s76, s47
	s_mov_b32 s78, exec_lo
	s_wait_kmcnt 0x0
	s_lshr_b32 s71, s58, 16
	s_lshr_b32 s69, s58, 8
	;; [unrolled: 1-line block ×3, first 2 shown]
	s_bitcmp1_b32 s58, 0
	s_mov_b32 s46, s49
	s_cselect_b32 s0, -1, 0
	s_mov_b32 s58, s62
	s_xor_b32 s49, s0, -1
	s_mov_b32 s62, s47
	v_cmpx_gt_i32_e64 s74, v44
	s_cbranch_execz .LBB51_398
; %bb.2:
	s_and_not1_b32 vcc_lo, exec_lo, s67
	s_cbranch_vccnz .LBB51_8
; %bb.3:
	s_and_not1_b32 vcc_lo, exec_lo, s75
	s_cbranch_vccnz .LBB51_9
; %bb.4:
	v_dual_mov_b32 v46, 0 :: v_dual_mov_b32 v1, v44
	v_dual_mov_b32 v2, 0 :: v_dual_mov_b32 v0, 0
	s_add_co_i32 s2, s73, 1
	s_mov_b64 s[0:1], 0xffffffffffffffe8
	s_and_b32 s2, s2, 30
	s_add_nc_u64 s[0:1], s[34:35], s[0:1]
.LBB51_5:                               ; =>This Inner Loop Header: Depth=1
	s_clause 0x1
	s_load_b128 s[4:7], s[0:1], 0x1c
	s_load_b64 s[12:13], s[0:1], 0x2c
	s_add_co_i32 s2, s2, -2
	s_delay_alu instid0(SALU_CYCLE_1) | instskip(SKIP_2) | instid1(VALU_DEP_1)
	s_cmp_lg_u32 s2, 0
	s_wait_kmcnt 0x0
	v_mul_hi_u32 v3, s5, v1
	v_add_nc_u32_e32 v3, v1, v3
	s_delay_alu instid0(VALU_DEP_1) | instskip(NEXT) | instid1(VALU_DEP_1)
	v_lshrrev_b32_e32 v3, s6, v3
	v_mul_hi_u32 v4, s12, v3
	v_mul_lo_u32 v5, v3, s4
	s_clause 0x1
	s_load_b128 s[8:11], s[0:1], 0xdc
	s_load_b64 s[4:5], s[0:1], 0xec
	s_wait_xcnt 0x0
	s_add_nc_u64 s[0:1], s[0:1], 24
	s_delay_alu instid0(VALU_DEP_1) | instskip(NEXT) | instid1(VALU_DEP_1)
	v_dual_add_nc_u32 v4, v3, v4 :: v_dual_sub_nc_u32 v5, v1, v5
	v_lshrrev_b32_e32 v1, s13, v4
	s_wait_kmcnt 0x0
	s_delay_alu instid0(VALU_DEP_2) | instskip(NEXT) | instid1(VALU_DEP_2)
	v_mad_u32 v6, v5, s8, v46
	v_mul_lo_u32 v4, v1, s7
	v_mad_u32 v0, v5, s10, v0
	v_mad_u32 v2, v5, s9, v2
	s_delay_alu instid0(VALU_DEP_3) | instskip(NEXT) | instid1(VALU_DEP_1)
	v_sub_nc_u32_e32 v3, v3, v4
	v_mad_u32 v46, v3, s11, v6
	s_delay_alu instid0(VALU_DEP_4) | instskip(NEXT) | instid1(VALU_DEP_4)
	v_mad_u32 v0, v3, s5, v0
	v_mad_u32 v2, v3, s4, v2
	s_cbranch_scc1 .LBB51_5
; %bb.6:
	s_bitcmp1_b32 s73, 0
	s_cselect_b32 s2, -1, 0
	s_delay_alu instid0(SALU_CYCLE_1)
	s_and_b32 vcc_lo, exec_lo, s2
	s_cbranch_vccnz .LBB51_10
; %bb.7:
	s_clause 0x1
	s_load_b96 s[4:6], s[0:1], 0x1c
	s_load_b96 s[8:10], s[0:1], 0xdc
	s_wait_xcnt 0x0
	s_wait_kmcnt 0x0
	v_mul_hi_u32 v3, s5, v1
	s_delay_alu instid0(VALU_DEP_1) | instskip(NEXT) | instid1(VALU_DEP_1)
	v_add_nc_u32_e32 v3, v1, v3
	v_lshrrev_b32_e32 v3, s6, v3
	s_delay_alu instid0(VALU_DEP_1) | instskip(NEXT) | instid1(VALU_DEP_1)
	v_mul_lo_u32 v3, v3, s4
	v_sub_nc_u32_e32 v1, v1, v3
	s_delay_alu instid0(VALU_DEP_1)
	v_mad_u32 v46, v1, s8, v46
	v_mad_u32 v2, v1, s9, v2
	;; [unrolled: 1-line block ×3, first 2 shown]
	s_cbranch_execz .LBB51_11
	s_branch .LBB51_13
.LBB51_8:
                                        ; implicit-def: $vgpr0
                                        ; implicit-def: $vgpr2
                                        ; implicit-def: $vgpr46
	s_branch .LBB51_11
.LBB51_9:
	v_dual_mov_b32 v0, 0 :: v_dual_mov_b32 v2, 0
	v_mov_b32_e32 v46, 0
.LBB51_10:
	s_cbranch_execnz .LBB51_13
.LBB51_11:
	v_mov_b32_e32 v45, 0
	s_and_not1_b32 vcc_lo, exec_lo, s72
	s_delay_alu instid0(VALU_DEP_1) | instskip(NEXT) | instid1(VALU_DEP_1)
	v_mul_u64_e32 v[0:1], s[46:47], v[44:45]
	v_add_nc_u32_e32 v0, v44, v1
	s_delay_alu instid0(VALU_DEP_1) | instskip(NEXT) | instid1(VALU_DEP_1)
	v_lshrrev_b32_e32 v4, s50, v0
	v_mul_lo_u32 v0, v4, s48
	s_delay_alu instid0(VALU_DEP_1) | instskip(NEXT) | instid1(VALU_DEP_1)
	v_sub_nc_u32_e32 v1, v44, v0
	v_mul_lo_u32 v46, v1, s52
	v_mul_lo_u32 v0, v1, s54
	;; [unrolled: 1-line block ×3, first 2 shown]
	s_cbranch_vccnz .LBB51_13
; %bb.12:
	v_mov_b32_e32 v5, v45
	s_delay_alu instid0(VALU_DEP_1) | instskip(NEXT) | instid1(VALU_DEP_1)
	v_mul_u64_e32 v[6:7], s[58:59], v[4:5]
	v_add_nc_u32_e32 v1, v4, v7
	s_delay_alu instid0(VALU_DEP_1) | instskip(NEXT) | instid1(VALU_DEP_1)
	v_lshrrev_b32_e32 v1, s63, v1
	v_mul_lo_u32 v1, v1, s51
	s_delay_alu instid0(VALU_DEP_1) | instskip(NEXT) | instid1(VALU_DEP_1)
	v_sub_nc_u32_e32 v1, v4, v1
	v_mad_u32 v46, v1, s55, v46
	v_mad_u32 v2, v1, s60, v2
	;; [unrolled: 1-line block ×3, first 2 shown]
.LBB51_13:
	v_mov_b32_e32 v3, 0
	s_and_b32 s0, s71, 0xff
	s_delay_alu instid0(SALU_CYCLE_1) | instskip(NEXT) | instid1(VALU_DEP_1)
	s_cmp_lt_i32 s0, 11
	v_add_nc_u64_e32 v[2:3], s[38:39], v[2:3]
	s_cbranch_scc1 .LBB51_20
; %bb.14:
	s_and_b32 s1, 0xffff, s0
	s_delay_alu instid0(SALU_CYCLE_1)
	s_cmp_gt_i32 s1, 25
	s_cbranch_scc0 .LBB51_29
; %bb.15:
	s_cmp_gt_i32 s1, 28
	s_cbranch_scc0 .LBB51_34
; %bb.16:
	s_cmp_gt_i32 s1, 43
	s_cbranch_scc0 .LBB51_47
; %bb.17:
	s_cmp_gt_i32 s1, 45
	s_cbranch_scc0 .LBB51_50
; %bb.18:
	s_cmp_eq_u32 s1, 46
	s_mov_b32 s3, 0
	s_cbranch_scc0 .LBB51_53
; %bb.19:
	global_load_b32 v1, v[2:3], off
	s_mov_b32 s2, -1
	s_mov_b32 s77, 0
	s_wait_loadcnt 0x0
	v_lshlrev_b32_e32 v40, 16, v1
	s_branch .LBB51_55
.LBB51_20:
	s_mov_b32 s77, 0
	s_mov_b32 s2, 0
                                        ; implicit-def: $vgpr40
	s_cbranch_execnz .LBB51_121
.LBB51_21:
	s_and_not1_b32 vcc_lo, exec_lo, s2
	s_cbranch_vccnz .LBB51_168
.LBB51_22:
	v_mov_b32_e32 v1, 0
	s_and_b32 s0, 0xffff, s70
	s_delay_alu instid0(SALU_CYCLE_1) | instskip(NEXT) | instid1(VALU_DEP_1)
	s_cmp_lt_i32 s0, 11
	v_add_nc_u64_e32 v[0:1], s[56:57], v[0:1]
	s_cbranch_scc1 .LBB51_30
; %bb.23:
	s_cmp_gt_i32 s0, 25
	s_cbranch_scc0 .LBB51_35
; %bb.24:
	s_cmp_gt_i32 s0, 28
	s_cbranch_scc0 .LBB51_48
	;; [unrolled: 3-line block ×4, first 2 shown]
; %bb.27:
	s_cmp_eq_u32 s0, 46
	s_mov_b32 s2, 0
	s_cbranch_scc0 .LBB51_169
; %bb.28:
	global_load_b32 v2, v[0:1], off
	s_mov_b32 s1, -1
	s_mov_b32 s76, 0
	s_wait_loadcnt 0x0
	v_lshlrev_b32_e32 v42, 16, v2
	s_branch .LBB51_171
.LBB51_29:
	s_mov_b32 s77, 0
	s_mov_b32 s2, 0
                                        ; implicit-def: $vgpr40
	s_cbranch_execnz .LBB51_86
	s_branch .LBB51_120
.LBB51_30:
	s_mov_b32 s76, 0
	s_mov_b32 s1, 0
                                        ; implicit-def: $vgpr42
	s_cbranch_execnz .LBB51_347
.LBB51_31:
	s_and_not1_b32 vcc_lo, exec_lo, s1
	s_cbranch_vccnz .LBB51_395
.LBB51_32:
	s_and_b32 vcc_lo, exec_lo, s49
	s_cbranch_vccz .LBB51_36
; %bb.33:
	s_wait_loadcnt 0x0
	s_delay_alu instid0(VALU_DEP_1) | instskip(SKIP_2) | instid1(SALU_CYCLE_1)
	v_dual_mov_b32 v0, v40 :: v_dual_mov_b32 v1, v42
	s_get_pc_i64 s[0:1]
	s_add_nc_u64 s[0:1], s[0:1], _ZN12_GLOBAL__N_111calc_igammaIfEET_S1_S1_@rel64+4
	s_swap_pc_i64 s[30:31], s[0:1]
	s_mov_b32 s0, 0
	s_branch .LBB51_37
.LBB51_34:
	s_mov_b32 s3, -1
	s_mov_b32 s77, 0
	s_mov_b32 s2, 0
                                        ; implicit-def: $vgpr40
	s_branch .LBB51_67
.LBB51_35:
	s_mov_b32 s2, -1
	s_mov_b32 s76, 0
	s_mov_b32 s1, 0
                                        ; implicit-def: $vgpr42
	s_branch .LBB51_311
.LBB51_36:
	s_mov_b32 s0, -1
                                        ; implicit-def: $vgpr0
.LBB51_37:
	s_delay_alu instid0(SALU_CYCLE_1)
	s_and_not1_b32 vcc_lo, exec_lo, s0
	s_cbranch_vccnz .LBB51_39
; %bb.38:
	s_wait_loadcnt 0x0
	s_delay_alu instid0(VALU_DEP_1) | instskip(SKIP_2) | instid1(SALU_CYCLE_1)
	v_dual_mov_b32 v0, v40 :: v_dual_mov_b32 v1, v42
	s_get_pc_i64 s[0:1]
	s_add_nc_u64 s[0:1], s[0:1], _ZN12_GLOBAL__N_112calc_igammacIfEET_S1_S1_@rel64+4
	s_swap_pc_i64 s[30:31], s[0:1]
.LBB51_39:
	v_mov_b32_e32 v47, 0
	s_and_b32 s1, s69, 0xff
	s_delay_alu instid0(SALU_CYCLE_1) | instskip(SKIP_1) | instid1(VALU_DEP_1)
	s_cmp_lt_i32 s1, 11
	s_wait_xcnt 0x0
	v_add_nc_u64_e32 v[2:3], s[36:37], v[46:47]
	s_cbranch_scc1 .LBB51_46
; %bb.40:
	s_and_b32 s2, 0xffff, s1
	s_delay_alu instid0(SALU_CYCLE_1)
	s_cmp_gt_i32 s2, 25
	s_cbranch_scc0 .LBB51_49
; %bb.41:
	s_cmp_gt_i32 s2, 28
	s_cbranch_scc0 .LBB51_52
; %bb.42:
	;; [unrolled: 3-line block ×4, first 2 shown]
	s_mov_b32 s4, 0
	s_mov_b32 s0, -1
	s_cmp_eq_u32 s2, 46
	s_mov_b32 s3, 0
	s_cbranch_scc0 .LBB51_175
; %bb.45:
	v_bfe_u32 v1, v0, 16, 1
	v_cmp_o_f32_e32 vcc_lo, v0, v0
	s_mov_b32 s3, -1
	s_mov_b32 s0, 0
	s_delay_alu instid0(VALU_DEP_2) | instskip(NEXT) | instid1(VALU_DEP_1)
	v_add3_u32 v1, v0, v1, 0x7fff
	v_lshrrev_b32_e32 v1, 16, v1
	s_delay_alu instid0(VALU_DEP_1)
	v_cndmask_b32_e32 v1, 0x7fc0, v1, vcc_lo
	global_store_b32 v[2:3], v1, off
	s_branch .LBB51_175
.LBB51_46:
	s_mov_b32 s2, -1
	s_mov_b32 s0, 0
	s_mov_b32 s3, 0
	s_branch .LBB51_244
.LBB51_47:
	s_mov_b32 s3, -1
	s_mov_b32 s77, 0
	s_mov_b32 s2, 0
                                        ; implicit-def: $vgpr40
	s_branch .LBB51_62
.LBB51_48:
	s_mov_b32 s2, -1
	s_mov_b32 s76, 0
	s_mov_b32 s1, 0
                                        ; implicit-def: $vgpr42
	s_branch .LBB51_292
.LBB51_49:
	s_mov_b32 s4, -1
	s_mov_b32 s0, 0
	s_mov_b32 s3, 0
	s_branch .LBB51_202
.LBB51_50:
	s_mov_b32 s3, -1
	s_mov_b32 s77, 0
	s_branch .LBB51_54
.LBB51_51:
	s_mov_b32 s2, -1
	s_mov_b32 s76, 0
	s_mov_b32 s1, 0
                                        ; implicit-def: $vgpr42
	s_branch .LBB51_287
.LBB51_52:
	s_mov_b32 s4, -1
	s_mov_b32 s0, 0
	s_mov_b32 s3, 0
	s_branch .LBB51_185
.LBB51_53:
	s_mov_b32 s77, -1
.LBB51_54:
	s_mov_b32 s2, 0
                                        ; implicit-def: $vgpr40
.LBB51_55:
	s_and_b32 vcc_lo, exec_lo, s3
	s_cbranch_vccz .LBB51_61
; %bb.56:
	s_cmp_eq_u32 s1, 44
	s_cbranch_scc0 .LBB51_60
; %bb.57:
	global_load_u8 v1, v[2:3], off
	s_mov_b32 s77, 0
	s_mov_b32 s2, -1
	s_wait_loadcnt 0x0
	v_lshlrev_b32_e32 v4, 23, v1
	v_cmp_ne_u32_e32 vcc_lo, 0xff, v1
	s_delay_alu instid0(VALU_DEP_2) | instskip(SKIP_1) | instid1(VALU_DEP_2)
	v_cndmask_b32_e32 v4, 0x7f800001, v4, vcc_lo
	v_cmp_ne_u32_e32 vcc_lo, 0, v1
	v_cndmask_b32_e32 v40, 0x400000, v4, vcc_lo
	s_branch .LBB51_61
.LBB51_58:
	s_mov_b32 s2, -1
	s_mov_b32 s76, 0
	s_branch .LBB51_170
.LBB51_59:
	s_mov_b32 s4, -1
	s_mov_b32 s0, 0
	s_mov_b32 s3, 0
	s_branch .LBB51_181
.LBB51_60:
	s_mov_b32 s77, -1
                                        ; implicit-def: $vgpr40
.LBB51_61:
	s_mov_b32 s3, 0
.LBB51_62:
	s_delay_alu instid0(SALU_CYCLE_1)
	s_and_b32 vcc_lo, exec_lo, s3
	s_cbranch_vccz .LBB51_66
; %bb.63:
	s_cmp_eq_u32 s1, 29
	s_cbranch_scc0 .LBB51_65
; %bb.64:
	global_load_b64 v[4:5], v[2:3], off
	s_mov_b32 s2, -1
	s_mov_b32 s77, 0
	s_mov_b32 s3, 0
	s_wait_loadcnt 0x0
	v_clz_i32_u32_e32 v1, v5
	s_delay_alu instid0(VALU_DEP_1) | instskip(NEXT) | instid1(VALU_DEP_1)
	v_min_u32_e32 v1, 32, v1
	v_lshlrev_b64_e32 v[4:5], v1, v[4:5]
	v_sub_nc_u32_e32 v1, 32, v1
	s_delay_alu instid0(VALU_DEP_2) | instskip(NEXT) | instid1(VALU_DEP_1)
	v_min_u32_e32 v4, 1, v4
	v_or_b32_e32 v4, v5, v4
	s_delay_alu instid0(VALU_DEP_1) | instskip(NEXT) | instid1(VALU_DEP_1)
	v_cvt_f32_u32_e32 v4, v4
	v_ldexp_f32 v40, v4, v1
	s_branch .LBB51_67
.LBB51_65:
	s_mov_b32 s77, -1
                                        ; implicit-def: $vgpr40
.LBB51_66:
	s_mov_b32 s3, 0
.LBB51_67:
	s_delay_alu instid0(SALU_CYCLE_1)
	s_and_b32 vcc_lo, exec_lo, s3
	s_cbranch_vccz .LBB51_85
; %bb.68:
	s_cmp_lt_i32 s1, 27
	s_cbranch_scc1 .LBB51_71
; %bb.69:
	s_cmp_gt_i32 s1, 27
	s_cbranch_scc0 .LBB51_72
; %bb.70:
	global_load_b32 v1, v[2:3], off
	s_mov_b32 s2, 0
	s_wait_loadcnt 0x0
	v_cvt_f32_u32_e32 v40, v1
	s_branch .LBB51_73
.LBB51_71:
	s_mov_b32 s2, -1
                                        ; implicit-def: $vgpr40
	s_branch .LBB51_76
.LBB51_72:
	s_mov_b32 s2, -1
                                        ; implicit-def: $vgpr40
.LBB51_73:
	s_delay_alu instid0(SALU_CYCLE_1)
	s_and_not1_b32 vcc_lo, exec_lo, s2
	s_cbranch_vccnz .LBB51_75
; %bb.74:
	global_load_u16 v1, v[2:3], off
	s_wait_loadcnt 0x0
	v_cvt_f32_u32_e32 v40, v1
.LBB51_75:
	s_mov_b32 s2, 0
.LBB51_76:
	s_delay_alu instid0(SALU_CYCLE_1)
	s_and_not1_b32 vcc_lo, exec_lo, s2
	s_cbranch_vccnz .LBB51_84
; %bb.77:
	global_load_u8 v1, v[2:3], off
	s_mov_b32 s2, 0
	s_mov_b32 s3, exec_lo
	s_wait_loadcnt 0x0
	v_cmpx_lt_i16_e32 0x7f, v1
	s_xor_b32 s3, exec_lo, s3
	s_cbranch_execz .LBB51_97
; %bb.78:
	s_mov_b32 s2, -1
	s_mov_b32 s4, exec_lo
	v_cmpx_eq_u16_e32 0x80, v1
; %bb.79:
	s_xor_b32 s2, exec_lo, -1
; %bb.80:
	s_or_b32 exec_lo, exec_lo, s4
	s_delay_alu instid0(SALU_CYCLE_1)
	s_and_b32 s2, s2, exec_lo
	s_or_saveexec_b32 s3, s3
	v_mov_b32_e32 v40, 0x7f800001
	s_xor_b32 exec_lo, exec_lo, s3
	s_cbranch_execnz .LBB51_98
.LBB51_81:
	s_or_b32 exec_lo, exec_lo, s3
	s_and_saveexec_b32 s3, s2
	s_cbranch_execz .LBB51_83
.LBB51_82:
	v_and_b32_e32 v4, 0xffff, v1
	s_delay_alu instid0(VALU_DEP_1) | instskip(SKIP_1) | instid1(VALU_DEP_2)
	v_and_b32_e32 v5, 7, v4
	v_bfe_u32 v8, v4, 3, 4
	v_clz_i32_u32_e32 v6, v5
	s_delay_alu instid0(VALU_DEP_2) | instskip(NEXT) | instid1(VALU_DEP_2)
	v_cmp_eq_u32_e32 vcc_lo, 0, v8
	v_min_u32_e32 v6, 32, v6
	s_delay_alu instid0(VALU_DEP_1) | instskip(NEXT) | instid1(VALU_DEP_1)
	v_subrev_nc_u32_e32 v7, 28, v6
	v_dual_lshlrev_b32 v4, v7, v4 :: v_dual_sub_nc_u32 v6, 29, v6
	s_delay_alu instid0(VALU_DEP_1) | instskip(NEXT) | instid1(VALU_DEP_1)
	v_dual_lshlrev_b32 v1, 24, v1 :: v_dual_bitop2_b32 v4, 7, v4 bitop3:0x40
	v_dual_cndmask_b32 v6, v8, v6, vcc_lo :: v_dual_cndmask_b32 v4, v5, v4, vcc_lo
	s_delay_alu instid0(VALU_DEP_2) | instskip(NEXT) | instid1(VALU_DEP_2)
	v_and_b32_e32 v1, 0x80000000, v1
	v_lshl_add_u32 v5, v6, 23, 0x3b800000
	s_delay_alu instid0(VALU_DEP_3) | instskip(NEXT) | instid1(VALU_DEP_1)
	v_lshlrev_b32_e32 v4, 20, v4
	v_or3_b32 v40, v1, v5, v4
.LBB51_83:
	s_or_b32 exec_lo, exec_lo, s3
.LBB51_84:
	s_mov_b32 s2, -1
.LBB51_85:
	s_branch .LBB51_120
.LBB51_86:
	s_cmp_gt_i32 s1, 22
	s_cbranch_scc0 .LBB51_96
; %bb.87:
	s_cmp_lt_i32 s1, 24
	s_cbranch_scc1 .LBB51_99
; %bb.88:
	s_cmp_gt_i32 s1, 24
	s_cbranch_scc0 .LBB51_100
; %bb.89:
	global_load_u8 v1, v[2:3], off
	s_mov_b32 s2, 0
	s_mov_b32 s3, exec_lo
	s_wait_loadcnt 0x0
	v_cmpx_lt_i16_e32 0x7f, v1
	s_xor_b32 s3, exec_lo, s3
	s_cbranch_execz .LBB51_112
; %bb.90:
	s_mov_b32 s2, -1
	s_mov_b32 s4, exec_lo
	v_cmpx_eq_u16_e32 0x80, v1
; %bb.91:
	s_xor_b32 s2, exec_lo, -1
; %bb.92:
	s_or_b32 exec_lo, exec_lo, s4
	s_delay_alu instid0(SALU_CYCLE_1)
	s_and_b32 s2, s2, exec_lo
	s_or_saveexec_b32 s3, s3
	v_mov_b32_e32 v40, 0x7f800001
	s_xor_b32 exec_lo, exec_lo, s3
	s_cbranch_execnz .LBB51_113
.LBB51_93:
	s_or_b32 exec_lo, exec_lo, s3
	s_and_saveexec_b32 s3, s2
	s_cbranch_execz .LBB51_95
.LBB51_94:
	v_and_b32_e32 v4, 0xffff, v1
	s_delay_alu instid0(VALU_DEP_1) | instskip(SKIP_1) | instid1(VALU_DEP_2)
	v_and_b32_e32 v5, 3, v4
	v_bfe_u32 v8, v4, 2, 5
	v_clz_i32_u32_e32 v6, v5
	s_delay_alu instid0(VALU_DEP_2) | instskip(NEXT) | instid1(VALU_DEP_2)
	v_cmp_eq_u32_e32 vcc_lo, 0, v8
	v_min_u32_e32 v6, 32, v6
	s_delay_alu instid0(VALU_DEP_1) | instskip(NEXT) | instid1(VALU_DEP_1)
	v_subrev_nc_u32_e32 v7, 29, v6
	v_dual_lshlrev_b32 v4, v7, v4 :: v_dual_sub_nc_u32 v6, 30, v6
	s_delay_alu instid0(VALU_DEP_1) | instskip(NEXT) | instid1(VALU_DEP_1)
	v_dual_lshlrev_b32 v1, 24, v1 :: v_dual_bitop2_b32 v4, 3, v4 bitop3:0x40
	v_dual_cndmask_b32 v6, v8, v6, vcc_lo :: v_dual_cndmask_b32 v4, v5, v4, vcc_lo
	s_delay_alu instid0(VALU_DEP_2) | instskip(NEXT) | instid1(VALU_DEP_2)
	v_and_b32_e32 v1, 0x80000000, v1
	v_lshl_add_u32 v5, v6, 23, 0x37800000
	s_delay_alu instid0(VALU_DEP_3) | instskip(NEXT) | instid1(VALU_DEP_1)
	v_lshlrev_b32_e32 v4, 21, v4
	v_or3_b32 v40, v1, v5, v4
.LBB51_95:
	s_or_b32 exec_lo, exec_lo, s3
	s_mov_b32 s2, 0
	s_branch .LBB51_101
.LBB51_96:
	s_mov_b32 s3, -1
                                        ; implicit-def: $vgpr40
	s_branch .LBB51_107
.LBB51_97:
	s_or_saveexec_b32 s3, s3
	v_mov_b32_e32 v40, 0x7f800001
	s_xor_b32 exec_lo, exec_lo, s3
	s_cbranch_execz .LBB51_81
.LBB51_98:
	v_cmp_ne_u16_e32 vcc_lo, 0, v1
	v_mov_b32_e32 v40, 0
	s_and_not1_b32 s2, s2, exec_lo
	s_and_b32 s4, vcc_lo, exec_lo
	s_delay_alu instid0(SALU_CYCLE_1)
	s_or_b32 s2, s2, s4
	s_or_b32 exec_lo, exec_lo, s3
	s_and_saveexec_b32 s3, s2
	s_cbranch_execnz .LBB51_82
	s_branch .LBB51_83
.LBB51_99:
	s_mov_b32 s2, -1
                                        ; implicit-def: $vgpr40
	s_branch .LBB51_104
.LBB51_100:
	s_mov_b32 s2, -1
                                        ; implicit-def: $vgpr40
.LBB51_101:
	s_delay_alu instid0(SALU_CYCLE_1)
	s_and_b32 vcc_lo, exec_lo, s2
	s_cbranch_vccz .LBB51_103
; %bb.102:
	global_load_u8 v1, v[2:3], off
	s_wait_loadcnt 0x0
	v_lshlrev_b32_e32 v1, 24, v1
	s_delay_alu instid0(VALU_DEP_1) | instskip(NEXT) | instid1(VALU_DEP_1)
	v_and_b32_e32 v4, 0x7f000000, v1
	v_clz_i32_u32_e32 v5, v4
	v_cmp_ne_u32_e32 vcc_lo, 0, v4
	v_add_nc_u32_e32 v7, 0x1000000, v4
	s_delay_alu instid0(VALU_DEP_3) | instskip(NEXT) | instid1(VALU_DEP_1)
	v_min_u32_e32 v5, 32, v5
	v_sub_nc_u32_e64 v5, v5, 4 clamp
	s_delay_alu instid0(VALU_DEP_1) | instskip(NEXT) | instid1(VALU_DEP_1)
	v_dual_lshlrev_b32 v6, v5, v4 :: v_dual_lshlrev_b32 v5, 23, v5
	v_lshrrev_b32_e32 v6, 4, v6
	s_delay_alu instid0(VALU_DEP_1) | instskip(NEXT) | instid1(VALU_DEP_1)
	v_dual_sub_nc_u32 v5, v6, v5 :: v_dual_ashrrev_i32 v6, 8, v7
	v_add_nc_u32_e32 v5, 0x3c000000, v5
	s_delay_alu instid0(VALU_DEP_1) | instskip(NEXT) | instid1(VALU_DEP_1)
	v_and_or_b32 v5, 0x7f800000, v6, v5
	v_cndmask_b32_e32 v4, 0, v5, vcc_lo
	s_delay_alu instid0(VALU_DEP_1)
	v_and_or_b32 v40, 0x80000000, v1, v4
.LBB51_103:
	s_mov_b32 s2, 0
.LBB51_104:
	s_delay_alu instid0(SALU_CYCLE_1)
	s_and_not1_b32 vcc_lo, exec_lo, s2
	s_cbranch_vccnz .LBB51_106
; %bb.105:
	global_load_u8 v1, v[2:3], off
	s_wait_loadcnt 0x0
	v_lshlrev_b32_e32 v4, 25, v1
	v_lshlrev_b16 v1, 8, v1
	s_delay_alu instid0(VALU_DEP_1) | instskip(SKIP_1) | instid1(VALU_DEP_2)
	v_and_or_b32 v6, 0x7f00, v1, 0.5
	v_bfe_i32 v1, v1, 0, 16
	v_dual_add_f32 v6, -0.5, v6 :: v_dual_lshrrev_b32 v5, 4, v4
	v_cmp_gt_u32_e32 vcc_lo, 0x8000000, v4
	s_delay_alu instid0(VALU_DEP_2) | instskip(NEXT) | instid1(VALU_DEP_1)
	v_or_b32_e32 v5, 0x70000000, v5
	v_mul_f32_e32 v5, 0x7800000, v5
	s_delay_alu instid0(VALU_DEP_1) | instskip(NEXT) | instid1(VALU_DEP_1)
	v_cndmask_b32_e32 v4, v5, v6, vcc_lo
	v_and_or_b32 v40, 0x80000000, v1, v4
.LBB51_106:
	s_mov_b32 s3, 0
	s_mov_b32 s2, -1
.LBB51_107:
	s_and_not1_b32 vcc_lo, exec_lo, s3
	s_cbranch_vccnz .LBB51_120
; %bb.108:
	s_cmp_gt_i32 s1, 14
	s_cbranch_scc0 .LBB51_111
; %bb.109:
	s_cmp_eq_u32 s1, 15
	s_cbranch_scc0 .LBB51_114
; %bb.110:
	global_load_u16 v1, v[2:3], off
	s_mov_b32 s2, -1
	s_mov_b32 s77, 0
	s_wait_loadcnt 0x0
	v_lshlrev_b32_e32 v40, 16, v1
	s_branch .LBB51_115
.LBB51_111:
	s_mov_b32 s3, -1
                                        ; implicit-def: $vgpr40
	s_branch .LBB51_116
.LBB51_112:
	s_or_saveexec_b32 s3, s3
	v_mov_b32_e32 v40, 0x7f800001
	s_xor_b32 exec_lo, exec_lo, s3
	s_cbranch_execz .LBB51_93
.LBB51_113:
	v_cmp_ne_u16_e32 vcc_lo, 0, v1
	v_mov_b32_e32 v40, 0
	s_and_not1_b32 s2, s2, exec_lo
	s_and_b32 s4, vcc_lo, exec_lo
	s_delay_alu instid0(SALU_CYCLE_1)
	s_or_b32 s2, s2, s4
	s_or_b32 exec_lo, exec_lo, s3
	s_and_saveexec_b32 s3, s2
	s_cbranch_execnz .LBB51_94
	s_branch .LBB51_95
.LBB51_114:
	s_mov_b32 s77, -1
                                        ; implicit-def: $vgpr40
.LBB51_115:
	s_mov_b32 s3, 0
.LBB51_116:
	s_delay_alu instid0(SALU_CYCLE_1)
	s_and_b32 vcc_lo, exec_lo, s3
	s_cbranch_vccz .LBB51_120
; %bb.117:
	s_cmp_eq_u32 s1, 11
	s_cbranch_scc0 .LBB51_119
; %bb.118:
	global_load_u8 v1, v[2:3], off
	s_mov_b32 s77, 0
	s_mov_b32 s2, -1
	s_wait_loadcnt 0x0
	v_cmp_ne_u16_e32 vcc_lo, 0, v1
	v_cndmask_b32_e64 v40, 0, 1.0, vcc_lo
	s_branch .LBB51_120
.LBB51_119:
	s_mov_b32 s77, -1
                                        ; implicit-def: $vgpr40
.LBB51_120:
	s_branch .LBB51_21
.LBB51_121:
	s_and_b32 s0, 0xffff, s0
	s_delay_alu instid0(SALU_CYCLE_1)
	s_cmp_lt_i32 s0, 5
	s_cbranch_scc1 .LBB51_126
; %bb.122:
	s_cmp_lt_i32 s0, 8
	s_cbranch_scc1 .LBB51_127
; %bb.123:
	;; [unrolled: 3-line block ×3, first 2 shown]
	s_cmp_gt_i32 s0, 9
	s_cbranch_scc0 .LBB51_129
; %bb.125:
	global_load_b64 v[4:5], v[2:3], off
	s_mov_b32 s1, 0
	s_wait_loadcnt 0x0
	v_cvt_f32_f64_e32 v40, v[4:5]
	s_branch .LBB51_130
.LBB51_126:
                                        ; implicit-def: $vgpr40
	s_branch .LBB51_148
.LBB51_127:
	s_mov_b32 s1, -1
                                        ; implicit-def: $vgpr40
	s_branch .LBB51_136
.LBB51_128:
	s_mov_b32 s1, -1
                                        ; implicit-def: $vgpr40
	s_branch .LBB51_133
.LBB51_129:
	s_mov_b32 s1, -1
                                        ; implicit-def: $vgpr40
.LBB51_130:
	s_delay_alu instid0(SALU_CYCLE_1)
	s_and_not1_b32 vcc_lo, exec_lo, s1
	s_cbranch_vccnz .LBB51_132
; %bb.131:
	global_load_b32 v40, v[2:3], off
.LBB51_132:
	s_mov_b32 s1, 0
.LBB51_133:
	s_delay_alu instid0(SALU_CYCLE_1)
	s_and_not1_b32 vcc_lo, exec_lo, s1
	s_cbranch_vccnz .LBB51_135
; %bb.134:
	global_load_b32 v1, v[2:3], off
	s_wait_loadcnt 0x0
	v_cvt_f32_f16_e32 v40, v1
.LBB51_135:
	s_mov_b32 s1, 0
.LBB51_136:
	s_delay_alu instid0(SALU_CYCLE_1)
	s_and_not1_b32 vcc_lo, exec_lo, s1
	s_cbranch_vccnz .LBB51_147
; %bb.137:
	s_cmp_lt_i32 s0, 6
	s_cbranch_scc1 .LBB51_140
; %bb.138:
	s_cmp_gt_i32 s0, 6
	s_cbranch_scc0 .LBB51_141
; %bb.139:
	global_load_b64 v[4:5], v[2:3], off
	s_mov_b32 s1, 0
	s_wait_loadcnt 0x0
	v_cvt_f32_f64_e32 v40, v[4:5]
	s_branch .LBB51_142
.LBB51_140:
	s_mov_b32 s1, -1
                                        ; implicit-def: $vgpr40
	s_branch .LBB51_145
.LBB51_141:
	s_mov_b32 s1, -1
                                        ; implicit-def: $vgpr40
.LBB51_142:
	s_delay_alu instid0(SALU_CYCLE_1)
	s_and_not1_b32 vcc_lo, exec_lo, s1
	s_cbranch_vccnz .LBB51_144
; %bb.143:
	s_wait_loadcnt 0x0
	global_load_b32 v40, v[2:3], off
.LBB51_144:
	s_mov_b32 s1, 0
.LBB51_145:
	s_delay_alu instid0(SALU_CYCLE_1)
	s_and_not1_b32 vcc_lo, exec_lo, s1
	s_cbranch_vccnz .LBB51_147
; %bb.146:
	global_load_u16 v1, v[2:3], off
	s_wait_loadcnt 0x0
	v_cvt_f32_f16_e32 v40, v1
.LBB51_147:
	s_cbranch_execnz .LBB51_167
.LBB51_148:
	s_cmp_lt_i32 s0, 2
	s_cbranch_scc1 .LBB51_152
; %bb.149:
	s_cmp_lt_i32 s0, 3
	s_cbranch_scc1 .LBB51_153
; %bb.150:
	s_cmp_gt_i32 s0, 3
	s_cbranch_scc0 .LBB51_154
; %bb.151:
	global_load_b64 v[4:5], v[2:3], off
	s_mov_b32 s1, 0
	s_wait_loadcnt 0x0
	v_xor_b32_e32 v1, v4, v5
	v_cls_i32_e32 v6, v5
	s_delay_alu instid0(VALU_DEP_2) | instskip(NEXT) | instid1(VALU_DEP_1)
	v_ashrrev_i32_e32 v1, 31, v1
	v_add_nc_u32_e32 v1, 32, v1
	s_delay_alu instid0(VALU_DEP_1) | instskip(NEXT) | instid1(VALU_DEP_1)
	v_add_min_u32_e64 v1, v6, -1, v1
	v_lshlrev_b64_e32 v[4:5], v1, v[4:5]
	v_sub_nc_u32_e32 v1, 32, v1
	s_delay_alu instid0(VALU_DEP_2) | instskip(NEXT) | instid1(VALU_DEP_1)
	v_min_u32_e32 v4, 1, v4
	v_or_b32_e32 v4, v5, v4
	s_delay_alu instid0(VALU_DEP_1) | instskip(NEXT) | instid1(VALU_DEP_1)
	v_cvt_f32_i32_e32 v4, v4
	v_ldexp_f32 v40, v4, v1
	s_branch .LBB51_155
.LBB51_152:
	s_mov_b32 s1, -1
                                        ; implicit-def: $vgpr40
	s_branch .LBB51_161
.LBB51_153:
	s_mov_b32 s1, -1
                                        ; implicit-def: $vgpr40
	s_branch .LBB51_158
.LBB51_154:
	s_mov_b32 s1, -1
                                        ; implicit-def: $vgpr40
.LBB51_155:
	s_delay_alu instid0(SALU_CYCLE_1)
	s_and_not1_b32 vcc_lo, exec_lo, s1
	s_cbranch_vccnz .LBB51_157
; %bb.156:
	global_load_b32 v1, v[2:3], off
	s_wait_loadcnt 0x0
	v_cvt_f32_i32_e32 v40, v1
.LBB51_157:
	s_mov_b32 s1, 0
.LBB51_158:
	s_delay_alu instid0(SALU_CYCLE_1)
	s_and_not1_b32 vcc_lo, exec_lo, s1
	s_cbranch_vccnz .LBB51_160
; %bb.159:
	global_load_i16 v1, v[2:3], off
	s_wait_loadcnt 0x0
	v_cvt_f32_i32_e32 v40, v1
.LBB51_160:
	s_mov_b32 s1, 0
.LBB51_161:
	s_delay_alu instid0(SALU_CYCLE_1)
	s_and_not1_b32 vcc_lo, exec_lo, s1
	s_cbranch_vccnz .LBB51_167
; %bb.162:
	s_cmp_gt_i32 s0, 0
	s_mov_b32 s0, 0
	s_cbranch_scc0 .LBB51_164
; %bb.163:
	global_load_i8 v1, v[2:3], off
	s_wait_loadcnt 0x0
	v_cvt_f32_i32_e32 v40, v1
	s_branch .LBB51_165
.LBB51_164:
	s_mov_b32 s0, -1
                                        ; implicit-def: $vgpr40
.LBB51_165:
	s_delay_alu instid0(SALU_CYCLE_1)
	s_and_not1_b32 vcc_lo, exec_lo, s0
	s_cbranch_vccnz .LBB51_167
; %bb.166:
	global_load_u8 v1, v[2:3], off
	s_wait_loadcnt 0x0
	v_cvt_f32_ubyte0_e32 v40, v1
.LBB51_167:
	s_branch .LBB51_22
.LBB51_168:
	s_mov_b32 s0, 0
	s_mov_b32 s76, 0
	s_branch .LBB51_396
.LBB51_169:
	s_mov_b32 s76, -1
.LBB51_170:
	s_mov_b32 s1, 0
                                        ; implicit-def: $vgpr42
.LBB51_171:
	s_and_b32 vcc_lo, exec_lo, s2
	s_cbranch_vccz .LBB51_286
; %bb.172:
	s_cmp_eq_u32 s0, 44
	s_cbranch_scc0 .LBB51_285
; %bb.173:
	global_load_u8 v2, v[0:1], off
	s_mov_b32 s76, 0
	s_mov_b32 s1, -1
	s_wait_loadcnt 0x0
	v_lshlrev_b32_e32 v3, 23, v2
	v_cmp_ne_u32_e32 vcc_lo, 0xff, v2
	s_delay_alu instid0(VALU_DEP_2) | instskip(SKIP_1) | instid1(VALU_DEP_2)
	v_cndmask_b32_e32 v3, 0x7f800001, v3, vcc_lo
	v_cmp_ne_u32_e32 vcc_lo, 0, v2
	v_cndmask_b32_e32 v42, 0x400000, v3, vcc_lo
	s_branch .LBB51_286
.LBB51_174:
	s_mov_b32 s4, -1
	s_mov_b32 s0, 0
	s_mov_b32 s3, 0
.LBB51_175:
	s_and_b32 vcc_lo, exec_lo, s4
	s_cbranch_vccz .LBB51_180
; %bb.176:
	s_cmp_eq_u32 s2, 44
	s_mov_b32 s0, -1
	s_cbranch_scc0 .LBB51_180
; %bb.177:
	v_bfe_u32 v4, v0, 23, 8
	s_wait_xcnt 0x0
	v_mov_b32_e32 v1, 0xff
	s_mov_b32 s3, exec_lo
	s_delay_alu instid0(VALU_DEP_2)
	v_cmpx_ne_u32_e32 0xff, v4
	s_cbranch_execz .LBB51_179
; %bb.178:
	v_and_b32_e32 v1, 0x400000, v0
	v_and_or_b32 v4, 0x3fffff, v0, v4
	s_delay_alu instid0(VALU_DEP_2) | instskip(NEXT) | instid1(VALU_DEP_2)
	v_cmp_ne_u32_e32 vcc_lo, 0, v1
	v_cmp_ne_u32_e64 s0, 0, v4
	v_lshrrev_b32_e32 v1, 23, v0
	s_and_b32 s0, vcc_lo, s0
	s_delay_alu instid0(SALU_CYCLE_1) | instskip(NEXT) | instid1(VALU_DEP_1)
	v_cndmask_b32_e64 v4, 0, 1, s0
	v_add_nc_u32_e32 v1, v1, v4
.LBB51_179:
	s_or_b32 exec_lo, exec_lo, s3
	s_mov_b32 s3, -1
	s_mov_b32 s0, 0
	global_store_b8 v[2:3], v1, off
.LBB51_180:
	s_mov_b32 s4, 0
.LBB51_181:
	s_delay_alu instid0(SALU_CYCLE_1)
	s_and_b32 vcc_lo, exec_lo, s4
	s_cbranch_vccz .LBB51_184
; %bb.182:
	s_cmp_eq_u32 s2, 29
	s_mov_b32 s0, -1
	s_cbranch_scc0 .LBB51_184
; %bb.183:
	s_wait_xcnt 0x0
	v_trunc_f32_e32 v1, v0
	s_mov_b32 s3, -1
	s_mov_b32 s0, 0
	s_mov_b32 s4, 0
	s_delay_alu instid0(VALU_DEP_1) | instskip(NEXT) | instid1(VALU_DEP_1)
	v_mul_f32_e32 v4, 0x2f800000, v1
	v_floor_f32_e32 v4, v4
	s_delay_alu instid0(VALU_DEP_1) | instskip(SKIP_1) | instid1(VALU_DEP_2)
	v_fmamk_f32 v1, v4, 0xcf800000, v1
	v_cvt_u32_f32_e32 v5, v4
	v_cvt_u32_f32_e32 v4, v1
	global_store_b64 v[2:3], v[4:5], off
	s_branch .LBB51_185
.LBB51_184:
	s_mov_b32 s4, 0
.LBB51_185:
	s_delay_alu instid0(SALU_CYCLE_1)
	s_and_b32 vcc_lo, exec_lo, s4
	s_cbranch_vccz .LBB51_201
; %bb.186:
	s_cmp_lt_i32 s2, 27
	s_mov_b32 s3, -1
	s_cbranch_scc1 .LBB51_192
; %bb.187:
	s_wait_xcnt 0x0
	v_cvt_u32_f32_e32 v1, v0
	s_cmp_gt_i32 s2, 27
	s_cbranch_scc0 .LBB51_189
; %bb.188:
	s_mov_b32 s3, 0
	global_store_b32 v[2:3], v1, off
.LBB51_189:
	s_and_not1_b32 vcc_lo, exec_lo, s3
	s_cbranch_vccnz .LBB51_191
; %bb.190:
	global_store_b16 v[2:3], v1, off
.LBB51_191:
	s_mov_b32 s3, 0
.LBB51_192:
	s_delay_alu instid0(SALU_CYCLE_1)
	s_and_not1_b32 vcc_lo, exec_lo, s3
	s_cbranch_vccnz .LBB51_200
; %bb.193:
	s_wait_xcnt 0x0
	v_and_b32_e32 v1, 0x7fffffff, v0
	v_mov_b32_e32 v4, 0x80
	s_mov_b32 s3, exec_lo
	s_delay_alu instid0(VALU_DEP_2)
	v_cmpx_gt_u32_e32 0x43800000, v1
	s_cbranch_execz .LBB51_199
; %bb.194:
	v_cmp_lt_u32_e32 vcc_lo, 0x3bffffff, v1
	s_mov_b32 s4, 0
                                        ; implicit-def: $vgpr1
	s_and_saveexec_b32 s5, vcc_lo
	s_delay_alu instid0(SALU_CYCLE_1)
	s_xor_b32 s5, exec_lo, s5
	s_cbranch_execz .LBB51_438
; %bb.195:
	v_bfe_u32 v1, v0, 20, 1
	s_mov_b32 s4, exec_lo
	s_delay_alu instid0(VALU_DEP_1) | instskip(NEXT) | instid1(VALU_DEP_1)
	v_add3_u32 v1, v0, v1, 0x487ffff
	v_lshrrev_b32_e32 v1, 20, v1
	s_and_not1_saveexec_b32 s5, s5
	s_cbranch_execnz .LBB51_439
.LBB51_196:
	s_or_b32 exec_lo, exec_lo, s5
	v_mov_b32_e32 v4, 0
	s_and_saveexec_b32 s5, s4
.LBB51_197:
	v_lshrrev_b32_e32 v4, 24, v0
	s_delay_alu instid0(VALU_DEP_1)
	v_and_or_b32 v4, 0x80, v4, v1
.LBB51_198:
	s_or_b32 exec_lo, exec_lo, s5
.LBB51_199:
	s_delay_alu instid0(SALU_CYCLE_1)
	s_or_b32 exec_lo, exec_lo, s3
	global_store_b8 v[2:3], v4, off
.LBB51_200:
	s_mov_b32 s3, -1
.LBB51_201:
	s_mov_b32 s4, 0
.LBB51_202:
	s_delay_alu instid0(SALU_CYCLE_1)
	s_and_b32 vcc_lo, exec_lo, s4
	s_cbranch_vccz .LBB51_243
; %bb.203:
	s_cmp_gt_i32 s2, 22
	s_mov_b32 s4, -1
	s_cbranch_scc0 .LBB51_235
; %bb.204:
	s_cmp_lt_i32 s2, 24
	s_mov_b32 s3, -1
	s_cbranch_scc1 .LBB51_224
; %bb.205:
	s_cmp_gt_i32 s2, 24
	s_cbranch_scc0 .LBB51_213
; %bb.206:
	s_wait_xcnt 0x0
	v_and_b32_e32 v1, 0x7fffffff, v0
	v_mov_b32_e32 v4, 0x80
	s_mov_b32 s3, exec_lo
	s_delay_alu instid0(VALU_DEP_2)
	v_cmpx_gt_u32_e32 0x47800000, v1
	s_cbranch_execz .LBB51_212
; %bb.207:
	v_cmp_lt_u32_e32 vcc_lo, 0x37ffffff, v1
	s_mov_b32 s4, 0
                                        ; implicit-def: $vgpr1
	s_and_saveexec_b32 s5, vcc_lo
	s_delay_alu instid0(SALU_CYCLE_1)
	s_xor_b32 s5, exec_lo, s5
	s_cbranch_execz .LBB51_557
; %bb.208:
	v_bfe_u32 v1, v0, 21, 1
	s_mov_b32 s4, exec_lo
	s_delay_alu instid0(VALU_DEP_1) | instskip(NEXT) | instid1(VALU_DEP_1)
	v_add3_u32 v1, v0, v1, 0x88fffff
	v_lshrrev_b32_e32 v1, 21, v1
	s_and_not1_saveexec_b32 s5, s5
	s_cbranch_execnz .LBB51_558
.LBB51_209:
	s_or_b32 exec_lo, exec_lo, s5
	v_mov_b32_e32 v4, 0
	s_and_saveexec_b32 s5, s4
.LBB51_210:
	v_lshrrev_b32_e32 v4, 24, v0
	s_delay_alu instid0(VALU_DEP_1)
	v_and_or_b32 v4, 0x80, v4, v1
.LBB51_211:
	s_or_b32 exec_lo, exec_lo, s5
.LBB51_212:
	s_delay_alu instid0(SALU_CYCLE_1)
	s_or_b32 exec_lo, exec_lo, s3
	s_mov_b32 s3, 0
	global_store_b8 v[2:3], v4, off
.LBB51_213:
	s_and_b32 vcc_lo, exec_lo, s3
	s_cbranch_vccz .LBB51_223
; %bb.214:
	s_wait_xcnt 0x0
	v_and_b32_e32 v4, 0x7fffffff, v0
	s_mov_b32 s3, exec_lo
                                        ; implicit-def: $vgpr1
	s_delay_alu instid0(VALU_DEP_1)
	v_cmpx_gt_u32_e32 0x43f00000, v4
	s_xor_b32 s3, exec_lo, s3
	s_cbranch_execz .LBB51_220
; %bb.215:
	s_mov_b32 s4, exec_lo
                                        ; implicit-def: $vgpr1
	v_cmpx_lt_u32_e32 0x3c7fffff, v4
	s_xor_b32 s4, exec_lo, s4
; %bb.216:
	v_bfe_u32 v1, v0, 20, 1
	s_delay_alu instid0(VALU_DEP_1) | instskip(NEXT) | instid1(VALU_DEP_1)
	v_add3_u32 v1, v0, v1, 0x407ffff
	v_and_b32_e32 v4, 0xff00000, v1
	v_lshrrev_b32_e32 v1, 20, v1
	s_delay_alu instid0(VALU_DEP_2) | instskip(NEXT) | instid1(VALU_DEP_2)
	v_cmp_ne_u32_e32 vcc_lo, 0x7f00000, v4
	v_cndmask_b32_e32 v1, 0x7e, v1, vcc_lo
; %bb.217:
	s_and_not1_saveexec_b32 s4, s4
; %bb.218:
	v_add_f32_e64 v1, 0x46800000, |v0|
; %bb.219:
	s_or_b32 exec_lo, exec_lo, s4
                                        ; implicit-def: $vgpr4
.LBB51_220:
	s_and_not1_saveexec_b32 s3, s3
; %bb.221:
	v_mov_b32_e32 v1, 0x7f
	v_cmp_lt_u32_e32 vcc_lo, 0x7f800000, v4
	s_delay_alu instid0(VALU_DEP_2)
	v_cndmask_b32_e32 v1, 0x7e, v1, vcc_lo
; %bb.222:
	s_or_b32 exec_lo, exec_lo, s3
	v_lshrrev_b32_e32 v4, 24, v0
	s_delay_alu instid0(VALU_DEP_1)
	v_and_or_b32 v1, 0x80, v4, v1
	global_store_b8 v[2:3], v1, off
.LBB51_223:
	s_mov_b32 s3, 0
.LBB51_224:
	s_delay_alu instid0(SALU_CYCLE_1)
	s_and_not1_b32 vcc_lo, exec_lo, s3
	s_cbranch_vccnz .LBB51_234
; %bb.225:
	s_wait_xcnt 0x0
	v_and_b32_e32 v4, 0x7fffffff, v0
	s_mov_b32 s3, exec_lo
                                        ; implicit-def: $vgpr1
	s_delay_alu instid0(VALU_DEP_1)
	v_cmpx_gt_u32_e32 0x47800000, v4
	s_xor_b32 s3, exec_lo, s3
	s_cbranch_execz .LBB51_231
; %bb.226:
	s_mov_b32 s4, exec_lo
                                        ; implicit-def: $vgpr1
	v_cmpx_lt_u32_e32 0x387fffff, v4
	s_xor_b32 s4, exec_lo, s4
; %bb.227:
	v_bfe_u32 v1, v0, 21, 1
	s_delay_alu instid0(VALU_DEP_1) | instskip(NEXT) | instid1(VALU_DEP_1)
	v_add3_u32 v1, v0, v1, 0x80fffff
	v_lshrrev_b32_e32 v1, 21, v1
; %bb.228:
	s_and_not1_saveexec_b32 s4, s4
; %bb.229:
	v_add_f32_e64 v1, 0x43000000, |v0|
; %bb.230:
	s_or_b32 exec_lo, exec_lo, s4
                                        ; implicit-def: $vgpr4
.LBB51_231:
	s_and_not1_saveexec_b32 s3, s3
; %bb.232:
	v_mov_b32_e32 v1, 0x7f
	v_cmp_lt_u32_e32 vcc_lo, 0x7f800000, v4
	s_delay_alu instid0(VALU_DEP_2)
	v_cndmask_b32_e32 v1, 0x7c, v1, vcc_lo
; %bb.233:
	s_or_b32 exec_lo, exec_lo, s3
	v_lshrrev_b32_e32 v4, 24, v0
	s_delay_alu instid0(VALU_DEP_1)
	v_and_or_b32 v1, 0x80, v4, v1
	global_store_b8 v[2:3], v1, off
.LBB51_234:
	s_mov_b32 s4, 0
	s_mov_b32 s3, -1
.LBB51_235:
	s_and_not1_b32 vcc_lo, exec_lo, s4
	s_cbranch_vccnz .LBB51_243
; %bb.236:
	s_cmp_gt_i32 s2, 14
	s_mov_b32 s4, -1
	s_cbranch_scc0 .LBB51_240
; %bb.237:
	s_cmp_eq_u32 s2, 15
	s_mov_b32 s0, -1
	s_cbranch_scc0 .LBB51_239
; %bb.238:
	s_wait_xcnt 0x0
	v_bfe_u32 v1, v0, 16, 1
	v_cmp_o_f32_e32 vcc_lo, v0, v0
	s_mov_b32 s3, -1
	s_mov_b32 s0, 0
	s_delay_alu instid0(VALU_DEP_2) | instskip(NEXT) | instid1(VALU_DEP_1)
	v_add3_u32 v1, v0, v1, 0x7fff
	v_lshrrev_b32_e32 v1, 16, v1
	s_delay_alu instid0(VALU_DEP_1)
	v_cndmask_b32_e32 v1, 0x7fc0, v1, vcc_lo
	global_store_b16 v[2:3], v1, off
.LBB51_239:
	s_mov_b32 s4, 0
.LBB51_240:
	s_delay_alu instid0(SALU_CYCLE_1)
	s_and_b32 vcc_lo, exec_lo, s4
	s_cbranch_vccz .LBB51_243
; %bb.241:
	s_cmp_eq_u32 s2, 11
	s_mov_b32 s0, -1
	s_cbranch_scc0 .LBB51_243
; %bb.242:
	v_cmp_neq_f32_e32 vcc_lo, 0, v0
	s_mov_b32 s0, 0
	s_mov_b32 s3, -1
	s_wait_xcnt 0x0
	v_cndmask_b32_e64 v1, 0, 1, vcc_lo
	global_store_b8 v[2:3], v1, off
.LBB51_243:
	s_mov_b32 s2, 0
.LBB51_244:
	s_delay_alu instid0(SALU_CYCLE_1)
	s_and_b32 vcc_lo, exec_lo, s2
	s_cbranch_vccz .LBB51_283
; %bb.245:
	s_and_b32 s1, 0xffff, s1
	s_mov_b32 s2, -1
	s_cmp_lt_i32 s1, 5
	s_cbranch_scc1 .LBB51_266
; %bb.246:
	s_cmp_lt_i32 s1, 8
	s_cbranch_scc1 .LBB51_256
; %bb.247:
	;; [unrolled: 3-line block ×3, first 2 shown]
	s_cmp_gt_i32 s1, 9
	s_cbranch_scc0 .LBB51_250
; %bb.249:
	s_wait_xcnt 0x0
	v_cvt_f64_f32_e32 v[4:5], v0
	v_mov_b32_e32 v6, 0
	s_mov_b32 s2, 0
	s_delay_alu instid0(VALU_DEP_1)
	v_mov_b32_e32 v7, v6
	global_store_b128 v[2:3], v[4:7], off
.LBB51_250:
	s_and_not1_b32 vcc_lo, exec_lo, s2
	s_cbranch_vccnz .LBB51_252
; %bb.251:
	s_wait_xcnt 0x0
	v_mov_b32_e32 v1, 0
	global_store_b64 v[2:3], v[0:1], off
.LBB51_252:
	s_mov_b32 s2, 0
.LBB51_253:
	s_delay_alu instid0(SALU_CYCLE_1)
	s_and_not1_b32 vcc_lo, exec_lo, s2
	s_cbranch_vccnz .LBB51_255
; %bb.254:
	s_wait_xcnt 0x0
	v_cvt_f16_f32_e32 v1, v0
	s_delay_alu instid0(VALU_DEP_1)
	v_and_b32_e32 v1, 0xffff, v1
	global_store_b32 v[2:3], v1, off
.LBB51_255:
	s_mov_b32 s2, 0
.LBB51_256:
	s_delay_alu instid0(SALU_CYCLE_1)
	s_and_not1_b32 vcc_lo, exec_lo, s2
	s_cbranch_vccnz .LBB51_265
; %bb.257:
	s_cmp_lt_i32 s1, 6
	s_mov_b32 s2, -1
	s_cbranch_scc1 .LBB51_263
; %bb.258:
	s_cmp_gt_i32 s1, 6
	s_cbranch_scc0 .LBB51_260
; %bb.259:
	s_wait_xcnt 0x0
	v_cvt_f64_f32_e32 v[4:5], v0
	s_mov_b32 s2, 0
	global_store_b64 v[2:3], v[4:5], off
.LBB51_260:
	s_and_not1_b32 vcc_lo, exec_lo, s2
	s_cbranch_vccnz .LBB51_262
; %bb.261:
	global_store_b32 v[2:3], v0, off
.LBB51_262:
	s_mov_b32 s2, 0
.LBB51_263:
	s_delay_alu instid0(SALU_CYCLE_1)
	s_and_not1_b32 vcc_lo, exec_lo, s2
	s_cbranch_vccnz .LBB51_265
; %bb.264:
	s_wait_xcnt 0x0
	v_cvt_f16_f32_e32 v1, v0
	global_store_b16 v[2:3], v1, off
.LBB51_265:
	s_mov_b32 s2, 0
.LBB51_266:
	s_delay_alu instid0(SALU_CYCLE_1)
	s_and_not1_b32 vcc_lo, exec_lo, s2
	s_cbranch_vccnz .LBB51_282
; %bb.267:
	s_cmp_lt_i32 s1, 2
	s_mov_b32 s2, -1
	s_cbranch_scc1 .LBB51_277
; %bb.268:
	s_cmp_lt_i32 s1, 3
	s_cbranch_scc1 .LBB51_274
; %bb.269:
	s_cmp_gt_i32 s1, 3
	s_cbranch_scc0 .LBB51_271
; %bb.270:
	s_wait_xcnt 0x0
	v_trunc_f32_e32 v1, v0
	s_mov_b32 s2, 0
	s_delay_alu instid0(VALU_DEP_1) | instskip(NEXT) | instid1(VALU_DEP_1)
	v_mul_f32_e64 v4, 0x2f800000, |v1|
	v_floor_f32_e32 v5, v4
	v_ashrrev_i32_e32 v4, 31, v1
	s_delay_alu instid0(VALU_DEP_2) | instskip(SKIP_1) | instid1(VALU_DEP_3)
	v_fma_f32 v6, 0xcf800000, v5, |v1|
	v_cvt_u32_f32_e32 v1, v5
	v_mov_b32_e32 v5, v4
	s_delay_alu instid0(VALU_DEP_3) | instskip(NEXT) | instid1(VALU_DEP_3)
	v_cvt_u32_f32_e32 v6, v6
	v_xor_b32_e32 v7, v1, v4
	s_delay_alu instid0(VALU_DEP_2) | instskip(NEXT) | instid1(VALU_DEP_1)
	v_xor_b32_e32 v6, v6, v4
	v_sub_nc_u64_e32 v[4:5], v[6:7], v[4:5]
	global_store_b64 v[2:3], v[4:5], off
.LBB51_271:
	s_and_not1_b32 vcc_lo, exec_lo, s2
	s_cbranch_vccnz .LBB51_273
; %bb.272:
	s_wait_xcnt 0x0
	v_cvt_i32_f32_e32 v1, v0
	global_store_b32 v[2:3], v1, off
.LBB51_273:
	s_mov_b32 s2, 0
.LBB51_274:
	s_delay_alu instid0(SALU_CYCLE_1)
	s_and_not1_b32 vcc_lo, exec_lo, s2
	s_cbranch_vccnz .LBB51_276
; %bb.275:
	s_wait_xcnt 0x0
	v_cvt_i32_f32_e32 v1, v0
	global_store_b16 v[2:3], v1, off
.LBB51_276:
	s_mov_b32 s2, 0
.LBB51_277:
	s_delay_alu instid0(SALU_CYCLE_1)
	s_and_not1_b32 vcc_lo, exec_lo, s2
	s_cbranch_vccnz .LBB51_282
; %bb.278:
	s_cmp_gt_i32 s1, 0
	s_mov_b32 s1, -1
	s_cbranch_scc0 .LBB51_280
; %bb.279:
	s_wait_xcnt 0x0
	v_cvt_i32_f32_e32 v1, v0
	s_mov_b32 s1, 0
	global_store_b8 v[2:3], v1, off
.LBB51_280:
	s_and_not1_b32 vcc_lo, exec_lo, s1
	s_cbranch_vccnz .LBB51_282
; %bb.281:
	s_wait_xcnt 0x0
	v_trunc_f32_e32 v0, v0
	s_delay_alu instid0(VALU_DEP_1) | instskip(NEXT) | instid1(VALU_DEP_1)
	v_mul_f32_e64 v1, 0x2f800000, |v0|
	v_floor_f32_e32 v1, v1
	s_delay_alu instid0(VALU_DEP_1) | instskip(SKIP_1) | instid1(VALU_DEP_2)
	v_fma_f32 v1, 0xcf800000, v1, |v0|
	v_ashrrev_i32_e32 v0, 31, v0
	v_cvt_u32_f32_e32 v1, v1
	s_delay_alu instid0(VALU_DEP_1) | instskip(NEXT) | instid1(VALU_DEP_1)
	v_xor_b32_e32 v1, v1, v0
	v_sub_nc_u32_e32 v0, v1, v0
	global_store_b8 v[2:3], v0, off
.LBB51_282:
	s_mov_b32 s3, -1
.LBB51_283:
	s_delay_alu instid0(SALU_CYCLE_1)
	s_and_not1_b32 vcc_lo, exec_lo, s3
	s_cbranch_vccnz .LBB51_396
; %bb.284:
	v_add_nc_u32_e32 v44, 0x80, v44
	s_mov_b32 s1, -1
	s_branch .LBB51_397
.LBB51_285:
	s_mov_b32 s76, -1
                                        ; implicit-def: $vgpr42
.LBB51_286:
	s_mov_b32 s2, 0
.LBB51_287:
	s_delay_alu instid0(SALU_CYCLE_1)
	s_and_b32 vcc_lo, exec_lo, s2
	s_cbranch_vccz .LBB51_291
; %bb.288:
	s_cmp_eq_u32 s0, 29
	s_cbranch_scc0 .LBB51_290
; %bb.289:
	global_load_b64 v[2:3], v[0:1], off
	s_mov_b32 s1, -1
	s_mov_b32 s76, 0
	s_mov_b32 s2, 0
	s_wait_loadcnt 0x0
	v_clz_i32_u32_e32 v4, v3
	s_delay_alu instid0(VALU_DEP_1) | instskip(NEXT) | instid1(VALU_DEP_1)
	v_min_u32_e32 v4, 32, v4
	v_lshlrev_b64_e32 v[2:3], v4, v[2:3]
	s_delay_alu instid0(VALU_DEP_1) | instskip(NEXT) | instid1(VALU_DEP_1)
	v_min_u32_e32 v2, 1, v2
	v_dual_sub_nc_u32 v3, 32, v4 :: v_dual_bitop2_b32 v2, v3, v2 bitop3:0x54
	s_delay_alu instid0(VALU_DEP_1) | instskip(NEXT) | instid1(VALU_DEP_1)
	v_cvt_f32_u32_e32 v2, v2
	v_ldexp_f32 v42, v2, v3
	s_branch .LBB51_292
.LBB51_290:
	s_mov_b32 s76, -1
                                        ; implicit-def: $vgpr42
.LBB51_291:
	s_mov_b32 s2, 0
.LBB51_292:
	s_delay_alu instid0(SALU_CYCLE_1)
	s_and_b32 vcc_lo, exec_lo, s2
	s_cbranch_vccz .LBB51_310
; %bb.293:
	s_cmp_lt_i32 s0, 27
	s_cbranch_scc1 .LBB51_296
; %bb.294:
	s_cmp_gt_i32 s0, 27
	s_cbranch_scc0 .LBB51_297
; %bb.295:
	global_load_b32 v2, v[0:1], off
	s_mov_b32 s1, 0
	s_wait_loadcnt 0x0
	v_cvt_f32_u32_e32 v42, v2
	s_branch .LBB51_298
.LBB51_296:
	s_mov_b32 s1, -1
                                        ; implicit-def: $vgpr42
	s_branch .LBB51_301
.LBB51_297:
	s_mov_b32 s1, -1
                                        ; implicit-def: $vgpr42
.LBB51_298:
	s_delay_alu instid0(SALU_CYCLE_1)
	s_and_not1_b32 vcc_lo, exec_lo, s1
	s_cbranch_vccnz .LBB51_300
; %bb.299:
	global_load_u16 v2, v[0:1], off
	s_wait_loadcnt 0x0
	v_cvt_f32_u32_e32 v42, v2
.LBB51_300:
	s_mov_b32 s1, 0
.LBB51_301:
	s_delay_alu instid0(SALU_CYCLE_1)
	s_and_not1_b32 vcc_lo, exec_lo, s1
	s_cbranch_vccnz .LBB51_309
; %bb.302:
	global_load_u8 v2, v[0:1], off
	s_mov_b32 s1, 0
	s_mov_b32 s2, exec_lo
	s_wait_loadcnt 0x0
	v_cmpx_lt_i16_e32 0x7f, v2
	s_xor_b32 s2, exec_lo, s2
	s_cbranch_execz .LBB51_323
; %bb.303:
	s_mov_b32 s1, -1
	s_mov_b32 s3, exec_lo
	v_cmpx_eq_u16_e32 0x80, v2
; %bb.304:
	s_xor_b32 s1, exec_lo, -1
; %bb.305:
	s_or_b32 exec_lo, exec_lo, s3
	s_delay_alu instid0(SALU_CYCLE_1)
	s_and_b32 s1, s1, exec_lo
	s_or_saveexec_b32 s2, s2
	v_mov_b32_e32 v42, 0x7f800001
	s_xor_b32 exec_lo, exec_lo, s2
	s_cbranch_execnz .LBB51_324
.LBB51_306:
	s_or_b32 exec_lo, exec_lo, s2
	s_and_saveexec_b32 s2, s1
	s_cbranch_execz .LBB51_308
.LBB51_307:
	v_and_b32_e32 v3, 0xffff, v2
	s_delay_alu instid0(VALU_DEP_1) | instskip(SKIP_1) | instid1(VALU_DEP_2)
	v_and_b32_e32 v4, 7, v3
	v_bfe_u32 v7, v3, 3, 4
	v_clz_i32_u32_e32 v5, v4
	s_delay_alu instid0(VALU_DEP_2) | instskip(NEXT) | instid1(VALU_DEP_2)
	v_cmp_eq_u32_e32 vcc_lo, 0, v7
	v_min_u32_e32 v5, 32, v5
	s_delay_alu instid0(VALU_DEP_1) | instskip(NEXT) | instid1(VALU_DEP_1)
	v_subrev_nc_u32_e32 v6, 28, v5
	v_dual_lshlrev_b32 v3, v6, v3 :: v_dual_sub_nc_u32 v5, 29, v5
	s_delay_alu instid0(VALU_DEP_1) | instskip(NEXT) | instid1(VALU_DEP_1)
	v_dual_lshlrev_b32 v2, 24, v2 :: v_dual_bitop2_b32 v3, 7, v3 bitop3:0x40
	v_dual_cndmask_b32 v5, v7, v5, vcc_lo :: v_dual_cndmask_b32 v3, v4, v3, vcc_lo
	s_delay_alu instid0(VALU_DEP_2) | instskip(NEXT) | instid1(VALU_DEP_2)
	v_and_b32_e32 v2, 0x80000000, v2
	v_lshl_add_u32 v4, v5, 23, 0x3b800000
	s_delay_alu instid0(VALU_DEP_3) | instskip(NEXT) | instid1(VALU_DEP_1)
	v_lshlrev_b32_e32 v3, 20, v3
	v_or3_b32 v42, v2, v4, v3
.LBB51_308:
	s_or_b32 exec_lo, exec_lo, s2
.LBB51_309:
	s_mov_b32 s1, -1
.LBB51_310:
	s_mov_b32 s2, 0
.LBB51_311:
	s_delay_alu instid0(SALU_CYCLE_1)
	s_and_b32 vcc_lo, exec_lo, s2
	s_cbranch_vccz .LBB51_346
; %bb.312:
	s_cmp_gt_i32 s0, 22
	s_cbranch_scc0 .LBB51_322
; %bb.313:
	s_cmp_lt_i32 s0, 24
	s_cbranch_scc1 .LBB51_325
; %bb.314:
	s_cmp_gt_i32 s0, 24
	s_cbranch_scc0 .LBB51_326
; %bb.315:
	global_load_u8 v2, v[0:1], off
	s_mov_b32 s1, 0
	s_mov_b32 s2, exec_lo
	s_wait_loadcnt 0x0
	v_cmpx_lt_i16_e32 0x7f, v2
	s_xor_b32 s2, exec_lo, s2
	s_cbranch_execz .LBB51_338
; %bb.316:
	s_mov_b32 s1, -1
	s_mov_b32 s3, exec_lo
	v_cmpx_eq_u16_e32 0x80, v2
; %bb.317:
	s_xor_b32 s1, exec_lo, -1
; %bb.318:
	s_or_b32 exec_lo, exec_lo, s3
	s_delay_alu instid0(SALU_CYCLE_1)
	s_and_b32 s1, s1, exec_lo
	s_or_saveexec_b32 s2, s2
	v_mov_b32_e32 v42, 0x7f800001
	s_xor_b32 exec_lo, exec_lo, s2
	s_cbranch_execnz .LBB51_339
.LBB51_319:
	s_or_b32 exec_lo, exec_lo, s2
	s_and_saveexec_b32 s2, s1
	s_cbranch_execz .LBB51_321
.LBB51_320:
	v_and_b32_e32 v3, 0xffff, v2
	s_delay_alu instid0(VALU_DEP_1) | instskip(SKIP_1) | instid1(VALU_DEP_2)
	v_and_b32_e32 v4, 3, v3
	v_bfe_u32 v7, v3, 2, 5
	v_clz_i32_u32_e32 v5, v4
	s_delay_alu instid0(VALU_DEP_2) | instskip(NEXT) | instid1(VALU_DEP_2)
	v_cmp_eq_u32_e32 vcc_lo, 0, v7
	v_min_u32_e32 v5, 32, v5
	s_delay_alu instid0(VALU_DEP_1) | instskip(NEXT) | instid1(VALU_DEP_1)
	v_subrev_nc_u32_e32 v6, 29, v5
	v_dual_lshlrev_b32 v3, v6, v3 :: v_dual_sub_nc_u32 v5, 30, v5
	s_delay_alu instid0(VALU_DEP_1) | instskip(NEXT) | instid1(VALU_DEP_1)
	v_dual_lshlrev_b32 v2, 24, v2 :: v_dual_bitop2_b32 v3, 3, v3 bitop3:0x40
	v_dual_cndmask_b32 v5, v7, v5, vcc_lo :: v_dual_cndmask_b32 v3, v4, v3, vcc_lo
	s_delay_alu instid0(VALU_DEP_2) | instskip(NEXT) | instid1(VALU_DEP_2)
	v_and_b32_e32 v2, 0x80000000, v2
	v_lshl_add_u32 v4, v5, 23, 0x37800000
	s_delay_alu instid0(VALU_DEP_3) | instskip(NEXT) | instid1(VALU_DEP_1)
	v_lshlrev_b32_e32 v3, 21, v3
	v_or3_b32 v42, v2, v4, v3
.LBB51_321:
	s_or_b32 exec_lo, exec_lo, s2
	s_mov_b32 s1, 0
	s_branch .LBB51_327
.LBB51_322:
	s_mov_b32 s2, -1
                                        ; implicit-def: $vgpr42
	s_branch .LBB51_333
.LBB51_323:
	s_or_saveexec_b32 s2, s2
	v_mov_b32_e32 v42, 0x7f800001
	s_xor_b32 exec_lo, exec_lo, s2
	s_cbranch_execz .LBB51_306
.LBB51_324:
	v_cmp_ne_u16_e32 vcc_lo, 0, v2
	v_mov_b32_e32 v42, 0
	s_and_not1_b32 s1, s1, exec_lo
	s_and_b32 s3, vcc_lo, exec_lo
	s_delay_alu instid0(SALU_CYCLE_1)
	s_or_b32 s1, s1, s3
	s_or_b32 exec_lo, exec_lo, s2
	s_and_saveexec_b32 s2, s1
	s_cbranch_execnz .LBB51_307
	s_branch .LBB51_308
.LBB51_325:
	s_mov_b32 s1, -1
                                        ; implicit-def: $vgpr42
	s_branch .LBB51_330
.LBB51_326:
	s_mov_b32 s1, -1
                                        ; implicit-def: $vgpr42
.LBB51_327:
	s_delay_alu instid0(SALU_CYCLE_1)
	s_and_b32 vcc_lo, exec_lo, s1
	s_cbranch_vccz .LBB51_329
; %bb.328:
	global_load_u8 v2, v[0:1], off
	s_wait_loadcnt 0x0
	v_lshlrev_b32_e32 v2, 24, v2
	s_delay_alu instid0(VALU_DEP_1) | instskip(NEXT) | instid1(VALU_DEP_1)
	v_and_b32_e32 v3, 0x7f000000, v2
	v_clz_i32_u32_e32 v4, v3
	v_cmp_ne_u32_e32 vcc_lo, 0, v3
	v_add_nc_u32_e32 v6, 0x1000000, v3
	s_delay_alu instid0(VALU_DEP_3) | instskip(NEXT) | instid1(VALU_DEP_1)
	v_min_u32_e32 v4, 32, v4
	v_sub_nc_u32_e64 v4, v4, 4 clamp
	s_delay_alu instid0(VALU_DEP_1) | instskip(NEXT) | instid1(VALU_DEP_1)
	v_dual_lshlrev_b32 v5, v4, v3 :: v_dual_lshlrev_b32 v4, 23, v4
	v_lshrrev_b32_e32 v5, 4, v5
	s_delay_alu instid0(VALU_DEP_1) | instskip(NEXT) | instid1(VALU_DEP_1)
	v_dual_sub_nc_u32 v4, v5, v4 :: v_dual_ashrrev_i32 v5, 8, v6
	v_add_nc_u32_e32 v4, 0x3c000000, v4
	s_delay_alu instid0(VALU_DEP_1) | instskip(NEXT) | instid1(VALU_DEP_1)
	v_and_or_b32 v4, 0x7f800000, v5, v4
	v_cndmask_b32_e32 v3, 0, v4, vcc_lo
	s_delay_alu instid0(VALU_DEP_1)
	v_and_or_b32 v42, 0x80000000, v2, v3
.LBB51_329:
	s_mov_b32 s1, 0
.LBB51_330:
	s_delay_alu instid0(SALU_CYCLE_1)
	s_and_not1_b32 vcc_lo, exec_lo, s1
	s_cbranch_vccnz .LBB51_332
; %bb.331:
	global_load_u8 v2, v[0:1], off
	s_wait_loadcnt 0x0
	v_lshlrev_b32_e32 v3, 25, v2
	v_lshlrev_b16 v2, 8, v2
	s_delay_alu instid0(VALU_DEP_1) | instskip(SKIP_1) | instid1(VALU_DEP_2)
	v_and_or_b32 v5, 0x7f00, v2, 0.5
	v_bfe_i32 v2, v2, 0, 16
	v_dual_add_f32 v5, -0.5, v5 :: v_dual_lshrrev_b32 v4, 4, v3
	v_cmp_gt_u32_e32 vcc_lo, 0x8000000, v3
	s_delay_alu instid0(VALU_DEP_2) | instskip(NEXT) | instid1(VALU_DEP_1)
	v_or_b32_e32 v4, 0x70000000, v4
	v_mul_f32_e32 v4, 0x7800000, v4
	s_delay_alu instid0(VALU_DEP_1) | instskip(NEXT) | instid1(VALU_DEP_1)
	v_cndmask_b32_e32 v3, v4, v5, vcc_lo
	v_and_or_b32 v42, 0x80000000, v2, v3
.LBB51_332:
	s_mov_b32 s2, 0
	s_mov_b32 s1, -1
.LBB51_333:
	s_and_not1_b32 vcc_lo, exec_lo, s2
	s_cbranch_vccnz .LBB51_346
; %bb.334:
	s_cmp_gt_i32 s0, 14
	s_cbranch_scc0 .LBB51_337
; %bb.335:
	s_cmp_eq_u32 s0, 15
	s_cbranch_scc0 .LBB51_340
; %bb.336:
	global_load_u16 v2, v[0:1], off
	s_mov_b32 s1, -1
	s_mov_b32 s76, 0
	s_wait_loadcnt 0x0
	v_lshlrev_b32_e32 v42, 16, v2
	s_branch .LBB51_341
.LBB51_337:
	s_mov_b32 s2, -1
                                        ; implicit-def: $vgpr42
	s_branch .LBB51_342
.LBB51_338:
	s_or_saveexec_b32 s2, s2
	v_mov_b32_e32 v42, 0x7f800001
	s_xor_b32 exec_lo, exec_lo, s2
	s_cbranch_execz .LBB51_319
.LBB51_339:
	v_cmp_ne_u16_e32 vcc_lo, 0, v2
	v_mov_b32_e32 v42, 0
	s_and_not1_b32 s1, s1, exec_lo
	s_and_b32 s3, vcc_lo, exec_lo
	s_delay_alu instid0(SALU_CYCLE_1)
	s_or_b32 s1, s1, s3
	s_or_b32 exec_lo, exec_lo, s2
	s_and_saveexec_b32 s2, s1
	s_cbranch_execnz .LBB51_320
	s_branch .LBB51_321
.LBB51_340:
	s_mov_b32 s76, -1
                                        ; implicit-def: $vgpr42
.LBB51_341:
	s_mov_b32 s2, 0
.LBB51_342:
	s_delay_alu instid0(SALU_CYCLE_1)
	s_and_b32 vcc_lo, exec_lo, s2
	s_cbranch_vccz .LBB51_346
; %bb.343:
	s_cmp_eq_u32 s0, 11
	s_cbranch_scc0 .LBB51_345
; %bb.344:
	global_load_u8 v2, v[0:1], off
	s_mov_b32 s76, 0
	s_mov_b32 s1, -1
	s_wait_loadcnt 0x0
	v_cmp_ne_u16_e32 vcc_lo, 0, v2
	v_cndmask_b32_e64 v42, 0, 1.0, vcc_lo
	s_branch .LBB51_346
.LBB51_345:
	s_mov_b32 s76, -1
                                        ; implicit-def: $vgpr42
.LBB51_346:
	s_branch .LBB51_31
.LBB51_347:
	s_cmp_lt_i32 s0, 5
	s_cbranch_scc1 .LBB51_352
; %bb.348:
	s_cmp_lt_i32 s0, 8
	s_cbranch_scc1 .LBB51_353
; %bb.349:
	;; [unrolled: 3-line block ×3, first 2 shown]
	s_cmp_gt_i32 s0, 9
	s_cbranch_scc0 .LBB51_355
; %bb.351:
	global_load_b64 v[2:3], v[0:1], off
	s_mov_b32 s1, 0
	s_wait_loadcnt 0x0
	v_cvt_f32_f64_e32 v42, v[2:3]
	s_branch .LBB51_356
.LBB51_352:
	s_mov_b32 s1, -1
                                        ; implicit-def: $vgpr42
	s_branch .LBB51_374
.LBB51_353:
	s_mov_b32 s1, -1
                                        ; implicit-def: $vgpr42
	s_branch .LBB51_362
.LBB51_354:
	s_mov_b32 s1, -1
                                        ; implicit-def: $vgpr42
	s_branch .LBB51_359
.LBB51_355:
	s_mov_b32 s1, -1
                                        ; implicit-def: $vgpr42
.LBB51_356:
	s_delay_alu instid0(SALU_CYCLE_1)
	s_and_not1_b32 vcc_lo, exec_lo, s1
	s_cbranch_vccnz .LBB51_358
; %bb.357:
	global_load_b32 v42, v[0:1], off
.LBB51_358:
	s_mov_b32 s1, 0
.LBB51_359:
	s_delay_alu instid0(SALU_CYCLE_1)
	s_and_not1_b32 vcc_lo, exec_lo, s1
	s_cbranch_vccnz .LBB51_361
; %bb.360:
	global_load_b32 v2, v[0:1], off
	s_wait_loadcnt 0x0
	v_cvt_f32_f16_e32 v42, v2
.LBB51_361:
	s_mov_b32 s1, 0
.LBB51_362:
	s_delay_alu instid0(SALU_CYCLE_1)
	s_and_not1_b32 vcc_lo, exec_lo, s1
	s_cbranch_vccnz .LBB51_373
; %bb.363:
	s_cmp_lt_i32 s0, 6
	s_cbranch_scc1 .LBB51_366
; %bb.364:
	s_cmp_gt_i32 s0, 6
	s_cbranch_scc0 .LBB51_367
; %bb.365:
	global_load_b64 v[2:3], v[0:1], off
	s_mov_b32 s1, 0
	s_wait_loadcnt 0x0
	v_cvt_f32_f64_e32 v42, v[2:3]
	s_branch .LBB51_368
.LBB51_366:
	s_mov_b32 s1, -1
                                        ; implicit-def: $vgpr42
	s_branch .LBB51_371
.LBB51_367:
	s_mov_b32 s1, -1
                                        ; implicit-def: $vgpr42
.LBB51_368:
	s_delay_alu instid0(SALU_CYCLE_1)
	s_and_not1_b32 vcc_lo, exec_lo, s1
	s_cbranch_vccnz .LBB51_370
; %bb.369:
	s_wait_loadcnt 0x0
	global_load_b32 v42, v[0:1], off
.LBB51_370:
	s_mov_b32 s1, 0
.LBB51_371:
	s_delay_alu instid0(SALU_CYCLE_1)
	s_and_not1_b32 vcc_lo, exec_lo, s1
	s_cbranch_vccnz .LBB51_373
; %bb.372:
	global_load_u16 v2, v[0:1], off
	s_wait_loadcnt 0x0
	v_cvt_f32_f16_e32 v42, v2
.LBB51_373:
	s_mov_b32 s1, 0
.LBB51_374:
	s_delay_alu instid0(SALU_CYCLE_1)
	s_and_not1_b32 vcc_lo, exec_lo, s1
	s_cbranch_vccnz .LBB51_394
; %bb.375:
	s_cmp_lt_i32 s0, 2
	s_cbranch_scc1 .LBB51_379
; %bb.376:
	s_cmp_lt_i32 s0, 3
	s_cbranch_scc1 .LBB51_380
; %bb.377:
	s_cmp_gt_i32 s0, 3
	s_cbranch_scc0 .LBB51_381
; %bb.378:
	global_load_b64 v[2:3], v[0:1], off
	s_mov_b32 s1, 0
	s_wait_loadcnt 0x0
	v_xor_b32_e32 v4, v2, v3
	v_cls_i32_e32 v5, v3
	s_delay_alu instid0(VALU_DEP_2) | instskip(NEXT) | instid1(VALU_DEP_1)
	v_ashrrev_i32_e32 v4, 31, v4
	v_add_nc_u32_e32 v4, 32, v4
	s_delay_alu instid0(VALU_DEP_1) | instskip(NEXT) | instid1(VALU_DEP_1)
	v_add_min_u32_e64 v4, v5, -1, v4
	v_lshlrev_b64_e32 v[2:3], v4, v[2:3]
	s_delay_alu instid0(VALU_DEP_1) | instskip(NEXT) | instid1(VALU_DEP_1)
	v_min_u32_e32 v2, 1, v2
	v_dual_sub_nc_u32 v3, 32, v4 :: v_dual_bitop2_b32 v2, v3, v2 bitop3:0x54
	s_delay_alu instid0(VALU_DEP_1) | instskip(NEXT) | instid1(VALU_DEP_1)
	v_cvt_f32_i32_e32 v2, v2
	v_ldexp_f32 v42, v2, v3
	s_branch .LBB51_382
.LBB51_379:
	s_mov_b32 s1, -1
                                        ; implicit-def: $vgpr42
	s_branch .LBB51_388
.LBB51_380:
	s_mov_b32 s1, -1
                                        ; implicit-def: $vgpr42
	s_branch .LBB51_385
.LBB51_381:
	s_mov_b32 s1, -1
                                        ; implicit-def: $vgpr42
.LBB51_382:
	s_delay_alu instid0(SALU_CYCLE_1)
	s_and_not1_b32 vcc_lo, exec_lo, s1
	s_cbranch_vccnz .LBB51_384
; %bb.383:
	global_load_b32 v2, v[0:1], off
	s_wait_loadcnt 0x0
	v_cvt_f32_i32_e32 v42, v2
.LBB51_384:
	s_mov_b32 s1, 0
.LBB51_385:
	s_delay_alu instid0(SALU_CYCLE_1)
	s_and_not1_b32 vcc_lo, exec_lo, s1
	s_cbranch_vccnz .LBB51_387
; %bb.386:
	global_load_i16 v2, v[0:1], off
	s_wait_loadcnt 0x0
	v_cvt_f32_i32_e32 v42, v2
.LBB51_387:
	s_mov_b32 s1, 0
.LBB51_388:
	s_delay_alu instid0(SALU_CYCLE_1)
	s_and_not1_b32 vcc_lo, exec_lo, s1
	s_cbranch_vccnz .LBB51_394
; %bb.389:
	s_cmp_gt_i32 s0, 0
	s_mov_b32 s0, 0
	s_cbranch_scc0 .LBB51_391
; %bb.390:
	global_load_i8 v2, v[0:1], off
	s_wait_loadcnt 0x0
	v_cvt_f32_i32_e32 v42, v2
	s_branch .LBB51_392
.LBB51_391:
	s_mov_b32 s0, -1
                                        ; implicit-def: $vgpr42
.LBB51_392:
	s_delay_alu instid0(SALU_CYCLE_1)
	s_and_not1_b32 vcc_lo, exec_lo, s0
	s_cbranch_vccnz .LBB51_394
; %bb.393:
	global_load_u8 v0, v[0:1], off
	s_wait_loadcnt 0x0
	v_cvt_f32_ubyte0_e32 v42, v0
.LBB51_394:
	s_branch .LBB51_32
.LBB51_395:
	s_mov_b32 s0, 0
.LBB51_396:
	s_mov_b32 s1, 0
                                        ; implicit-def: $vgpr44
.LBB51_397:
	s_and_b32 s62, s0, exec_lo
	s_and_b32 s76, s76, exec_lo
	;; [unrolled: 1-line block ×3, first 2 shown]
	s_or_not1_b32 s2, s1, exec_lo
.LBB51_398:
	s_wait_xcnt 0x0
	s_or_b32 exec_lo, exec_lo, s78
	s_mov_b32 s3, 0
	s_mov_b32 s1, 0
                                        ; implicit-def: $sgpr0
                                        ; implicit-def: $vgpr2_vgpr3
                                        ; implicit-def: $vgpr0
                                        ; implicit-def: $vgpr46
                                        ; implicit-def: $vgpr40
	s_and_saveexec_b32 s78, s2
	s_cbranch_execz .LBB51_406
; %bb.399:
	s_mov_b32 s4, -1
	s_mov_b32 s79, s77
	s_mov_b32 s81, s76
	;; [unrolled: 1-line block ×3, first 2 shown]
	s_mov_b32 s82, exec_lo
	v_cmpx_gt_i32_e64 s74, v44
	s_cbranch_execz .LBB51_807
; %bb.400:
	s_and_not1_b32 vcc_lo, exec_lo, s67
	s_cbranch_vccnz .LBB51_409
; %bb.401:
	s_and_not1_b32 vcc_lo, exec_lo, s75
	s_cbranch_vccnz .LBB51_410
; %bb.402:
	v_dual_mov_b32 v46, 0 :: v_dual_mov_b32 v1, v44
	v_dual_mov_b32 v2, 0 :: v_dual_mov_b32 v0, 0
	s_add_co_i32 s2, s73, 1
	s_mov_b64 s[0:1], 0xffffffffffffffe8
	s_and_b32 s2, s2, 30
	s_add_nc_u64 s[0:1], s[34:35], s[0:1]
.LBB51_403:                             ; =>This Inner Loop Header: Depth=1
	s_clause 0x1
	s_load_b128 s[4:7], s[0:1], 0x1c
	s_load_b64 s[12:13], s[0:1], 0x2c
	s_add_co_i32 s2, s2, -2
	s_delay_alu instid0(SALU_CYCLE_1) | instskip(SKIP_2) | instid1(VALU_DEP_1)
	s_cmp_eq_u32 s2, 0
	s_wait_kmcnt 0x0
	v_mul_hi_u32 v3, s5, v1
	v_add_nc_u32_e32 v3, v1, v3
	s_delay_alu instid0(VALU_DEP_1) | instskip(NEXT) | instid1(VALU_DEP_1)
	v_lshrrev_b32_e32 v3, s6, v3
	v_mul_hi_u32 v4, s12, v3
	v_mul_lo_u32 v5, v3, s4
	s_clause 0x1
	s_load_b128 s[8:11], s[0:1], 0xdc
	s_load_b64 s[4:5], s[0:1], 0xec
	s_wait_xcnt 0x0
	s_add_nc_u64 s[0:1], s[0:1], 24
	s_delay_alu instid0(VALU_DEP_1) | instskip(NEXT) | instid1(VALU_DEP_1)
	v_dual_add_nc_u32 v4, v3, v4 :: v_dual_sub_nc_u32 v5, v1, v5
	v_lshrrev_b32_e32 v1, s13, v4
	s_wait_kmcnt 0x0
	s_delay_alu instid0(VALU_DEP_2) | instskip(NEXT) | instid1(VALU_DEP_2)
	v_mad_u32 v6, v5, s8, v46
	v_mul_lo_u32 v4, v1, s7
	v_mad_u32 v0, v5, s10, v0
	v_mad_u32 v2, v5, s9, v2
	s_delay_alu instid0(VALU_DEP_3) | instskip(NEXT) | instid1(VALU_DEP_1)
	v_sub_nc_u32_e32 v3, v3, v4
	v_mad_u32 v46, v3, s11, v6
	s_delay_alu instid0(VALU_DEP_4) | instskip(NEXT) | instid1(VALU_DEP_4)
	v_mad_u32 v0, v3, s5, v0
	v_mad_u32 v2, v3, s4, v2
	s_cbranch_scc0 .LBB51_403
; %bb.404:
	s_bitcmp1_b32 s73, 0
	s_cselect_b32 s2, -1, 0
	s_delay_alu instid0(SALU_CYCLE_1)
	s_and_b32 vcc_lo, exec_lo, s2
	s_cbranch_vccnz .LBB51_411
; %bb.405:
	s_clause 0x1
	s_load_b96 s[4:6], s[0:1], 0x1c
	s_load_b96 s[8:10], s[0:1], 0xdc
	s_wait_kmcnt 0x0
	v_mul_hi_u32 v3, s5, v1
	s_delay_alu instid0(VALU_DEP_1) | instskip(NEXT) | instid1(VALU_DEP_1)
	v_add_nc_u32_e32 v3, v1, v3
	v_lshrrev_b32_e32 v3, s6, v3
	s_delay_alu instid0(VALU_DEP_1) | instskip(NEXT) | instid1(VALU_DEP_1)
	v_mul_lo_u32 v3, v3, s4
	v_sub_nc_u32_e32 v1, v1, v3
	s_delay_alu instid0(VALU_DEP_1)
	v_mad_u32 v46, v1, s8, v46
	v_mad_u32 v2, v1, s9, v2
	;; [unrolled: 1-line block ×3, first 2 shown]
	s_branch .LBB51_411
.LBB51_406:
	s_or_b32 exec_lo, exec_lo, s78
	s_mov_b32 s38, 0
	s_and_saveexec_b32 s2, s77
	s_cbranch_execnz .LBB51_1312
.LBB51_407:
	s_or_b32 exec_lo, exec_lo, s2
	s_and_saveexec_b32 s2, s47
	s_delay_alu instid0(SALU_CYCLE_1)
	s_xor_b32 s2, exec_lo, s2
	s_cbranch_execz .LBB51_1313
.LBB51_408:
	global_load_u8 v1, v[2:3], off
	s_or_b32 s1, s1, exec_lo
	s_wait_loadcnt 0x0
	v_cmp_ne_u16_e32 vcc_lo, 0, v1
	v_cndmask_b32_e64 v40, 0, 1.0, vcc_lo
	s_wait_xcnt 0x0
	s_or_b32 exec_lo, exec_lo, s2
	s_and_saveexec_b32 s2, s3
	s_cbranch_execz .LBB51_1359
	s_branch .LBB51_1314
.LBB51_409:
                                        ; implicit-def: $vgpr0
                                        ; implicit-def: $vgpr2
                                        ; implicit-def: $vgpr46
	s_branch .LBB51_412
.LBB51_410:
	v_dual_mov_b32 v0, 0 :: v_dual_mov_b32 v2, 0
	v_mov_b32_e32 v46, 0
.LBB51_411:
	s_cbranch_execnz .LBB51_414
.LBB51_412:
	v_mov_b32_e32 v45, 0
	s_and_not1_b32 vcc_lo, exec_lo, s72
	s_delay_alu instid0(VALU_DEP_1) | instskip(NEXT) | instid1(VALU_DEP_1)
	v_mul_u64_e32 v[0:1], s[46:47], v[44:45]
	v_add_nc_u32_e32 v0, v44, v1
	s_delay_alu instid0(VALU_DEP_1) | instskip(NEXT) | instid1(VALU_DEP_1)
	v_lshrrev_b32_e32 v4, s50, v0
	v_mul_lo_u32 v0, v4, s48
	s_delay_alu instid0(VALU_DEP_1) | instskip(NEXT) | instid1(VALU_DEP_1)
	v_sub_nc_u32_e32 v1, v44, v0
	v_mul_lo_u32 v46, v1, s52
	v_mul_lo_u32 v0, v1, s54
	;; [unrolled: 1-line block ×3, first 2 shown]
	s_cbranch_vccnz .LBB51_414
; %bb.413:
	v_mov_b32_e32 v5, v45
	s_delay_alu instid0(VALU_DEP_1) | instskip(NEXT) | instid1(VALU_DEP_1)
	v_mul_u64_e32 v[6:7], s[58:59], v[4:5]
	v_add_nc_u32_e32 v1, v4, v7
	s_delay_alu instid0(VALU_DEP_1) | instskip(NEXT) | instid1(VALU_DEP_1)
	v_lshrrev_b32_e32 v1, s63, v1
	v_mul_lo_u32 v1, v1, s51
	s_delay_alu instid0(VALU_DEP_1) | instskip(NEXT) | instid1(VALU_DEP_1)
	v_sub_nc_u32_e32 v1, v4, v1
	v_mad_u32 v46, v1, s55, v46
	v_mad_u32 v2, v1, s60, v2
	;; [unrolled: 1-line block ×3, first 2 shown]
.LBB51_414:
	v_mov_b32_e32 v3, 0
	s_and_b32 s0, s71, 0xff
	s_delay_alu instid0(SALU_CYCLE_1) | instskip(NEXT) | instid1(VALU_DEP_1)
	s_cmp_lt_i32 s0, 11
	v_add_nc_u64_e32 v[2:3], s[38:39], v[2:3]
	s_cbranch_scc1 .LBB51_421
; %bb.415:
	s_and_b32 s1, 0xffff, s0
	s_delay_alu instid0(SALU_CYCLE_1)
	s_cmp_gt_i32 s1, 25
	s_cbranch_scc0 .LBB51_430
; %bb.416:
	s_cmp_gt_i32 s1, 28
	s_cbranch_scc0 .LBB51_432
; %bb.417:
	;; [unrolled: 3-line block ×4, first 2 shown]
	s_cmp_eq_u32 s1, 46
	s_mov_b32 s3, 0
	s_cbranch_scc0 .LBB51_440
; %bb.420:
	global_load_b32 v1, v[2:3], off
	s_mov_b32 s2, -1
	s_mov_b32 s79, 0
	s_wait_loadcnt 0x0
	v_lshlrev_b32_e32 v40, 16, v1
	s_branch .LBB51_442
.LBB51_421:
	s_mov_b32 s2, 0
	s_mov_b32 s79, s77
                                        ; implicit-def: $vgpr40
	s_cbranch_execnz .LBB51_508
.LBB51_422:
	s_and_not1_b32 vcc_lo, exec_lo, s2
	s_cbranch_vccnz .LBB51_556
.LBB51_423:
	v_mov_b32_e32 v1, 0
	s_and_b32 s0, 0xffff, s70
	s_delay_alu instid0(SALU_CYCLE_1) | instskip(NEXT) | instid1(VALU_DEP_1)
	s_cmp_lt_i32 s0, 11
	v_add_nc_u64_e32 v[0:1], s[56:57], v[0:1]
	s_cbranch_scc1 .LBB51_431
; %bb.424:
	s_cmp_gt_i32 s0, 25
	s_cbranch_scc0 .LBB51_433
; %bb.425:
	s_cmp_gt_i32 s0, 28
	s_cbranch_scc0 .LBB51_435
	;; [unrolled: 3-line block ×4, first 2 shown]
; %bb.428:
	s_cmp_eq_u32 s0, 46
	s_mov_b32 s2, 0
	s_cbranch_scc0 .LBB51_559
; %bb.429:
	global_load_b32 v2, v[0:1], off
	s_mov_b32 s1, -1
	s_mov_b32 s81, 0
	s_wait_loadcnt 0x0
	v_lshlrev_b32_e32 v42, 16, v2
	s_branch .LBB51_561
.LBB51_430:
	s_mov_b32 s3, -1
	s_mov_b32 s2, 0
	s_mov_b32 s79, s77
                                        ; implicit-def: $vgpr40
	s_branch .LBB51_472
.LBB51_431:
	s_mov_b32 s2, -1
	s_mov_b32 s1, 0
	s_mov_b32 s81, s76
                                        ; implicit-def: $vgpr42
	s_branch .LBB51_626
.LBB51_432:
	s_mov_b32 s3, -1
	s_mov_b32 s2, 0
	s_mov_b32 s79, s77
                                        ; implicit-def: $vgpr40
	s_branch .LBB51_453
.LBB51_433:
	s_mov_b32 s2, -1
	s_mov_b32 s1, 0
	s_mov_b32 s81, s76
                                        ; implicit-def: $vgpr42
	s_branch .LBB51_590
.LBB51_434:
	s_mov_b32 s3, -1
	s_mov_b32 s2, 0
	s_mov_b32 s79, s77
                                        ; implicit-def: $vgpr40
	s_branch .LBB51_448
.LBB51_435:
	s_mov_b32 s2, -1
	s_mov_b32 s1, 0
	s_mov_b32 s81, s76
                                        ; implicit-def: $vgpr42
	s_branch .LBB51_571
.LBB51_436:
	s_mov_b32 s3, -1
	s_mov_b32 s2, 0
	s_mov_b32 s79, s77
	s_branch .LBB51_441
.LBB51_437:
	s_mov_b32 s2, -1
	s_mov_b32 s1, 0
	s_mov_b32 s81, s76
                                        ; implicit-def: $vgpr42
	s_branch .LBB51_566
.LBB51_438:
	s_and_not1_saveexec_b32 s5, s5
	s_cbranch_execz .LBB51_196
.LBB51_439:
	v_add_f32_e64 v1, 0x46000000, |v0|
	s_and_not1_b32 s4, s4, exec_lo
	s_delay_alu instid0(VALU_DEP_1) | instskip(NEXT) | instid1(VALU_DEP_1)
	v_and_b32_e32 v1, 0xff, v1
	v_cmp_ne_u32_e32 vcc_lo, 0, v1
	s_and_b32 s6, vcc_lo, exec_lo
	s_delay_alu instid0(SALU_CYCLE_1)
	s_or_b32 s4, s4, s6
	s_or_b32 exec_lo, exec_lo, s5
	v_mov_b32_e32 v4, 0
	s_and_saveexec_b32 s5, s4
	s_cbranch_execnz .LBB51_197
	s_branch .LBB51_198
.LBB51_440:
	s_mov_b32 s79, -1
	s_mov_b32 s2, 0
.LBB51_441:
                                        ; implicit-def: $vgpr40
.LBB51_442:
	s_and_b32 vcc_lo, exec_lo, s3
	s_cbranch_vccz .LBB51_447
; %bb.443:
	s_cmp_eq_u32 s1, 44
	s_cbranch_scc0 .LBB51_446
; %bb.444:
	global_load_u8 v1, v[2:3], off
	s_mov_b32 s79, 0
	s_mov_b32 s2, -1
	s_wait_loadcnt 0x0
	v_lshlrev_b32_e32 v4, 23, v1
	v_cmp_ne_u32_e32 vcc_lo, 0xff, v1
	s_delay_alu instid0(VALU_DEP_2) | instskip(SKIP_1) | instid1(VALU_DEP_2)
	v_cndmask_b32_e32 v4, 0x7f800001, v4, vcc_lo
	v_cmp_ne_u32_e32 vcc_lo, 0, v1
	v_cndmask_b32_e32 v40, 0x400000, v4, vcc_lo
	s_branch .LBB51_447
.LBB51_445:
	s_mov_b32 s2, -1
	s_mov_b32 s1, 0
	s_mov_b32 s81, s76
	s_branch .LBB51_560
.LBB51_446:
	s_mov_b32 s79, -1
                                        ; implicit-def: $vgpr40
.LBB51_447:
	s_mov_b32 s3, 0
.LBB51_448:
	s_delay_alu instid0(SALU_CYCLE_1)
	s_and_b32 vcc_lo, exec_lo, s3
	s_cbranch_vccz .LBB51_452
; %bb.449:
	s_cmp_eq_u32 s1, 29
	s_cbranch_scc0 .LBB51_451
; %bb.450:
	global_load_b64 v[4:5], v[2:3], off
	s_mov_b32 s2, -1
	s_mov_b32 s79, 0
	s_mov_b32 s3, 0
	s_wait_loadcnt 0x0
	v_clz_i32_u32_e32 v1, v5
	s_delay_alu instid0(VALU_DEP_1) | instskip(NEXT) | instid1(VALU_DEP_1)
	v_min_u32_e32 v1, 32, v1
	v_lshlrev_b64_e32 v[4:5], v1, v[4:5]
	v_sub_nc_u32_e32 v1, 32, v1
	s_delay_alu instid0(VALU_DEP_2) | instskip(NEXT) | instid1(VALU_DEP_1)
	v_min_u32_e32 v4, 1, v4
	v_or_b32_e32 v4, v5, v4
	s_delay_alu instid0(VALU_DEP_1) | instskip(NEXT) | instid1(VALU_DEP_1)
	v_cvt_f32_u32_e32 v4, v4
	v_ldexp_f32 v40, v4, v1
	s_branch .LBB51_453
.LBB51_451:
	s_mov_b32 s79, -1
                                        ; implicit-def: $vgpr40
.LBB51_452:
	s_mov_b32 s3, 0
.LBB51_453:
	s_delay_alu instid0(SALU_CYCLE_1)
	s_and_b32 vcc_lo, exec_lo, s3
	s_cbranch_vccz .LBB51_471
; %bb.454:
	s_cmp_lt_i32 s1, 27
	s_cbranch_scc1 .LBB51_457
; %bb.455:
	s_cmp_gt_i32 s1, 27
	s_cbranch_scc0 .LBB51_458
; %bb.456:
	global_load_b32 v1, v[2:3], off
	s_mov_b32 s2, 0
	s_wait_loadcnt 0x0
	v_cvt_f32_u32_e32 v40, v1
	s_branch .LBB51_459
.LBB51_457:
	s_mov_b32 s2, -1
                                        ; implicit-def: $vgpr40
	s_branch .LBB51_462
.LBB51_458:
	s_mov_b32 s2, -1
                                        ; implicit-def: $vgpr40
.LBB51_459:
	s_delay_alu instid0(SALU_CYCLE_1)
	s_and_not1_b32 vcc_lo, exec_lo, s2
	s_cbranch_vccnz .LBB51_461
; %bb.460:
	global_load_u16 v1, v[2:3], off
	s_wait_loadcnt 0x0
	v_cvt_f32_u32_e32 v40, v1
.LBB51_461:
	s_mov_b32 s2, 0
.LBB51_462:
	s_delay_alu instid0(SALU_CYCLE_1)
	s_and_not1_b32 vcc_lo, exec_lo, s2
	s_cbranch_vccnz .LBB51_470
; %bb.463:
	global_load_u8 v1, v[2:3], off
	s_mov_b32 s2, 0
	s_mov_b32 s3, exec_lo
	s_wait_loadcnt 0x0
	v_cmpx_lt_i16_e32 0x7f, v1
	s_xor_b32 s3, exec_lo, s3
	s_cbranch_execz .LBB51_484
; %bb.464:
	s_mov_b32 s2, -1
	s_mov_b32 s4, exec_lo
	v_cmpx_eq_u16_e32 0x80, v1
; %bb.465:
	s_xor_b32 s2, exec_lo, -1
; %bb.466:
	s_or_b32 exec_lo, exec_lo, s4
	s_delay_alu instid0(SALU_CYCLE_1)
	s_and_b32 s2, s2, exec_lo
	s_or_saveexec_b32 s3, s3
	v_mov_b32_e32 v40, 0x7f800001
	s_xor_b32 exec_lo, exec_lo, s3
	s_cbranch_execnz .LBB51_485
.LBB51_467:
	s_or_b32 exec_lo, exec_lo, s3
	s_and_saveexec_b32 s3, s2
	s_cbranch_execz .LBB51_469
.LBB51_468:
	v_and_b32_e32 v4, 0xffff, v1
	s_delay_alu instid0(VALU_DEP_1) | instskip(SKIP_1) | instid1(VALU_DEP_2)
	v_and_b32_e32 v5, 7, v4
	v_bfe_u32 v8, v4, 3, 4
	v_clz_i32_u32_e32 v6, v5
	s_delay_alu instid0(VALU_DEP_2) | instskip(NEXT) | instid1(VALU_DEP_2)
	v_cmp_eq_u32_e32 vcc_lo, 0, v8
	v_min_u32_e32 v6, 32, v6
	s_delay_alu instid0(VALU_DEP_1) | instskip(NEXT) | instid1(VALU_DEP_1)
	v_subrev_nc_u32_e32 v7, 28, v6
	v_dual_lshlrev_b32 v4, v7, v4 :: v_dual_sub_nc_u32 v6, 29, v6
	s_delay_alu instid0(VALU_DEP_1) | instskip(NEXT) | instid1(VALU_DEP_1)
	v_dual_lshlrev_b32 v1, 24, v1 :: v_dual_bitop2_b32 v4, 7, v4 bitop3:0x40
	v_dual_cndmask_b32 v6, v8, v6, vcc_lo :: v_dual_cndmask_b32 v4, v5, v4, vcc_lo
	s_delay_alu instid0(VALU_DEP_2) | instskip(NEXT) | instid1(VALU_DEP_2)
	v_and_b32_e32 v1, 0x80000000, v1
	v_lshl_add_u32 v5, v6, 23, 0x3b800000
	s_delay_alu instid0(VALU_DEP_3) | instskip(NEXT) | instid1(VALU_DEP_1)
	v_lshlrev_b32_e32 v4, 20, v4
	v_or3_b32 v40, v1, v5, v4
.LBB51_469:
	s_or_b32 exec_lo, exec_lo, s3
.LBB51_470:
	s_mov_b32 s2, -1
.LBB51_471:
	s_mov_b32 s3, 0
.LBB51_472:
	s_delay_alu instid0(SALU_CYCLE_1)
	s_and_b32 vcc_lo, exec_lo, s3
	s_cbranch_vccz .LBB51_507
; %bb.473:
	s_cmp_gt_i32 s1, 22
	s_cbranch_scc0 .LBB51_483
; %bb.474:
	s_cmp_lt_i32 s1, 24
	s_cbranch_scc1 .LBB51_486
; %bb.475:
	s_cmp_gt_i32 s1, 24
	s_cbranch_scc0 .LBB51_487
; %bb.476:
	global_load_u8 v1, v[2:3], off
	s_mov_b32 s2, 0
	s_mov_b32 s3, exec_lo
	s_wait_loadcnt 0x0
	v_cmpx_lt_i16_e32 0x7f, v1
	s_xor_b32 s3, exec_lo, s3
	s_cbranch_execz .LBB51_499
; %bb.477:
	s_mov_b32 s2, -1
	s_mov_b32 s4, exec_lo
	v_cmpx_eq_u16_e32 0x80, v1
; %bb.478:
	s_xor_b32 s2, exec_lo, -1
; %bb.479:
	s_or_b32 exec_lo, exec_lo, s4
	s_delay_alu instid0(SALU_CYCLE_1)
	s_and_b32 s2, s2, exec_lo
	s_or_saveexec_b32 s3, s3
	v_mov_b32_e32 v40, 0x7f800001
	s_xor_b32 exec_lo, exec_lo, s3
	s_cbranch_execnz .LBB51_500
.LBB51_480:
	s_or_b32 exec_lo, exec_lo, s3
	s_and_saveexec_b32 s3, s2
	s_cbranch_execz .LBB51_482
.LBB51_481:
	v_and_b32_e32 v4, 0xffff, v1
	s_delay_alu instid0(VALU_DEP_1) | instskip(SKIP_1) | instid1(VALU_DEP_2)
	v_and_b32_e32 v5, 3, v4
	v_bfe_u32 v8, v4, 2, 5
	v_clz_i32_u32_e32 v6, v5
	s_delay_alu instid0(VALU_DEP_2) | instskip(NEXT) | instid1(VALU_DEP_2)
	v_cmp_eq_u32_e32 vcc_lo, 0, v8
	v_min_u32_e32 v6, 32, v6
	s_delay_alu instid0(VALU_DEP_1) | instskip(NEXT) | instid1(VALU_DEP_1)
	v_subrev_nc_u32_e32 v7, 29, v6
	v_dual_lshlrev_b32 v4, v7, v4 :: v_dual_sub_nc_u32 v6, 30, v6
	s_delay_alu instid0(VALU_DEP_1) | instskip(NEXT) | instid1(VALU_DEP_1)
	v_dual_lshlrev_b32 v1, 24, v1 :: v_dual_bitop2_b32 v4, 3, v4 bitop3:0x40
	v_dual_cndmask_b32 v6, v8, v6, vcc_lo :: v_dual_cndmask_b32 v4, v5, v4, vcc_lo
	s_delay_alu instid0(VALU_DEP_2) | instskip(NEXT) | instid1(VALU_DEP_2)
	v_and_b32_e32 v1, 0x80000000, v1
	v_lshl_add_u32 v5, v6, 23, 0x37800000
	s_delay_alu instid0(VALU_DEP_3) | instskip(NEXT) | instid1(VALU_DEP_1)
	v_lshlrev_b32_e32 v4, 21, v4
	v_or3_b32 v40, v1, v5, v4
.LBB51_482:
	s_or_b32 exec_lo, exec_lo, s3
	s_mov_b32 s2, 0
	s_branch .LBB51_488
.LBB51_483:
	s_mov_b32 s3, -1
                                        ; implicit-def: $vgpr40
	s_branch .LBB51_494
.LBB51_484:
	s_or_saveexec_b32 s3, s3
	v_mov_b32_e32 v40, 0x7f800001
	s_xor_b32 exec_lo, exec_lo, s3
	s_cbranch_execz .LBB51_467
.LBB51_485:
	v_cmp_ne_u16_e32 vcc_lo, 0, v1
	v_mov_b32_e32 v40, 0
	s_and_not1_b32 s2, s2, exec_lo
	s_and_b32 s4, vcc_lo, exec_lo
	s_delay_alu instid0(SALU_CYCLE_1)
	s_or_b32 s2, s2, s4
	s_or_b32 exec_lo, exec_lo, s3
	s_and_saveexec_b32 s3, s2
	s_cbranch_execnz .LBB51_468
	s_branch .LBB51_469
.LBB51_486:
	s_mov_b32 s2, -1
                                        ; implicit-def: $vgpr40
	s_branch .LBB51_491
.LBB51_487:
	s_mov_b32 s2, -1
                                        ; implicit-def: $vgpr40
.LBB51_488:
	s_delay_alu instid0(SALU_CYCLE_1)
	s_and_b32 vcc_lo, exec_lo, s2
	s_cbranch_vccz .LBB51_490
; %bb.489:
	global_load_u8 v1, v[2:3], off
	s_wait_loadcnt 0x0
	v_lshlrev_b32_e32 v1, 24, v1
	s_delay_alu instid0(VALU_DEP_1) | instskip(NEXT) | instid1(VALU_DEP_1)
	v_and_b32_e32 v4, 0x7f000000, v1
	v_clz_i32_u32_e32 v5, v4
	v_cmp_ne_u32_e32 vcc_lo, 0, v4
	v_add_nc_u32_e32 v7, 0x1000000, v4
	s_delay_alu instid0(VALU_DEP_3) | instskip(NEXT) | instid1(VALU_DEP_1)
	v_min_u32_e32 v5, 32, v5
	v_sub_nc_u32_e64 v5, v5, 4 clamp
	s_delay_alu instid0(VALU_DEP_1) | instskip(NEXT) | instid1(VALU_DEP_1)
	v_dual_lshlrev_b32 v6, v5, v4 :: v_dual_lshlrev_b32 v5, 23, v5
	v_lshrrev_b32_e32 v6, 4, v6
	s_delay_alu instid0(VALU_DEP_1) | instskip(NEXT) | instid1(VALU_DEP_1)
	v_dual_sub_nc_u32 v5, v6, v5 :: v_dual_ashrrev_i32 v6, 8, v7
	v_add_nc_u32_e32 v5, 0x3c000000, v5
	s_delay_alu instid0(VALU_DEP_1) | instskip(NEXT) | instid1(VALU_DEP_1)
	v_and_or_b32 v5, 0x7f800000, v6, v5
	v_cndmask_b32_e32 v4, 0, v5, vcc_lo
	s_delay_alu instid0(VALU_DEP_1)
	v_and_or_b32 v40, 0x80000000, v1, v4
.LBB51_490:
	s_mov_b32 s2, 0
.LBB51_491:
	s_delay_alu instid0(SALU_CYCLE_1)
	s_and_not1_b32 vcc_lo, exec_lo, s2
	s_cbranch_vccnz .LBB51_493
; %bb.492:
	global_load_u8 v1, v[2:3], off
	s_wait_loadcnt 0x0
	v_lshlrev_b32_e32 v4, 25, v1
	v_lshlrev_b16 v1, 8, v1
	s_delay_alu instid0(VALU_DEP_1) | instskip(SKIP_1) | instid1(VALU_DEP_2)
	v_and_or_b32 v6, 0x7f00, v1, 0.5
	v_bfe_i32 v1, v1, 0, 16
	v_dual_add_f32 v6, -0.5, v6 :: v_dual_lshrrev_b32 v5, 4, v4
	v_cmp_gt_u32_e32 vcc_lo, 0x8000000, v4
	s_delay_alu instid0(VALU_DEP_2) | instskip(NEXT) | instid1(VALU_DEP_1)
	v_or_b32_e32 v5, 0x70000000, v5
	v_mul_f32_e32 v5, 0x7800000, v5
	s_delay_alu instid0(VALU_DEP_1) | instskip(NEXT) | instid1(VALU_DEP_1)
	v_cndmask_b32_e32 v4, v5, v6, vcc_lo
	v_and_or_b32 v40, 0x80000000, v1, v4
.LBB51_493:
	s_mov_b32 s3, 0
	s_mov_b32 s2, -1
.LBB51_494:
	s_and_not1_b32 vcc_lo, exec_lo, s3
	s_cbranch_vccnz .LBB51_507
; %bb.495:
	s_cmp_gt_i32 s1, 14
	s_cbranch_scc0 .LBB51_498
; %bb.496:
	s_cmp_eq_u32 s1, 15
	s_cbranch_scc0 .LBB51_501
; %bb.497:
	global_load_u16 v1, v[2:3], off
	s_mov_b32 s2, -1
	s_mov_b32 s79, 0
	s_wait_loadcnt 0x0
	v_lshlrev_b32_e32 v40, 16, v1
	s_branch .LBB51_502
.LBB51_498:
	s_mov_b32 s3, -1
                                        ; implicit-def: $vgpr40
	s_branch .LBB51_503
.LBB51_499:
	s_or_saveexec_b32 s3, s3
	v_mov_b32_e32 v40, 0x7f800001
	s_xor_b32 exec_lo, exec_lo, s3
	s_cbranch_execz .LBB51_480
.LBB51_500:
	v_cmp_ne_u16_e32 vcc_lo, 0, v1
	v_mov_b32_e32 v40, 0
	s_and_not1_b32 s2, s2, exec_lo
	s_and_b32 s4, vcc_lo, exec_lo
	s_delay_alu instid0(SALU_CYCLE_1)
	s_or_b32 s2, s2, s4
	s_or_b32 exec_lo, exec_lo, s3
	s_and_saveexec_b32 s3, s2
	s_cbranch_execnz .LBB51_481
	s_branch .LBB51_482
.LBB51_501:
	s_mov_b32 s79, -1
                                        ; implicit-def: $vgpr40
.LBB51_502:
	s_mov_b32 s3, 0
.LBB51_503:
	s_delay_alu instid0(SALU_CYCLE_1)
	s_and_b32 vcc_lo, exec_lo, s3
	s_cbranch_vccz .LBB51_507
; %bb.504:
	s_cmp_eq_u32 s1, 11
	s_cbranch_scc0 .LBB51_506
; %bb.505:
	global_load_u8 v1, v[2:3], off
	s_mov_b32 s79, 0
	s_mov_b32 s2, -1
	s_wait_loadcnt 0x0
	v_cmp_ne_u16_e32 vcc_lo, 0, v1
	v_cndmask_b32_e64 v40, 0, 1.0, vcc_lo
	s_branch .LBB51_507
.LBB51_506:
	s_mov_b32 s79, -1
                                        ; implicit-def: $vgpr40
.LBB51_507:
	s_branch .LBB51_422
.LBB51_508:
	s_and_b32 s0, 0xffff, s0
	s_delay_alu instid0(SALU_CYCLE_1)
	s_cmp_lt_i32 s0, 5
	s_cbranch_scc1 .LBB51_513
; %bb.509:
	s_cmp_lt_i32 s0, 8
	s_cbranch_scc1 .LBB51_514
; %bb.510:
	;; [unrolled: 3-line block ×3, first 2 shown]
	s_cmp_gt_i32 s0, 9
	s_cbranch_scc0 .LBB51_516
; %bb.512:
	global_load_b64 v[4:5], v[2:3], off
	s_mov_b32 s1, 0
	s_wait_loadcnt 0x0
	v_cvt_f32_f64_e32 v40, v[4:5]
	s_branch .LBB51_517
.LBB51_513:
	s_mov_b32 s1, -1
                                        ; implicit-def: $vgpr40
	s_branch .LBB51_535
.LBB51_514:
	s_mov_b32 s1, -1
                                        ; implicit-def: $vgpr40
	s_branch .LBB51_523
.LBB51_515:
	s_mov_b32 s1, -1
                                        ; implicit-def: $vgpr40
	s_branch .LBB51_520
.LBB51_516:
	s_mov_b32 s1, -1
                                        ; implicit-def: $vgpr40
.LBB51_517:
	s_delay_alu instid0(SALU_CYCLE_1)
	s_and_not1_b32 vcc_lo, exec_lo, s1
	s_cbranch_vccnz .LBB51_519
; %bb.518:
	s_wait_loadcnt 0x0
	global_load_b32 v40, v[2:3], off
.LBB51_519:
	s_mov_b32 s1, 0
.LBB51_520:
	s_delay_alu instid0(SALU_CYCLE_1)
	s_and_not1_b32 vcc_lo, exec_lo, s1
	s_cbranch_vccnz .LBB51_522
; %bb.521:
	global_load_b32 v1, v[2:3], off
	s_wait_loadcnt 0x0
	v_cvt_f32_f16_e32 v40, v1
.LBB51_522:
	s_mov_b32 s1, 0
.LBB51_523:
	s_delay_alu instid0(SALU_CYCLE_1)
	s_and_not1_b32 vcc_lo, exec_lo, s1
	s_cbranch_vccnz .LBB51_534
; %bb.524:
	s_cmp_lt_i32 s0, 6
	s_cbranch_scc1 .LBB51_527
; %bb.525:
	s_cmp_gt_i32 s0, 6
	s_cbranch_scc0 .LBB51_528
; %bb.526:
	global_load_b64 v[4:5], v[2:3], off
	s_mov_b32 s1, 0
	s_wait_loadcnt 0x0
	v_cvt_f32_f64_e32 v40, v[4:5]
	s_branch .LBB51_529
.LBB51_527:
	s_mov_b32 s1, -1
                                        ; implicit-def: $vgpr40
	s_branch .LBB51_532
.LBB51_528:
	s_mov_b32 s1, -1
                                        ; implicit-def: $vgpr40
.LBB51_529:
	s_delay_alu instid0(SALU_CYCLE_1)
	s_and_not1_b32 vcc_lo, exec_lo, s1
	s_cbranch_vccnz .LBB51_531
; %bb.530:
	s_wait_loadcnt 0x0
	global_load_b32 v40, v[2:3], off
.LBB51_531:
	s_mov_b32 s1, 0
.LBB51_532:
	s_delay_alu instid0(SALU_CYCLE_1)
	s_and_not1_b32 vcc_lo, exec_lo, s1
	s_cbranch_vccnz .LBB51_534
; %bb.533:
	global_load_u16 v1, v[2:3], off
	s_wait_loadcnt 0x0
	v_cvt_f32_f16_e32 v40, v1
.LBB51_534:
	s_mov_b32 s1, 0
.LBB51_535:
	s_delay_alu instid0(SALU_CYCLE_1)
	s_and_not1_b32 vcc_lo, exec_lo, s1
	s_cbranch_vccnz .LBB51_555
; %bb.536:
	s_cmp_lt_i32 s0, 2
	s_cbranch_scc1 .LBB51_540
; %bb.537:
	s_cmp_lt_i32 s0, 3
	s_cbranch_scc1 .LBB51_541
; %bb.538:
	s_cmp_gt_i32 s0, 3
	s_cbranch_scc0 .LBB51_542
; %bb.539:
	global_load_b64 v[4:5], v[2:3], off
	s_mov_b32 s1, 0
	s_wait_loadcnt 0x0
	v_xor_b32_e32 v1, v4, v5
	v_cls_i32_e32 v6, v5
	s_delay_alu instid0(VALU_DEP_2) | instskip(NEXT) | instid1(VALU_DEP_1)
	v_ashrrev_i32_e32 v1, 31, v1
	v_add_nc_u32_e32 v1, 32, v1
	s_delay_alu instid0(VALU_DEP_1) | instskip(NEXT) | instid1(VALU_DEP_1)
	v_add_min_u32_e64 v1, v6, -1, v1
	v_lshlrev_b64_e32 v[4:5], v1, v[4:5]
	v_sub_nc_u32_e32 v1, 32, v1
	s_delay_alu instid0(VALU_DEP_2) | instskip(NEXT) | instid1(VALU_DEP_1)
	v_min_u32_e32 v4, 1, v4
	v_or_b32_e32 v4, v5, v4
	s_delay_alu instid0(VALU_DEP_1) | instskip(NEXT) | instid1(VALU_DEP_1)
	v_cvt_f32_i32_e32 v4, v4
	v_ldexp_f32 v40, v4, v1
	s_branch .LBB51_543
.LBB51_540:
	s_mov_b32 s1, -1
                                        ; implicit-def: $vgpr40
	s_branch .LBB51_549
.LBB51_541:
	s_mov_b32 s1, -1
                                        ; implicit-def: $vgpr40
	s_branch .LBB51_546
.LBB51_542:
	s_mov_b32 s1, -1
                                        ; implicit-def: $vgpr40
.LBB51_543:
	s_delay_alu instid0(SALU_CYCLE_1)
	s_and_not1_b32 vcc_lo, exec_lo, s1
	s_cbranch_vccnz .LBB51_545
; %bb.544:
	global_load_b32 v1, v[2:3], off
	s_wait_loadcnt 0x0
	v_cvt_f32_i32_e32 v40, v1
.LBB51_545:
	s_mov_b32 s1, 0
.LBB51_546:
	s_delay_alu instid0(SALU_CYCLE_1)
	s_and_not1_b32 vcc_lo, exec_lo, s1
	s_cbranch_vccnz .LBB51_548
; %bb.547:
	global_load_i16 v1, v[2:3], off
	s_wait_loadcnt 0x0
	v_cvt_f32_i32_e32 v40, v1
.LBB51_548:
	s_mov_b32 s1, 0
.LBB51_549:
	s_delay_alu instid0(SALU_CYCLE_1)
	s_and_not1_b32 vcc_lo, exec_lo, s1
	s_cbranch_vccnz .LBB51_555
; %bb.550:
	s_cmp_gt_i32 s0, 0
	s_mov_b32 s0, 0
	s_cbranch_scc0 .LBB51_552
; %bb.551:
	global_load_i8 v1, v[2:3], off
	s_wait_loadcnt 0x0
	v_cvt_f32_i32_e32 v40, v1
	s_branch .LBB51_553
.LBB51_552:
	s_mov_b32 s0, -1
                                        ; implicit-def: $vgpr40
.LBB51_553:
	s_delay_alu instid0(SALU_CYCLE_1)
	s_and_not1_b32 vcc_lo, exec_lo, s0
	s_cbranch_vccnz .LBB51_555
; %bb.554:
	global_load_u8 v1, v[2:3], off
	s_wait_loadcnt 0x0
	v_cvt_f32_ubyte0_e32 v40, v1
.LBB51_555:
	s_branch .LBB51_423
.LBB51_556:
	s_mov_b32 s1, 0
	s_mov_b32 s0, s62
	;; [unrolled: 1-line block ×3, first 2 shown]
	s_branch .LBB51_805
.LBB51_557:
	s_and_not1_saveexec_b32 s5, s5
	s_cbranch_execz .LBB51_209
.LBB51_558:
	v_add_f32_e64 v1, 0x42800000, |v0|
	s_and_not1_b32 s4, s4, exec_lo
	s_delay_alu instid0(VALU_DEP_1) | instskip(NEXT) | instid1(VALU_DEP_1)
	v_and_b32_e32 v1, 0xff, v1
	v_cmp_ne_u32_e32 vcc_lo, 0, v1
	s_and_b32 s6, vcc_lo, exec_lo
	s_delay_alu instid0(SALU_CYCLE_1)
	s_or_b32 s4, s4, s6
	s_or_b32 exec_lo, exec_lo, s5
	v_mov_b32_e32 v4, 0
	s_and_saveexec_b32 s5, s4
	s_cbranch_execnz .LBB51_210
	s_branch .LBB51_211
.LBB51_559:
	s_mov_b32 s81, -1
	s_mov_b32 s1, 0
.LBB51_560:
                                        ; implicit-def: $vgpr42
.LBB51_561:
	s_and_b32 vcc_lo, exec_lo, s2
	s_cbranch_vccz .LBB51_565
; %bb.562:
	s_cmp_eq_u32 s0, 44
	s_cbranch_scc0 .LBB51_564
; %bb.563:
	global_load_u8 v2, v[0:1], off
	s_mov_b32 s81, 0
	s_mov_b32 s1, -1
	s_wait_loadcnt 0x0
	v_lshlrev_b32_e32 v3, 23, v2
	v_cmp_ne_u32_e32 vcc_lo, 0xff, v2
	s_delay_alu instid0(VALU_DEP_2) | instskip(SKIP_1) | instid1(VALU_DEP_2)
	v_cndmask_b32_e32 v3, 0x7f800001, v3, vcc_lo
	v_cmp_ne_u32_e32 vcc_lo, 0, v2
	v_cndmask_b32_e32 v42, 0x400000, v3, vcc_lo
	s_branch .LBB51_565
.LBB51_564:
	s_mov_b32 s81, -1
                                        ; implicit-def: $vgpr42
.LBB51_565:
	s_mov_b32 s2, 0
.LBB51_566:
	s_delay_alu instid0(SALU_CYCLE_1)
	s_and_b32 vcc_lo, exec_lo, s2
	s_cbranch_vccz .LBB51_570
; %bb.567:
	s_cmp_eq_u32 s0, 29
	s_cbranch_scc0 .LBB51_569
; %bb.568:
	global_load_b64 v[2:3], v[0:1], off
	s_mov_b32 s1, -1
	s_mov_b32 s81, 0
	s_mov_b32 s2, 0
	s_wait_loadcnt 0x0
	v_clz_i32_u32_e32 v4, v3
	s_delay_alu instid0(VALU_DEP_1) | instskip(NEXT) | instid1(VALU_DEP_1)
	v_min_u32_e32 v4, 32, v4
	v_lshlrev_b64_e32 v[2:3], v4, v[2:3]
	s_delay_alu instid0(VALU_DEP_1) | instskip(NEXT) | instid1(VALU_DEP_1)
	v_min_u32_e32 v2, 1, v2
	v_dual_sub_nc_u32 v3, 32, v4 :: v_dual_bitop2_b32 v2, v3, v2 bitop3:0x54
	s_delay_alu instid0(VALU_DEP_1) | instskip(NEXT) | instid1(VALU_DEP_1)
	v_cvt_f32_u32_e32 v2, v2
	v_ldexp_f32 v42, v2, v3
	s_branch .LBB51_571
.LBB51_569:
	s_mov_b32 s81, -1
                                        ; implicit-def: $vgpr42
.LBB51_570:
	s_mov_b32 s2, 0
.LBB51_571:
	s_delay_alu instid0(SALU_CYCLE_1)
	s_and_b32 vcc_lo, exec_lo, s2
	s_cbranch_vccz .LBB51_589
; %bb.572:
	s_cmp_lt_i32 s0, 27
	s_cbranch_scc1 .LBB51_575
; %bb.573:
	s_cmp_gt_i32 s0, 27
	s_cbranch_scc0 .LBB51_576
; %bb.574:
	global_load_b32 v2, v[0:1], off
	s_mov_b32 s1, 0
	s_wait_loadcnt 0x0
	v_cvt_f32_u32_e32 v42, v2
	s_branch .LBB51_577
.LBB51_575:
	s_mov_b32 s1, -1
                                        ; implicit-def: $vgpr42
	s_branch .LBB51_580
.LBB51_576:
	s_mov_b32 s1, -1
                                        ; implicit-def: $vgpr42
.LBB51_577:
	s_delay_alu instid0(SALU_CYCLE_1)
	s_and_not1_b32 vcc_lo, exec_lo, s1
	s_cbranch_vccnz .LBB51_579
; %bb.578:
	global_load_u16 v2, v[0:1], off
	s_wait_loadcnt 0x0
	v_cvt_f32_u32_e32 v42, v2
.LBB51_579:
	s_mov_b32 s1, 0
.LBB51_580:
	s_delay_alu instid0(SALU_CYCLE_1)
	s_and_not1_b32 vcc_lo, exec_lo, s1
	s_cbranch_vccnz .LBB51_588
; %bb.581:
	global_load_u8 v2, v[0:1], off
	s_mov_b32 s1, 0
	s_mov_b32 s2, exec_lo
	s_wait_loadcnt 0x0
	v_cmpx_lt_i16_e32 0x7f, v2
	s_xor_b32 s2, exec_lo, s2
	s_cbranch_execz .LBB51_602
; %bb.582:
	s_mov_b32 s1, -1
	s_mov_b32 s3, exec_lo
	v_cmpx_eq_u16_e32 0x80, v2
; %bb.583:
	s_xor_b32 s1, exec_lo, -1
; %bb.584:
	s_or_b32 exec_lo, exec_lo, s3
	s_delay_alu instid0(SALU_CYCLE_1)
	s_and_b32 s1, s1, exec_lo
	s_or_saveexec_b32 s2, s2
	v_mov_b32_e32 v42, 0x7f800001
	s_xor_b32 exec_lo, exec_lo, s2
	s_cbranch_execnz .LBB51_603
.LBB51_585:
	s_or_b32 exec_lo, exec_lo, s2
	s_and_saveexec_b32 s2, s1
	s_cbranch_execz .LBB51_587
.LBB51_586:
	v_and_b32_e32 v3, 0xffff, v2
	s_delay_alu instid0(VALU_DEP_1) | instskip(SKIP_1) | instid1(VALU_DEP_2)
	v_and_b32_e32 v4, 7, v3
	v_bfe_u32 v7, v3, 3, 4
	v_clz_i32_u32_e32 v5, v4
	s_delay_alu instid0(VALU_DEP_2) | instskip(NEXT) | instid1(VALU_DEP_2)
	v_cmp_eq_u32_e32 vcc_lo, 0, v7
	v_min_u32_e32 v5, 32, v5
	s_delay_alu instid0(VALU_DEP_1) | instskip(NEXT) | instid1(VALU_DEP_1)
	v_subrev_nc_u32_e32 v6, 28, v5
	v_dual_lshlrev_b32 v3, v6, v3 :: v_dual_sub_nc_u32 v5, 29, v5
	s_delay_alu instid0(VALU_DEP_1) | instskip(NEXT) | instid1(VALU_DEP_1)
	v_dual_lshlrev_b32 v2, 24, v2 :: v_dual_bitop2_b32 v3, 7, v3 bitop3:0x40
	v_dual_cndmask_b32 v5, v7, v5, vcc_lo :: v_dual_cndmask_b32 v3, v4, v3, vcc_lo
	s_delay_alu instid0(VALU_DEP_2) | instskip(NEXT) | instid1(VALU_DEP_2)
	v_and_b32_e32 v2, 0x80000000, v2
	v_lshl_add_u32 v4, v5, 23, 0x3b800000
	s_delay_alu instid0(VALU_DEP_3) | instskip(NEXT) | instid1(VALU_DEP_1)
	v_lshlrev_b32_e32 v3, 20, v3
	v_or3_b32 v42, v2, v4, v3
.LBB51_587:
	s_or_b32 exec_lo, exec_lo, s2
.LBB51_588:
	s_mov_b32 s1, -1
.LBB51_589:
	s_mov_b32 s2, 0
.LBB51_590:
	s_delay_alu instid0(SALU_CYCLE_1)
	s_and_b32 vcc_lo, exec_lo, s2
	s_cbranch_vccz .LBB51_625
; %bb.591:
	s_cmp_gt_i32 s0, 22
	s_cbranch_scc0 .LBB51_601
; %bb.592:
	s_cmp_lt_i32 s0, 24
	s_cbranch_scc1 .LBB51_604
; %bb.593:
	s_cmp_gt_i32 s0, 24
	s_cbranch_scc0 .LBB51_605
; %bb.594:
	global_load_u8 v2, v[0:1], off
	s_mov_b32 s1, 0
	s_mov_b32 s2, exec_lo
	s_wait_loadcnt 0x0
	v_cmpx_lt_i16_e32 0x7f, v2
	s_xor_b32 s2, exec_lo, s2
	s_cbranch_execz .LBB51_617
; %bb.595:
	s_mov_b32 s1, -1
	s_mov_b32 s3, exec_lo
	v_cmpx_eq_u16_e32 0x80, v2
; %bb.596:
	s_xor_b32 s1, exec_lo, -1
; %bb.597:
	s_or_b32 exec_lo, exec_lo, s3
	s_delay_alu instid0(SALU_CYCLE_1)
	s_and_b32 s1, s1, exec_lo
	s_or_saveexec_b32 s2, s2
	v_mov_b32_e32 v42, 0x7f800001
	s_xor_b32 exec_lo, exec_lo, s2
	s_cbranch_execnz .LBB51_618
.LBB51_598:
	s_or_b32 exec_lo, exec_lo, s2
	s_and_saveexec_b32 s2, s1
	s_cbranch_execz .LBB51_600
.LBB51_599:
	v_and_b32_e32 v3, 0xffff, v2
	s_delay_alu instid0(VALU_DEP_1) | instskip(SKIP_1) | instid1(VALU_DEP_2)
	v_and_b32_e32 v4, 3, v3
	v_bfe_u32 v7, v3, 2, 5
	v_clz_i32_u32_e32 v5, v4
	s_delay_alu instid0(VALU_DEP_2) | instskip(NEXT) | instid1(VALU_DEP_2)
	v_cmp_eq_u32_e32 vcc_lo, 0, v7
	v_min_u32_e32 v5, 32, v5
	s_delay_alu instid0(VALU_DEP_1) | instskip(NEXT) | instid1(VALU_DEP_1)
	v_subrev_nc_u32_e32 v6, 29, v5
	v_dual_lshlrev_b32 v3, v6, v3 :: v_dual_sub_nc_u32 v5, 30, v5
	s_delay_alu instid0(VALU_DEP_1) | instskip(NEXT) | instid1(VALU_DEP_1)
	v_dual_lshlrev_b32 v2, 24, v2 :: v_dual_bitop2_b32 v3, 3, v3 bitop3:0x40
	v_dual_cndmask_b32 v5, v7, v5, vcc_lo :: v_dual_cndmask_b32 v3, v4, v3, vcc_lo
	s_delay_alu instid0(VALU_DEP_2) | instskip(NEXT) | instid1(VALU_DEP_2)
	v_and_b32_e32 v2, 0x80000000, v2
	v_lshl_add_u32 v4, v5, 23, 0x37800000
	s_delay_alu instid0(VALU_DEP_3) | instskip(NEXT) | instid1(VALU_DEP_1)
	v_lshlrev_b32_e32 v3, 21, v3
	v_or3_b32 v42, v2, v4, v3
.LBB51_600:
	s_or_b32 exec_lo, exec_lo, s2
	s_mov_b32 s1, 0
	s_branch .LBB51_606
.LBB51_601:
	s_mov_b32 s2, -1
                                        ; implicit-def: $vgpr42
	s_branch .LBB51_612
.LBB51_602:
	s_or_saveexec_b32 s2, s2
	v_mov_b32_e32 v42, 0x7f800001
	s_xor_b32 exec_lo, exec_lo, s2
	s_cbranch_execz .LBB51_585
.LBB51_603:
	v_cmp_ne_u16_e32 vcc_lo, 0, v2
	v_mov_b32_e32 v42, 0
	s_and_not1_b32 s1, s1, exec_lo
	s_and_b32 s3, vcc_lo, exec_lo
	s_delay_alu instid0(SALU_CYCLE_1)
	s_or_b32 s1, s1, s3
	s_or_b32 exec_lo, exec_lo, s2
	s_and_saveexec_b32 s2, s1
	s_cbranch_execnz .LBB51_586
	s_branch .LBB51_587
.LBB51_604:
	s_mov_b32 s1, -1
                                        ; implicit-def: $vgpr42
	s_branch .LBB51_609
.LBB51_605:
	s_mov_b32 s1, -1
                                        ; implicit-def: $vgpr42
.LBB51_606:
	s_delay_alu instid0(SALU_CYCLE_1)
	s_and_b32 vcc_lo, exec_lo, s1
	s_cbranch_vccz .LBB51_608
; %bb.607:
	global_load_u8 v2, v[0:1], off
	s_wait_loadcnt 0x0
	v_lshlrev_b32_e32 v2, 24, v2
	s_delay_alu instid0(VALU_DEP_1) | instskip(NEXT) | instid1(VALU_DEP_1)
	v_and_b32_e32 v3, 0x7f000000, v2
	v_clz_i32_u32_e32 v4, v3
	v_cmp_ne_u32_e32 vcc_lo, 0, v3
	v_add_nc_u32_e32 v6, 0x1000000, v3
	s_delay_alu instid0(VALU_DEP_3) | instskip(NEXT) | instid1(VALU_DEP_1)
	v_min_u32_e32 v4, 32, v4
	v_sub_nc_u32_e64 v4, v4, 4 clamp
	s_delay_alu instid0(VALU_DEP_1) | instskip(NEXT) | instid1(VALU_DEP_1)
	v_dual_lshlrev_b32 v5, v4, v3 :: v_dual_lshlrev_b32 v4, 23, v4
	v_lshrrev_b32_e32 v5, 4, v5
	s_delay_alu instid0(VALU_DEP_1) | instskip(NEXT) | instid1(VALU_DEP_1)
	v_dual_sub_nc_u32 v4, v5, v4 :: v_dual_ashrrev_i32 v5, 8, v6
	v_add_nc_u32_e32 v4, 0x3c000000, v4
	s_delay_alu instid0(VALU_DEP_1) | instskip(NEXT) | instid1(VALU_DEP_1)
	v_and_or_b32 v4, 0x7f800000, v5, v4
	v_cndmask_b32_e32 v3, 0, v4, vcc_lo
	s_delay_alu instid0(VALU_DEP_1)
	v_and_or_b32 v42, 0x80000000, v2, v3
.LBB51_608:
	s_mov_b32 s1, 0
.LBB51_609:
	s_delay_alu instid0(SALU_CYCLE_1)
	s_and_not1_b32 vcc_lo, exec_lo, s1
	s_cbranch_vccnz .LBB51_611
; %bb.610:
	global_load_u8 v2, v[0:1], off
	s_wait_loadcnt 0x0
	v_lshlrev_b32_e32 v3, 25, v2
	v_lshlrev_b16 v2, 8, v2
	s_delay_alu instid0(VALU_DEP_1) | instskip(SKIP_1) | instid1(VALU_DEP_2)
	v_and_or_b32 v5, 0x7f00, v2, 0.5
	v_bfe_i32 v2, v2, 0, 16
	v_dual_add_f32 v5, -0.5, v5 :: v_dual_lshrrev_b32 v4, 4, v3
	v_cmp_gt_u32_e32 vcc_lo, 0x8000000, v3
	s_delay_alu instid0(VALU_DEP_2) | instskip(NEXT) | instid1(VALU_DEP_1)
	v_or_b32_e32 v4, 0x70000000, v4
	v_mul_f32_e32 v4, 0x7800000, v4
	s_delay_alu instid0(VALU_DEP_1) | instskip(NEXT) | instid1(VALU_DEP_1)
	v_cndmask_b32_e32 v3, v4, v5, vcc_lo
	v_and_or_b32 v42, 0x80000000, v2, v3
.LBB51_611:
	s_mov_b32 s2, 0
	s_mov_b32 s1, -1
.LBB51_612:
	s_and_not1_b32 vcc_lo, exec_lo, s2
	s_cbranch_vccnz .LBB51_625
; %bb.613:
	s_cmp_gt_i32 s0, 14
	s_cbranch_scc0 .LBB51_616
; %bb.614:
	s_cmp_eq_u32 s0, 15
	s_cbranch_scc0 .LBB51_619
; %bb.615:
	global_load_u16 v2, v[0:1], off
	s_mov_b32 s1, -1
	s_mov_b32 s81, 0
	s_wait_loadcnt 0x0
	v_lshlrev_b32_e32 v42, 16, v2
	s_branch .LBB51_620
.LBB51_616:
	s_mov_b32 s2, -1
                                        ; implicit-def: $vgpr42
	s_branch .LBB51_621
.LBB51_617:
	s_or_saveexec_b32 s2, s2
	v_mov_b32_e32 v42, 0x7f800001
	s_xor_b32 exec_lo, exec_lo, s2
	s_cbranch_execz .LBB51_598
.LBB51_618:
	v_cmp_ne_u16_e32 vcc_lo, 0, v2
	v_mov_b32_e32 v42, 0
	s_and_not1_b32 s1, s1, exec_lo
	s_and_b32 s3, vcc_lo, exec_lo
	s_delay_alu instid0(SALU_CYCLE_1)
	s_or_b32 s1, s1, s3
	s_or_b32 exec_lo, exec_lo, s2
	s_and_saveexec_b32 s2, s1
	s_cbranch_execnz .LBB51_599
	s_branch .LBB51_600
.LBB51_619:
	s_mov_b32 s81, -1
                                        ; implicit-def: $vgpr42
.LBB51_620:
	s_mov_b32 s2, 0
.LBB51_621:
	s_delay_alu instid0(SALU_CYCLE_1)
	s_and_b32 vcc_lo, exec_lo, s2
	s_cbranch_vccz .LBB51_625
; %bb.622:
	s_cmp_eq_u32 s0, 11
	s_cbranch_scc0 .LBB51_624
; %bb.623:
	global_load_u8 v2, v[0:1], off
	s_mov_b32 s81, 0
	s_mov_b32 s1, -1
	s_wait_loadcnt 0x0
	v_cmp_ne_u16_e32 vcc_lo, 0, v2
	v_cndmask_b32_e64 v42, 0, 1.0, vcc_lo
	s_branch .LBB51_625
.LBB51_624:
	s_mov_b32 s81, -1
                                        ; implicit-def: $vgpr42
.LBB51_625:
	s_mov_b32 s2, 0
.LBB51_626:
	s_delay_alu instid0(SALU_CYCLE_1)
	s_and_b32 vcc_lo, exec_lo, s2
	s_cbranch_vccz .LBB51_675
; %bb.627:
	s_cmp_lt_i32 s0, 5
	s_cbranch_scc1 .LBB51_632
; %bb.628:
	s_cmp_lt_i32 s0, 8
	s_cbranch_scc1 .LBB51_633
	;; [unrolled: 3-line block ×3, first 2 shown]
; %bb.630:
	s_cmp_gt_i32 s0, 9
	s_cbranch_scc0 .LBB51_635
; %bb.631:
	global_load_b64 v[2:3], v[0:1], off
	s_mov_b32 s1, 0
	s_wait_loadcnt 0x0
	v_cvt_f32_f64_e32 v42, v[2:3]
	s_branch .LBB51_636
.LBB51_632:
	s_mov_b32 s1, -1
                                        ; implicit-def: $vgpr42
	s_branch .LBB51_654
.LBB51_633:
	s_mov_b32 s1, -1
                                        ; implicit-def: $vgpr42
	s_branch .LBB51_642
.LBB51_634:
	s_mov_b32 s1, -1
                                        ; implicit-def: $vgpr42
	s_branch .LBB51_639
.LBB51_635:
	s_mov_b32 s1, -1
                                        ; implicit-def: $vgpr42
.LBB51_636:
	s_delay_alu instid0(SALU_CYCLE_1)
	s_and_not1_b32 vcc_lo, exec_lo, s1
	s_cbranch_vccnz .LBB51_638
; %bb.637:
	s_wait_loadcnt 0x0
	global_load_b32 v42, v[0:1], off
.LBB51_638:
	s_mov_b32 s1, 0
.LBB51_639:
	s_delay_alu instid0(SALU_CYCLE_1)
	s_and_not1_b32 vcc_lo, exec_lo, s1
	s_cbranch_vccnz .LBB51_641
; %bb.640:
	global_load_b32 v2, v[0:1], off
	s_wait_loadcnt 0x0
	v_cvt_f32_f16_e32 v42, v2
.LBB51_641:
	s_mov_b32 s1, 0
.LBB51_642:
	s_delay_alu instid0(SALU_CYCLE_1)
	s_and_not1_b32 vcc_lo, exec_lo, s1
	s_cbranch_vccnz .LBB51_653
; %bb.643:
	s_cmp_lt_i32 s0, 6
	s_cbranch_scc1 .LBB51_646
; %bb.644:
	s_cmp_gt_i32 s0, 6
	s_cbranch_scc0 .LBB51_647
; %bb.645:
	global_load_b64 v[2:3], v[0:1], off
	s_mov_b32 s1, 0
	s_wait_loadcnt 0x0
	v_cvt_f32_f64_e32 v42, v[2:3]
	s_branch .LBB51_648
.LBB51_646:
	s_mov_b32 s1, -1
                                        ; implicit-def: $vgpr42
	s_branch .LBB51_651
.LBB51_647:
	s_mov_b32 s1, -1
                                        ; implicit-def: $vgpr42
.LBB51_648:
	s_delay_alu instid0(SALU_CYCLE_1)
	s_and_not1_b32 vcc_lo, exec_lo, s1
	s_cbranch_vccnz .LBB51_650
; %bb.649:
	s_wait_loadcnt 0x0
	global_load_b32 v42, v[0:1], off
.LBB51_650:
	s_mov_b32 s1, 0
.LBB51_651:
	s_delay_alu instid0(SALU_CYCLE_1)
	s_and_not1_b32 vcc_lo, exec_lo, s1
	s_cbranch_vccnz .LBB51_653
; %bb.652:
	global_load_u16 v2, v[0:1], off
	s_wait_loadcnt 0x0
	v_cvt_f32_f16_e32 v42, v2
.LBB51_653:
	s_mov_b32 s1, 0
.LBB51_654:
	s_delay_alu instid0(SALU_CYCLE_1)
	s_and_not1_b32 vcc_lo, exec_lo, s1
	s_cbranch_vccnz .LBB51_674
; %bb.655:
	s_cmp_lt_i32 s0, 2
	s_cbranch_scc1 .LBB51_659
; %bb.656:
	s_cmp_lt_i32 s0, 3
	s_cbranch_scc1 .LBB51_660
; %bb.657:
	s_cmp_gt_i32 s0, 3
	s_cbranch_scc0 .LBB51_661
; %bb.658:
	global_load_b64 v[2:3], v[0:1], off
	s_mov_b32 s1, 0
	s_wait_loadcnt 0x0
	v_xor_b32_e32 v4, v2, v3
	v_cls_i32_e32 v5, v3
	s_delay_alu instid0(VALU_DEP_2) | instskip(NEXT) | instid1(VALU_DEP_1)
	v_ashrrev_i32_e32 v4, 31, v4
	v_add_nc_u32_e32 v4, 32, v4
	s_delay_alu instid0(VALU_DEP_1) | instskip(NEXT) | instid1(VALU_DEP_1)
	v_add_min_u32_e64 v4, v5, -1, v4
	v_lshlrev_b64_e32 v[2:3], v4, v[2:3]
	s_delay_alu instid0(VALU_DEP_1) | instskip(NEXT) | instid1(VALU_DEP_1)
	v_min_u32_e32 v2, 1, v2
	v_dual_sub_nc_u32 v3, 32, v4 :: v_dual_bitop2_b32 v2, v3, v2 bitop3:0x54
	s_delay_alu instid0(VALU_DEP_1) | instskip(NEXT) | instid1(VALU_DEP_1)
	v_cvt_f32_i32_e32 v2, v2
	v_ldexp_f32 v42, v2, v3
	s_branch .LBB51_662
.LBB51_659:
	s_mov_b32 s1, -1
                                        ; implicit-def: $vgpr42
	s_branch .LBB51_668
.LBB51_660:
	s_mov_b32 s1, -1
                                        ; implicit-def: $vgpr42
	s_branch .LBB51_665
.LBB51_661:
	s_mov_b32 s1, -1
                                        ; implicit-def: $vgpr42
.LBB51_662:
	s_delay_alu instid0(SALU_CYCLE_1)
	s_and_not1_b32 vcc_lo, exec_lo, s1
	s_cbranch_vccnz .LBB51_664
; %bb.663:
	global_load_b32 v2, v[0:1], off
	s_wait_loadcnt 0x0
	v_cvt_f32_i32_e32 v42, v2
.LBB51_664:
	s_mov_b32 s1, 0
.LBB51_665:
	s_delay_alu instid0(SALU_CYCLE_1)
	s_and_not1_b32 vcc_lo, exec_lo, s1
	s_cbranch_vccnz .LBB51_667
; %bb.666:
	global_load_i16 v2, v[0:1], off
	s_wait_loadcnt 0x0
	v_cvt_f32_i32_e32 v42, v2
.LBB51_667:
	s_mov_b32 s1, 0
.LBB51_668:
	s_delay_alu instid0(SALU_CYCLE_1)
	s_and_not1_b32 vcc_lo, exec_lo, s1
	s_cbranch_vccnz .LBB51_674
; %bb.669:
	s_cmp_gt_i32 s0, 0
	s_mov_b32 s0, 0
	s_cbranch_scc0 .LBB51_671
; %bb.670:
	global_load_i8 v2, v[0:1], off
	s_wait_loadcnt 0x0
	v_cvt_f32_i32_e32 v42, v2
	s_branch .LBB51_672
.LBB51_671:
	s_mov_b32 s0, -1
                                        ; implicit-def: $vgpr42
.LBB51_672:
	s_delay_alu instid0(SALU_CYCLE_1)
	s_and_not1_b32 vcc_lo, exec_lo, s0
	s_cbranch_vccnz .LBB51_674
; %bb.673:
	global_load_u8 v0, v[0:1], off
	s_wait_loadcnt 0x0
	v_cvt_f32_ubyte0_e32 v42, v0
.LBB51_674:
	s_mov_b32 s1, -1
.LBB51_675:
	s_delay_alu instid0(SALU_CYCLE_1)
	s_and_not1_b32 vcc_lo, exec_lo, s1
	s_cbranch_vccnz .LBB51_678
; %bb.676:
	s_and_not1_b32 vcc_lo, exec_lo, s49
	s_cbranch_vccnz .LBB51_679
; %bb.677:
	s_wait_loadcnt 0x0
	s_delay_alu instid0(VALU_DEP_1) | instskip(SKIP_2) | instid1(SALU_CYCLE_1)
	v_dual_mov_b32 v0, v40 :: v_dual_mov_b32 v1, v42
	s_get_pc_i64 s[0:1]
	s_add_nc_u64 s[0:1], s[0:1], _ZN12_GLOBAL__N_111calc_igammaIfEET_S1_S1_@rel64+4
	s_swap_pc_i64 s[30:31], s[0:1]
	s_mov_b32 s0, 0
	s_branch .LBB51_680
.LBB51_678:
	s_mov_b32 s1, 0
	s_mov_b32 s0, s62
	s_branch .LBB51_805
.LBB51_679:
	s_mov_b32 s0, -1
                                        ; implicit-def: $vgpr0
.LBB51_680:
	s_delay_alu instid0(SALU_CYCLE_1)
	s_and_not1_b32 vcc_lo, exec_lo, s0
	s_cbranch_vccnz .LBB51_682
; %bb.681:
	s_wait_loadcnt 0x0
	s_delay_alu instid0(VALU_DEP_1) | instskip(SKIP_2) | instid1(SALU_CYCLE_1)
	v_dual_mov_b32 v0, v40 :: v_dual_mov_b32 v1, v42
	s_get_pc_i64 s[0:1]
	s_add_nc_u64 s[0:1], s[0:1], _ZN12_GLOBAL__N_112calc_igammacIfEET_S1_S1_@rel64+4
	s_swap_pc_i64 s[30:31], s[0:1]
.LBB51_682:
	v_mov_b32_e32 v47, 0
	s_and_b32 s1, s69, 0xff
	s_delay_alu instid0(SALU_CYCLE_1) | instskip(SKIP_1) | instid1(VALU_DEP_1)
	s_cmp_lt_i32 s1, 11
	s_wait_xcnt 0x0
	v_add_nc_u64_e32 v[2:3], s[36:37], v[46:47]
	s_cbranch_scc1 .LBB51_689
; %bb.683:
	s_and_b32 s2, 0xffff, s1
	s_delay_alu instid0(SALU_CYCLE_1)
	s_cmp_gt_i32 s2, 25
	s_cbranch_scc0 .LBB51_690
; %bb.684:
	s_cmp_gt_i32 s2, 28
	s_cbranch_scc0 .LBB51_691
; %bb.685:
	;; [unrolled: 3-line block ×4, first 2 shown]
	s_mov_b32 s4, 0
	s_mov_b32 s0, -1
	s_cmp_eq_u32 s2, 46
	s_mov_b32 s3, 0
	s_cbranch_scc0 .LBB51_694
; %bb.688:
	v_bfe_u32 v1, v0, 16, 1
	v_cmp_o_f32_e32 vcc_lo, v0, v0
	s_mov_b32 s3, -1
	s_mov_b32 s0, 0
	s_delay_alu instid0(VALU_DEP_2) | instskip(NEXT) | instid1(VALU_DEP_1)
	v_add3_u32 v1, v0, v1, 0x7fff
	v_lshrrev_b32_e32 v1, 16, v1
	s_delay_alu instid0(VALU_DEP_1)
	v_cndmask_b32_e32 v1, 0x7fc0, v1, vcc_lo
	global_store_b32 v[2:3], v1, off
	s_branch .LBB51_694
.LBB51_689:
	s_mov_b32 s2, -1
	s_mov_b32 s3, 0
	s_mov_b32 s0, s62
	s_branch .LBB51_763
.LBB51_690:
	s_mov_b32 s4, -1
	s_mov_b32 s3, 0
	s_mov_b32 s0, s62
	s_branch .LBB51_721
.LBB51_691:
	s_mov_b32 s4, -1
	s_mov_b32 s3, 0
	s_mov_b32 s0, s62
	s_branch .LBB51_704
.LBB51_692:
	s_mov_b32 s4, -1
	s_mov_b32 s3, 0
	s_mov_b32 s0, s62
	s_branch .LBB51_700
.LBB51_693:
	s_mov_b32 s4, -1
	s_mov_b32 s3, 0
	s_mov_b32 s0, s62
.LBB51_694:
	s_and_b32 vcc_lo, exec_lo, s4
	s_cbranch_vccz .LBB51_699
; %bb.695:
	s_cmp_eq_u32 s2, 44
	s_mov_b32 s0, -1
	s_cbranch_scc0 .LBB51_699
; %bb.696:
	v_bfe_u32 v4, v0, 23, 8
	s_wait_xcnt 0x0
	v_mov_b32_e32 v1, 0xff
	s_mov_b32 s3, exec_lo
	s_delay_alu instid0(VALU_DEP_2)
	v_cmpx_ne_u32_e32 0xff, v4
	s_cbranch_execz .LBB51_698
; %bb.697:
	v_and_b32_e32 v1, 0x400000, v0
	v_and_or_b32 v4, 0x3fffff, v0, v4
	s_delay_alu instid0(VALU_DEP_2) | instskip(NEXT) | instid1(VALU_DEP_2)
	v_cmp_ne_u32_e32 vcc_lo, 0, v1
	v_cmp_ne_u32_e64 s0, 0, v4
	v_lshrrev_b32_e32 v1, 23, v0
	s_and_b32 s0, vcc_lo, s0
	s_delay_alu instid0(SALU_CYCLE_1) | instskip(NEXT) | instid1(VALU_DEP_1)
	v_cndmask_b32_e64 v4, 0, 1, s0
	v_add_nc_u32_e32 v1, v1, v4
.LBB51_698:
	s_or_b32 exec_lo, exec_lo, s3
	s_mov_b32 s3, -1
	s_mov_b32 s0, 0
	global_store_b8 v[2:3], v1, off
.LBB51_699:
	s_mov_b32 s4, 0
.LBB51_700:
	s_delay_alu instid0(SALU_CYCLE_1)
	s_and_b32 vcc_lo, exec_lo, s4
	s_cbranch_vccz .LBB51_703
; %bb.701:
	s_cmp_eq_u32 s2, 29
	s_mov_b32 s0, -1
	s_cbranch_scc0 .LBB51_703
; %bb.702:
	s_wait_xcnt 0x0
	v_trunc_f32_e32 v1, v0
	s_mov_b32 s3, -1
	s_mov_b32 s0, 0
	s_mov_b32 s4, 0
	s_delay_alu instid0(VALU_DEP_1) | instskip(NEXT) | instid1(VALU_DEP_1)
	v_mul_f32_e32 v4, 0x2f800000, v1
	v_floor_f32_e32 v4, v4
	s_delay_alu instid0(VALU_DEP_1) | instskip(SKIP_1) | instid1(VALU_DEP_2)
	v_fmamk_f32 v1, v4, 0xcf800000, v1
	v_cvt_u32_f32_e32 v5, v4
	v_cvt_u32_f32_e32 v4, v1
	global_store_b64 v[2:3], v[4:5], off
	s_branch .LBB51_704
.LBB51_703:
	s_mov_b32 s4, 0
.LBB51_704:
	s_delay_alu instid0(SALU_CYCLE_1)
	s_and_b32 vcc_lo, exec_lo, s4
	s_cbranch_vccz .LBB51_720
; %bb.705:
	s_cmp_lt_i32 s2, 27
	s_mov_b32 s3, -1
	s_cbranch_scc1 .LBB51_711
; %bb.706:
	s_wait_xcnt 0x0
	v_cvt_u32_f32_e32 v1, v0
	s_cmp_gt_i32 s2, 27
	s_cbranch_scc0 .LBB51_708
; %bb.707:
	s_mov_b32 s3, 0
	global_store_b32 v[2:3], v1, off
.LBB51_708:
	s_and_not1_b32 vcc_lo, exec_lo, s3
	s_cbranch_vccnz .LBB51_710
; %bb.709:
	global_store_b16 v[2:3], v1, off
.LBB51_710:
	s_mov_b32 s3, 0
.LBB51_711:
	s_delay_alu instid0(SALU_CYCLE_1)
	s_and_not1_b32 vcc_lo, exec_lo, s3
	s_cbranch_vccnz .LBB51_719
; %bb.712:
	s_wait_xcnt 0x0
	v_and_b32_e32 v1, 0x7fffffff, v0
	v_mov_b32_e32 v4, 0x80
	s_mov_b32 s3, exec_lo
	s_delay_alu instid0(VALU_DEP_2)
	v_cmpx_gt_u32_e32 0x43800000, v1
	s_cbranch_execz .LBB51_718
; %bb.713:
	v_cmp_lt_u32_e32 vcc_lo, 0x3bffffff, v1
	s_mov_b32 s4, 0
                                        ; implicit-def: $vgpr1
	s_and_saveexec_b32 s5, vcc_lo
	s_delay_alu instid0(SALU_CYCLE_1)
	s_xor_b32 s5, exec_lo, s5
	s_cbranch_execz .LBB51_833
; %bb.714:
	v_bfe_u32 v1, v0, 20, 1
	s_mov_b32 s4, exec_lo
	s_delay_alu instid0(VALU_DEP_1) | instskip(NEXT) | instid1(VALU_DEP_1)
	v_add3_u32 v1, v0, v1, 0x487ffff
	v_lshrrev_b32_e32 v1, 20, v1
	s_and_not1_saveexec_b32 s5, s5
	s_cbranch_execnz .LBB51_834
.LBB51_715:
	s_or_b32 exec_lo, exec_lo, s5
	v_mov_b32_e32 v4, 0
	s_and_saveexec_b32 s5, s4
.LBB51_716:
	v_lshrrev_b32_e32 v4, 24, v0
	s_delay_alu instid0(VALU_DEP_1)
	v_and_or_b32 v4, 0x80, v4, v1
.LBB51_717:
	s_or_b32 exec_lo, exec_lo, s5
.LBB51_718:
	s_delay_alu instid0(SALU_CYCLE_1)
	s_or_b32 exec_lo, exec_lo, s3
	global_store_b8 v[2:3], v4, off
.LBB51_719:
	s_mov_b32 s3, -1
.LBB51_720:
	s_mov_b32 s4, 0
.LBB51_721:
	s_delay_alu instid0(SALU_CYCLE_1)
	s_and_b32 vcc_lo, exec_lo, s4
	s_cbranch_vccz .LBB51_762
; %bb.722:
	s_cmp_gt_i32 s2, 22
	s_mov_b32 s4, -1
	s_cbranch_scc0 .LBB51_754
; %bb.723:
	s_cmp_lt_i32 s2, 24
	s_mov_b32 s3, -1
	s_cbranch_scc1 .LBB51_743
; %bb.724:
	s_cmp_gt_i32 s2, 24
	s_cbranch_scc0 .LBB51_732
; %bb.725:
	s_wait_xcnt 0x0
	v_and_b32_e32 v1, 0x7fffffff, v0
	v_mov_b32_e32 v4, 0x80
	s_mov_b32 s3, exec_lo
	s_delay_alu instid0(VALU_DEP_2)
	v_cmpx_gt_u32_e32 0x47800000, v1
	s_cbranch_execz .LBB51_731
; %bb.726:
	v_cmp_lt_u32_e32 vcc_lo, 0x37ffffff, v1
	s_mov_b32 s4, 0
                                        ; implicit-def: $vgpr1
	s_and_saveexec_b32 s5, vcc_lo
	s_delay_alu instid0(SALU_CYCLE_1)
	s_xor_b32 s5, exec_lo, s5
	s_cbranch_execz .LBB51_965
; %bb.727:
	v_bfe_u32 v1, v0, 21, 1
	s_mov_b32 s4, exec_lo
	s_delay_alu instid0(VALU_DEP_1) | instskip(NEXT) | instid1(VALU_DEP_1)
	v_add3_u32 v1, v0, v1, 0x88fffff
	v_lshrrev_b32_e32 v1, 21, v1
	s_and_not1_saveexec_b32 s5, s5
	s_cbranch_execnz .LBB51_966
.LBB51_728:
	s_or_b32 exec_lo, exec_lo, s5
	v_mov_b32_e32 v4, 0
	s_and_saveexec_b32 s5, s4
.LBB51_729:
	v_lshrrev_b32_e32 v4, 24, v0
	s_delay_alu instid0(VALU_DEP_1)
	v_and_or_b32 v4, 0x80, v4, v1
.LBB51_730:
	s_or_b32 exec_lo, exec_lo, s5
.LBB51_731:
	s_delay_alu instid0(SALU_CYCLE_1)
	s_or_b32 exec_lo, exec_lo, s3
	s_mov_b32 s3, 0
	global_store_b8 v[2:3], v4, off
.LBB51_732:
	s_and_b32 vcc_lo, exec_lo, s3
	s_cbranch_vccz .LBB51_742
; %bb.733:
	s_wait_xcnt 0x0
	v_and_b32_e32 v4, 0x7fffffff, v0
	s_mov_b32 s3, exec_lo
                                        ; implicit-def: $vgpr1
	s_delay_alu instid0(VALU_DEP_1)
	v_cmpx_gt_u32_e32 0x43f00000, v4
	s_xor_b32 s3, exec_lo, s3
	s_cbranch_execz .LBB51_739
; %bb.734:
	s_mov_b32 s4, exec_lo
                                        ; implicit-def: $vgpr1
	v_cmpx_lt_u32_e32 0x3c7fffff, v4
	s_xor_b32 s4, exec_lo, s4
; %bb.735:
	v_bfe_u32 v1, v0, 20, 1
	s_delay_alu instid0(VALU_DEP_1) | instskip(NEXT) | instid1(VALU_DEP_1)
	v_add3_u32 v1, v0, v1, 0x407ffff
	v_and_b32_e32 v4, 0xff00000, v1
	v_lshrrev_b32_e32 v1, 20, v1
	s_delay_alu instid0(VALU_DEP_2) | instskip(NEXT) | instid1(VALU_DEP_2)
	v_cmp_ne_u32_e32 vcc_lo, 0x7f00000, v4
	v_cndmask_b32_e32 v1, 0x7e, v1, vcc_lo
; %bb.736:
	s_and_not1_saveexec_b32 s4, s4
; %bb.737:
	v_add_f32_e64 v1, 0x46800000, |v0|
; %bb.738:
	s_or_b32 exec_lo, exec_lo, s4
                                        ; implicit-def: $vgpr4
.LBB51_739:
	s_and_not1_saveexec_b32 s3, s3
; %bb.740:
	v_mov_b32_e32 v1, 0x7f
	v_cmp_lt_u32_e32 vcc_lo, 0x7f800000, v4
	s_delay_alu instid0(VALU_DEP_2)
	v_cndmask_b32_e32 v1, 0x7e, v1, vcc_lo
; %bb.741:
	s_or_b32 exec_lo, exec_lo, s3
	v_lshrrev_b32_e32 v4, 24, v0
	s_delay_alu instid0(VALU_DEP_1)
	v_and_or_b32 v1, 0x80, v4, v1
	global_store_b8 v[2:3], v1, off
.LBB51_742:
	s_mov_b32 s3, 0
.LBB51_743:
	s_delay_alu instid0(SALU_CYCLE_1)
	s_and_not1_b32 vcc_lo, exec_lo, s3
	s_cbranch_vccnz .LBB51_753
; %bb.744:
	s_wait_xcnt 0x0
	v_and_b32_e32 v4, 0x7fffffff, v0
	s_mov_b32 s3, exec_lo
                                        ; implicit-def: $vgpr1
	s_delay_alu instid0(VALU_DEP_1)
	v_cmpx_gt_u32_e32 0x47800000, v4
	s_xor_b32 s3, exec_lo, s3
	s_cbranch_execz .LBB51_750
; %bb.745:
	s_mov_b32 s4, exec_lo
                                        ; implicit-def: $vgpr1
	v_cmpx_lt_u32_e32 0x387fffff, v4
	s_xor_b32 s4, exec_lo, s4
; %bb.746:
	v_bfe_u32 v1, v0, 21, 1
	s_delay_alu instid0(VALU_DEP_1) | instskip(NEXT) | instid1(VALU_DEP_1)
	v_add3_u32 v1, v0, v1, 0x80fffff
	v_lshrrev_b32_e32 v1, 21, v1
; %bb.747:
	s_and_not1_saveexec_b32 s4, s4
; %bb.748:
	v_add_f32_e64 v1, 0x43000000, |v0|
; %bb.749:
	s_or_b32 exec_lo, exec_lo, s4
                                        ; implicit-def: $vgpr4
.LBB51_750:
	s_and_not1_saveexec_b32 s3, s3
; %bb.751:
	v_mov_b32_e32 v1, 0x7f
	v_cmp_lt_u32_e32 vcc_lo, 0x7f800000, v4
	s_delay_alu instid0(VALU_DEP_2)
	v_cndmask_b32_e32 v1, 0x7c, v1, vcc_lo
; %bb.752:
	s_or_b32 exec_lo, exec_lo, s3
	v_lshrrev_b32_e32 v4, 24, v0
	s_delay_alu instid0(VALU_DEP_1)
	v_and_or_b32 v1, 0x80, v4, v1
	global_store_b8 v[2:3], v1, off
.LBB51_753:
	s_mov_b32 s4, 0
	s_mov_b32 s3, -1
.LBB51_754:
	s_and_not1_b32 vcc_lo, exec_lo, s4
	s_cbranch_vccnz .LBB51_762
; %bb.755:
	s_cmp_gt_i32 s2, 14
	s_mov_b32 s4, -1
	s_cbranch_scc0 .LBB51_759
; %bb.756:
	s_cmp_eq_u32 s2, 15
	s_mov_b32 s0, -1
	s_cbranch_scc0 .LBB51_758
; %bb.757:
	s_wait_xcnt 0x0
	v_bfe_u32 v1, v0, 16, 1
	v_cmp_o_f32_e32 vcc_lo, v0, v0
	s_mov_b32 s3, -1
	s_mov_b32 s0, 0
	s_delay_alu instid0(VALU_DEP_2) | instskip(NEXT) | instid1(VALU_DEP_1)
	v_add3_u32 v1, v0, v1, 0x7fff
	v_lshrrev_b32_e32 v1, 16, v1
	s_delay_alu instid0(VALU_DEP_1)
	v_cndmask_b32_e32 v1, 0x7fc0, v1, vcc_lo
	global_store_b16 v[2:3], v1, off
.LBB51_758:
	s_mov_b32 s4, 0
.LBB51_759:
	s_delay_alu instid0(SALU_CYCLE_1)
	s_and_b32 vcc_lo, exec_lo, s4
	s_cbranch_vccz .LBB51_762
; %bb.760:
	s_cmp_eq_u32 s2, 11
	s_mov_b32 s0, -1
	s_cbranch_scc0 .LBB51_762
; %bb.761:
	v_cmp_neq_f32_e32 vcc_lo, 0, v0
	s_mov_b32 s0, 0
	s_mov_b32 s3, -1
	s_wait_xcnt 0x0
	v_cndmask_b32_e64 v1, 0, 1, vcc_lo
	global_store_b8 v[2:3], v1, off
.LBB51_762:
	s_mov_b32 s2, 0
.LBB51_763:
	s_delay_alu instid0(SALU_CYCLE_1)
	s_and_b32 vcc_lo, exec_lo, s2
	s_cbranch_vccz .LBB51_802
; %bb.764:
	s_and_b32 s1, 0xffff, s1
	s_mov_b32 s2, -1
	s_cmp_lt_i32 s1, 5
	s_cbranch_scc1 .LBB51_785
; %bb.765:
	s_cmp_lt_i32 s1, 8
	s_cbranch_scc1 .LBB51_775
; %bb.766:
	;; [unrolled: 3-line block ×3, first 2 shown]
	s_cmp_gt_i32 s1, 9
	s_cbranch_scc0 .LBB51_769
; %bb.768:
	s_wait_xcnt 0x0
	v_cvt_f64_f32_e32 v[4:5], v0
	v_mov_b32_e32 v6, 0
	s_mov_b32 s2, 0
	s_delay_alu instid0(VALU_DEP_1)
	v_mov_b32_e32 v7, v6
	global_store_b128 v[2:3], v[4:7], off
.LBB51_769:
	s_and_not1_b32 vcc_lo, exec_lo, s2
	s_cbranch_vccnz .LBB51_771
; %bb.770:
	s_wait_xcnt 0x0
	v_mov_b32_e32 v1, 0
	global_store_b64 v[2:3], v[0:1], off
.LBB51_771:
	s_mov_b32 s2, 0
.LBB51_772:
	s_delay_alu instid0(SALU_CYCLE_1)
	s_and_not1_b32 vcc_lo, exec_lo, s2
	s_cbranch_vccnz .LBB51_774
; %bb.773:
	s_wait_xcnt 0x0
	v_cvt_f16_f32_e32 v1, v0
	s_delay_alu instid0(VALU_DEP_1)
	v_and_b32_e32 v1, 0xffff, v1
	global_store_b32 v[2:3], v1, off
.LBB51_774:
	s_mov_b32 s2, 0
.LBB51_775:
	s_delay_alu instid0(SALU_CYCLE_1)
	s_and_not1_b32 vcc_lo, exec_lo, s2
	s_cbranch_vccnz .LBB51_784
; %bb.776:
	s_cmp_lt_i32 s1, 6
	s_mov_b32 s2, -1
	s_cbranch_scc1 .LBB51_782
; %bb.777:
	s_cmp_gt_i32 s1, 6
	s_cbranch_scc0 .LBB51_779
; %bb.778:
	s_wait_xcnt 0x0
	v_cvt_f64_f32_e32 v[4:5], v0
	s_mov_b32 s2, 0
	global_store_b64 v[2:3], v[4:5], off
.LBB51_779:
	s_and_not1_b32 vcc_lo, exec_lo, s2
	s_cbranch_vccnz .LBB51_781
; %bb.780:
	global_store_b32 v[2:3], v0, off
.LBB51_781:
	s_mov_b32 s2, 0
.LBB51_782:
	s_delay_alu instid0(SALU_CYCLE_1)
	s_and_not1_b32 vcc_lo, exec_lo, s2
	s_cbranch_vccnz .LBB51_784
; %bb.783:
	s_wait_xcnt 0x0
	v_cvt_f16_f32_e32 v1, v0
	global_store_b16 v[2:3], v1, off
.LBB51_784:
	s_mov_b32 s2, 0
.LBB51_785:
	s_delay_alu instid0(SALU_CYCLE_1)
	s_and_not1_b32 vcc_lo, exec_lo, s2
	s_cbranch_vccnz .LBB51_801
; %bb.786:
	s_cmp_lt_i32 s1, 2
	s_mov_b32 s2, -1
	s_cbranch_scc1 .LBB51_796
; %bb.787:
	s_cmp_lt_i32 s1, 3
	s_cbranch_scc1 .LBB51_793
; %bb.788:
	s_cmp_gt_i32 s1, 3
	s_cbranch_scc0 .LBB51_790
; %bb.789:
	s_wait_xcnt 0x0
	v_trunc_f32_e32 v1, v0
	s_mov_b32 s2, 0
	s_delay_alu instid0(VALU_DEP_1) | instskip(NEXT) | instid1(VALU_DEP_1)
	v_mul_f32_e64 v4, 0x2f800000, |v1|
	v_floor_f32_e32 v5, v4
	v_ashrrev_i32_e32 v4, 31, v1
	s_delay_alu instid0(VALU_DEP_2) | instskip(SKIP_1) | instid1(VALU_DEP_3)
	v_fma_f32 v6, 0xcf800000, v5, |v1|
	v_cvt_u32_f32_e32 v1, v5
	v_mov_b32_e32 v5, v4
	s_delay_alu instid0(VALU_DEP_3) | instskip(NEXT) | instid1(VALU_DEP_3)
	v_cvt_u32_f32_e32 v6, v6
	v_xor_b32_e32 v7, v1, v4
	s_delay_alu instid0(VALU_DEP_2) | instskip(NEXT) | instid1(VALU_DEP_1)
	v_xor_b32_e32 v6, v6, v4
	v_sub_nc_u64_e32 v[4:5], v[6:7], v[4:5]
	global_store_b64 v[2:3], v[4:5], off
.LBB51_790:
	s_and_not1_b32 vcc_lo, exec_lo, s2
	s_cbranch_vccnz .LBB51_792
; %bb.791:
	s_wait_xcnt 0x0
	v_cvt_i32_f32_e32 v1, v0
	global_store_b32 v[2:3], v1, off
.LBB51_792:
	s_mov_b32 s2, 0
.LBB51_793:
	s_delay_alu instid0(SALU_CYCLE_1)
	s_and_not1_b32 vcc_lo, exec_lo, s2
	s_cbranch_vccnz .LBB51_795
; %bb.794:
	s_wait_xcnt 0x0
	v_cvt_i32_f32_e32 v1, v0
	global_store_b16 v[2:3], v1, off
.LBB51_795:
	s_mov_b32 s2, 0
.LBB51_796:
	s_delay_alu instid0(SALU_CYCLE_1)
	s_and_not1_b32 vcc_lo, exec_lo, s2
	s_cbranch_vccnz .LBB51_801
; %bb.797:
	s_cmp_gt_i32 s1, 0
	s_mov_b32 s1, -1
	s_cbranch_scc0 .LBB51_799
; %bb.798:
	s_wait_xcnt 0x0
	v_cvt_i32_f32_e32 v1, v0
	s_mov_b32 s1, 0
	global_store_b8 v[2:3], v1, off
.LBB51_799:
	s_and_not1_b32 vcc_lo, exec_lo, s1
	s_cbranch_vccnz .LBB51_801
; %bb.800:
	s_wait_xcnt 0x0
	v_trunc_f32_e32 v0, v0
	s_delay_alu instid0(VALU_DEP_1) | instskip(NEXT) | instid1(VALU_DEP_1)
	v_mul_f32_e64 v1, 0x2f800000, |v0|
	v_floor_f32_e32 v1, v1
	s_delay_alu instid0(VALU_DEP_1) | instskip(SKIP_1) | instid1(VALU_DEP_2)
	v_fma_f32 v1, 0xcf800000, v1, |v0|
	v_ashrrev_i32_e32 v0, 31, v0
	v_cvt_u32_f32_e32 v1, v1
	s_delay_alu instid0(VALU_DEP_1) | instskip(NEXT) | instid1(VALU_DEP_1)
	v_xor_b32_e32 v1, v1, v0
	v_sub_nc_u32_e32 v0, v1, v0
	global_store_b8 v[2:3], v0, off
.LBB51_801:
	s_mov_b32 s3, -1
.LBB51_802:
	s_delay_alu instid0(SALU_CYCLE_1)
	s_and_not1_b32 vcc_lo, exec_lo, s3
	s_cbranch_vccnz .LBB51_804
; %bb.803:
	v_add_nc_u32_e32 v44, 0x80, v44
	s_mov_b32 s1, -1
	s_branch .LBB51_806
.LBB51_804:
	s_mov_b32 s1, 0
.LBB51_805:
                                        ; implicit-def: $vgpr44
.LBB51_806:
	s_and_not1_b32 s2, s62, exec_lo
	s_and_b32 s0, s0, exec_lo
	s_and_not1_b32 s3, s77, exec_lo
	s_or_b32 s80, s2, s0
	s_and_not1_b32 s0, s76, exec_lo
	s_and_b32 s2, s81, exec_lo
	s_and_b32 s4, s79, exec_lo
	s_or_b32 s81, s0, s2
	s_or_b32 s79, s3, s4
	s_or_not1_b32 s4, s1, exec_lo
.LBB51_807:
	s_wait_xcnt 0x0
	s_or_b32 exec_lo, exec_lo, s82
	s_mov_b32 s2, 0
	s_mov_b32 s3, 0
	;; [unrolled: 1-line block ×3, first 2 shown]
                                        ; implicit-def: $sgpr0
                                        ; implicit-def: $vgpr2_vgpr3
                                        ; implicit-def: $vgpr0
                                        ; implicit-def: $vgpr46
                                        ; implicit-def: $vgpr40
	s_and_saveexec_b32 s82, s4
	s_cbranch_execz .LBB51_1311
; %bb.808:
	s_mov_b32 s8, -1
	s_mov_b32 s2, s79
	s_mov_b32 s4, s81
	;; [unrolled: 1-line block ×3, first 2 shown]
	s_mov_b32 s83, exec_lo
	v_cmpx_gt_i32_e64 s74, v44
	s_cbranch_execz .LBB51_1215
; %bb.809:
	s_and_not1_b32 vcc_lo, exec_lo, s67
	s_cbranch_vccnz .LBB51_815
; %bb.810:
	s_and_not1_b32 vcc_lo, exec_lo, s75
	s_cbranch_vccnz .LBB51_816
; %bb.811:
	v_dual_mov_b32 v46, 0 :: v_dual_mov_b32 v1, v44
	v_dual_mov_b32 v2, 0 :: v_dual_mov_b32 v0, 0
	s_add_co_i32 s2, s73, 1
	s_mov_b64 s[0:1], 0xffffffffffffffe8
	s_and_b32 s2, s2, 30
	s_add_nc_u64 s[0:1], s[34:35], s[0:1]
.LBB51_812:                             ; =>This Inner Loop Header: Depth=1
	s_clause 0x1
	s_load_b128 s[4:7], s[0:1], 0x1c
	s_load_b64 s[12:13], s[0:1], 0x2c
	s_add_co_i32 s2, s2, -2
	s_delay_alu instid0(SALU_CYCLE_1) | instskip(SKIP_2) | instid1(VALU_DEP_1)
	s_cmp_eq_u32 s2, 0
	s_wait_kmcnt 0x0
	v_mul_hi_u32 v3, s5, v1
	v_add_nc_u32_e32 v3, v1, v3
	s_delay_alu instid0(VALU_DEP_1) | instskip(NEXT) | instid1(VALU_DEP_1)
	v_lshrrev_b32_e32 v3, s6, v3
	v_mul_hi_u32 v4, s12, v3
	v_mul_lo_u32 v5, v3, s4
	s_clause 0x1
	s_load_b128 s[8:11], s[0:1], 0xdc
	s_load_b64 s[4:5], s[0:1], 0xec
	s_wait_xcnt 0x0
	s_add_nc_u64 s[0:1], s[0:1], 24
	s_delay_alu instid0(VALU_DEP_1) | instskip(NEXT) | instid1(VALU_DEP_1)
	v_dual_add_nc_u32 v4, v3, v4 :: v_dual_sub_nc_u32 v5, v1, v5
	v_lshrrev_b32_e32 v1, s13, v4
	s_wait_kmcnt 0x0
	s_delay_alu instid0(VALU_DEP_2) | instskip(NEXT) | instid1(VALU_DEP_2)
	v_mad_u32 v6, v5, s8, v46
	v_mul_lo_u32 v4, v1, s7
	v_mad_u32 v0, v5, s10, v0
	v_mad_u32 v2, v5, s9, v2
	s_delay_alu instid0(VALU_DEP_3) | instskip(NEXT) | instid1(VALU_DEP_1)
	v_sub_nc_u32_e32 v3, v3, v4
	v_mad_u32 v46, v3, s11, v6
	s_delay_alu instid0(VALU_DEP_4) | instskip(NEXT) | instid1(VALU_DEP_4)
	v_mad_u32 v0, v3, s5, v0
	v_mad_u32 v2, v3, s4, v2
	s_cbranch_scc0 .LBB51_812
; %bb.813:
	s_bitcmp1_b32 s73, 0
	s_cselect_b32 s2, -1, 0
	s_delay_alu instid0(SALU_CYCLE_1)
	s_and_b32 vcc_lo, exec_lo, s2
	s_cbranch_vccnz .LBB51_817
; %bb.814:
	s_clause 0x1
	s_load_b96 s[4:6], s[0:1], 0x1c
	s_load_b96 s[8:10], s[0:1], 0xdc
	s_wait_kmcnt 0x0
	v_mul_hi_u32 v3, s5, v1
	s_delay_alu instid0(VALU_DEP_1) | instskip(NEXT) | instid1(VALU_DEP_1)
	v_add_nc_u32_e32 v3, v1, v3
	v_lshrrev_b32_e32 v3, s6, v3
	s_delay_alu instid0(VALU_DEP_1) | instskip(NEXT) | instid1(VALU_DEP_1)
	v_mul_lo_u32 v3, v3, s4
	v_sub_nc_u32_e32 v1, v1, v3
	s_delay_alu instid0(VALU_DEP_1)
	v_mad_u32 v46, v1, s8, v46
	v_mad_u32 v2, v1, s9, v2
	;; [unrolled: 1-line block ×3, first 2 shown]
	s_branch .LBB51_817
.LBB51_815:
	s_mov_b32 s0, -1
                                        ; implicit-def: $vgpr0
                                        ; implicit-def: $vgpr2
                                        ; implicit-def: $vgpr46
	s_branch .LBB51_818
.LBB51_816:
	v_dual_mov_b32 v0, 0 :: v_dual_mov_b32 v2, 0
	v_mov_b32_e32 v46, 0
.LBB51_817:
	s_mov_b32 s0, 0
.LBB51_818:
	s_delay_alu instid0(SALU_CYCLE_1)
	s_and_not1_b32 vcc_lo, exec_lo, s0
	s_cbranch_vccnz .LBB51_821
; %bb.819:
	v_mov_b32_e32 v45, 0
	s_and_not1_b32 vcc_lo, exec_lo, s72
	s_delay_alu instid0(VALU_DEP_1) | instskip(NEXT) | instid1(VALU_DEP_1)
	v_mul_u64_e32 v[0:1], s[46:47], v[44:45]
	v_add_nc_u32_e32 v0, v44, v1
	s_delay_alu instid0(VALU_DEP_1) | instskip(NEXT) | instid1(VALU_DEP_1)
	v_lshrrev_b32_e32 v4, s50, v0
	v_mul_lo_u32 v0, v4, s48
	s_delay_alu instid0(VALU_DEP_1) | instskip(NEXT) | instid1(VALU_DEP_1)
	v_sub_nc_u32_e32 v1, v44, v0
	v_mul_lo_u32 v46, v1, s52
	v_mul_lo_u32 v0, v1, s54
	;; [unrolled: 1-line block ×3, first 2 shown]
	s_cbranch_vccnz .LBB51_821
; %bb.820:
	v_mov_b32_e32 v5, v45
	s_delay_alu instid0(VALU_DEP_1) | instskip(NEXT) | instid1(VALU_DEP_1)
	v_mul_u64_e32 v[6:7], s[58:59], v[4:5]
	v_add_nc_u32_e32 v1, v4, v7
	s_delay_alu instid0(VALU_DEP_1) | instskip(NEXT) | instid1(VALU_DEP_1)
	v_lshrrev_b32_e32 v1, s63, v1
	v_mul_lo_u32 v1, v1, s51
	s_delay_alu instid0(VALU_DEP_1) | instskip(NEXT) | instid1(VALU_DEP_1)
	v_sub_nc_u32_e32 v1, v4, v1
	v_mad_u32 v46, v1, s55, v46
	v_mad_u32 v2, v1, s60, v2
	v_mad_u32 v0, v1, s61, v0
.LBB51_821:
	v_mov_b32_e32 v3, 0
	s_and_b32 s0, s71, 0xff
	s_delay_alu instid0(SALU_CYCLE_1) | instskip(NEXT) | instid1(VALU_DEP_1)
	s_cmp_lt_i32 s0, 11
	v_add_nc_u64_e32 v[2:3], s[38:39], v[2:3]
	s_cbranch_scc1 .LBB51_828
; %bb.822:
	s_and_b32 s1, 0xffff, s0
	s_delay_alu instid0(SALU_CYCLE_1)
	s_cmp_gt_i32 s1, 25
	s_cbranch_scc0 .LBB51_829
; %bb.823:
	s_cmp_gt_i32 s1, 28
	s_cbranch_scc0 .LBB51_830
; %bb.824:
	;; [unrolled: 3-line block ×4, first 2 shown]
	s_cmp_eq_u32 s1, 46
	s_mov_b32 s3, 0
	s_cbranch_scc0 .LBB51_835
; %bb.827:
	global_load_b32 v1, v[2:3], off
	s_mov_b32 s2, -1
	s_mov_b32 s84, 0
	s_wait_loadcnt 0x0
	v_lshlrev_b32_e32 v40, 16, v1
	s_branch .LBB51_837
.LBB51_828:
	s_mov_b32 s1, -1
	s_mov_b32 s2, 0
	s_mov_b32 s84, s79
                                        ; implicit-def: $vgpr40
	s_branch .LBB51_902
.LBB51_829:
	s_mov_b32 s3, -1
	s_mov_b32 s2, 0
	s_mov_b32 s84, s79
                                        ; implicit-def: $vgpr40
	s_branch .LBB51_866
.LBB51_830:
	s_mov_b32 s3, -1
	s_mov_b32 s2, 0
	s_mov_b32 s84, s79
                                        ; implicit-def: $vgpr40
	s_branch .LBB51_847
.LBB51_831:
	s_mov_b32 s3, -1
	s_mov_b32 s2, 0
	s_mov_b32 s84, s79
                                        ; implicit-def: $vgpr40
	s_branch .LBB51_842
.LBB51_832:
	s_mov_b32 s3, -1
	s_mov_b32 s2, 0
	s_mov_b32 s84, s79
	s_branch .LBB51_836
.LBB51_833:
	s_and_not1_saveexec_b32 s5, s5
	s_cbranch_execz .LBB51_715
.LBB51_834:
	v_add_f32_e64 v1, 0x46000000, |v0|
	s_and_not1_b32 s4, s4, exec_lo
	s_delay_alu instid0(VALU_DEP_1) | instskip(NEXT) | instid1(VALU_DEP_1)
	v_and_b32_e32 v1, 0xff, v1
	v_cmp_ne_u32_e32 vcc_lo, 0, v1
	s_and_b32 s6, vcc_lo, exec_lo
	s_delay_alu instid0(SALU_CYCLE_1)
	s_or_b32 s4, s4, s6
	s_or_b32 exec_lo, exec_lo, s5
	v_mov_b32_e32 v4, 0
	s_and_saveexec_b32 s5, s4
	s_cbranch_execnz .LBB51_716
	s_branch .LBB51_717
.LBB51_835:
	s_mov_b32 s84, -1
	s_mov_b32 s2, 0
.LBB51_836:
                                        ; implicit-def: $vgpr40
.LBB51_837:
	s_and_b32 vcc_lo, exec_lo, s3
	s_cbranch_vccz .LBB51_841
; %bb.838:
	s_cmp_eq_u32 s1, 44
	s_cbranch_scc0 .LBB51_840
; %bb.839:
	global_load_u8 v1, v[2:3], off
	s_mov_b32 s84, 0
	s_mov_b32 s2, -1
	s_wait_loadcnt 0x0
	v_lshlrev_b32_e32 v4, 23, v1
	v_cmp_ne_u32_e32 vcc_lo, 0xff, v1
	s_delay_alu instid0(VALU_DEP_2) | instskip(SKIP_1) | instid1(VALU_DEP_2)
	v_cndmask_b32_e32 v4, 0x7f800001, v4, vcc_lo
	v_cmp_ne_u32_e32 vcc_lo, 0, v1
	v_cndmask_b32_e32 v40, 0x400000, v4, vcc_lo
	s_branch .LBB51_841
.LBB51_840:
	s_mov_b32 s84, -1
                                        ; implicit-def: $vgpr40
.LBB51_841:
	s_mov_b32 s3, 0
.LBB51_842:
	s_delay_alu instid0(SALU_CYCLE_1)
	s_and_b32 vcc_lo, exec_lo, s3
	s_cbranch_vccz .LBB51_846
; %bb.843:
	s_cmp_eq_u32 s1, 29
	s_cbranch_scc0 .LBB51_845
; %bb.844:
	global_load_b64 v[4:5], v[2:3], off
	s_mov_b32 s2, -1
	s_mov_b32 s84, 0
	s_mov_b32 s3, 0
	s_wait_loadcnt 0x0
	v_clz_i32_u32_e32 v1, v5
	s_delay_alu instid0(VALU_DEP_1) | instskip(NEXT) | instid1(VALU_DEP_1)
	v_min_u32_e32 v1, 32, v1
	v_lshlrev_b64_e32 v[4:5], v1, v[4:5]
	v_sub_nc_u32_e32 v1, 32, v1
	s_delay_alu instid0(VALU_DEP_2) | instskip(NEXT) | instid1(VALU_DEP_1)
	v_min_u32_e32 v4, 1, v4
	v_or_b32_e32 v4, v5, v4
	s_delay_alu instid0(VALU_DEP_1) | instskip(NEXT) | instid1(VALU_DEP_1)
	v_cvt_f32_u32_e32 v4, v4
	v_ldexp_f32 v40, v4, v1
	s_branch .LBB51_847
.LBB51_845:
	s_mov_b32 s84, -1
                                        ; implicit-def: $vgpr40
.LBB51_846:
	s_mov_b32 s3, 0
.LBB51_847:
	s_delay_alu instid0(SALU_CYCLE_1)
	s_and_b32 vcc_lo, exec_lo, s3
	s_cbranch_vccz .LBB51_865
; %bb.848:
	s_cmp_lt_i32 s1, 27
	s_cbranch_scc1 .LBB51_851
; %bb.849:
	s_cmp_gt_i32 s1, 27
	s_cbranch_scc0 .LBB51_852
; %bb.850:
	global_load_b32 v1, v[2:3], off
	s_mov_b32 s2, 0
	s_wait_loadcnt 0x0
	v_cvt_f32_u32_e32 v40, v1
	s_branch .LBB51_853
.LBB51_851:
	s_mov_b32 s2, -1
                                        ; implicit-def: $vgpr40
	s_branch .LBB51_856
.LBB51_852:
	s_mov_b32 s2, -1
                                        ; implicit-def: $vgpr40
.LBB51_853:
	s_delay_alu instid0(SALU_CYCLE_1)
	s_and_not1_b32 vcc_lo, exec_lo, s2
	s_cbranch_vccnz .LBB51_855
; %bb.854:
	global_load_u16 v1, v[2:3], off
	s_wait_loadcnt 0x0
	v_cvt_f32_u32_e32 v40, v1
.LBB51_855:
	s_mov_b32 s2, 0
.LBB51_856:
	s_delay_alu instid0(SALU_CYCLE_1)
	s_and_not1_b32 vcc_lo, exec_lo, s2
	s_cbranch_vccnz .LBB51_864
; %bb.857:
	global_load_u8 v1, v[2:3], off
	s_mov_b32 s2, 0
	s_mov_b32 s3, exec_lo
	s_wait_loadcnt 0x0
	v_cmpx_lt_i16_e32 0x7f, v1
	s_xor_b32 s3, exec_lo, s3
	s_cbranch_execz .LBB51_878
; %bb.858:
	s_mov_b32 s2, -1
	s_mov_b32 s4, exec_lo
	v_cmpx_eq_u16_e32 0x80, v1
; %bb.859:
	s_xor_b32 s2, exec_lo, -1
; %bb.860:
	s_or_b32 exec_lo, exec_lo, s4
	s_delay_alu instid0(SALU_CYCLE_1)
	s_and_b32 s2, s2, exec_lo
	s_or_saveexec_b32 s3, s3
	v_mov_b32_e32 v40, 0x7f800001
	s_xor_b32 exec_lo, exec_lo, s3
	s_cbranch_execnz .LBB51_879
.LBB51_861:
	s_or_b32 exec_lo, exec_lo, s3
	s_and_saveexec_b32 s3, s2
	s_cbranch_execz .LBB51_863
.LBB51_862:
	v_and_b32_e32 v4, 0xffff, v1
	s_delay_alu instid0(VALU_DEP_1) | instskip(SKIP_1) | instid1(VALU_DEP_2)
	v_and_b32_e32 v5, 7, v4
	v_bfe_u32 v8, v4, 3, 4
	v_clz_i32_u32_e32 v6, v5
	s_delay_alu instid0(VALU_DEP_2) | instskip(NEXT) | instid1(VALU_DEP_2)
	v_cmp_eq_u32_e32 vcc_lo, 0, v8
	v_min_u32_e32 v6, 32, v6
	s_delay_alu instid0(VALU_DEP_1) | instskip(NEXT) | instid1(VALU_DEP_1)
	v_subrev_nc_u32_e32 v7, 28, v6
	v_dual_lshlrev_b32 v4, v7, v4 :: v_dual_sub_nc_u32 v6, 29, v6
	s_delay_alu instid0(VALU_DEP_1) | instskip(NEXT) | instid1(VALU_DEP_1)
	v_dual_lshlrev_b32 v1, 24, v1 :: v_dual_bitop2_b32 v4, 7, v4 bitop3:0x40
	v_dual_cndmask_b32 v6, v8, v6, vcc_lo :: v_dual_cndmask_b32 v4, v5, v4, vcc_lo
	s_delay_alu instid0(VALU_DEP_2) | instskip(NEXT) | instid1(VALU_DEP_2)
	v_and_b32_e32 v1, 0x80000000, v1
	v_lshl_add_u32 v5, v6, 23, 0x3b800000
	s_delay_alu instid0(VALU_DEP_3) | instskip(NEXT) | instid1(VALU_DEP_1)
	v_lshlrev_b32_e32 v4, 20, v4
	v_or3_b32 v40, v1, v5, v4
.LBB51_863:
	s_or_b32 exec_lo, exec_lo, s3
.LBB51_864:
	s_mov_b32 s2, -1
.LBB51_865:
	s_mov_b32 s3, 0
.LBB51_866:
	s_delay_alu instid0(SALU_CYCLE_1)
	s_and_b32 vcc_lo, exec_lo, s3
	s_cbranch_vccz .LBB51_901
; %bb.867:
	s_cmp_gt_i32 s1, 22
	s_cbranch_scc0 .LBB51_877
; %bb.868:
	s_cmp_lt_i32 s1, 24
	s_cbranch_scc1 .LBB51_880
; %bb.869:
	s_cmp_gt_i32 s1, 24
	s_cbranch_scc0 .LBB51_881
; %bb.870:
	global_load_u8 v1, v[2:3], off
	s_mov_b32 s2, 0
	s_mov_b32 s3, exec_lo
	s_wait_loadcnt 0x0
	v_cmpx_lt_i16_e32 0x7f, v1
	s_xor_b32 s3, exec_lo, s3
	s_cbranch_execz .LBB51_893
; %bb.871:
	s_mov_b32 s2, -1
	s_mov_b32 s4, exec_lo
	v_cmpx_eq_u16_e32 0x80, v1
; %bb.872:
	s_xor_b32 s2, exec_lo, -1
; %bb.873:
	s_or_b32 exec_lo, exec_lo, s4
	s_delay_alu instid0(SALU_CYCLE_1)
	s_and_b32 s2, s2, exec_lo
	s_or_saveexec_b32 s3, s3
	v_mov_b32_e32 v40, 0x7f800001
	s_xor_b32 exec_lo, exec_lo, s3
	s_cbranch_execnz .LBB51_894
.LBB51_874:
	s_or_b32 exec_lo, exec_lo, s3
	s_and_saveexec_b32 s3, s2
	s_cbranch_execz .LBB51_876
.LBB51_875:
	v_and_b32_e32 v4, 0xffff, v1
	s_delay_alu instid0(VALU_DEP_1) | instskip(SKIP_1) | instid1(VALU_DEP_2)
	v_and_b32_e32 v5, 3, v4
	v_bfe_u32 v8, v4, 2, 5
	v_clz_i32_u32_e32 v6, v5
	s_delay_alu instid0(VALU_DEP_2) | instskip(NEXT) | instid1(VALU_DEP_2)
	v_cmp_eq_u32_e32 vcc_lo, 0, v8
	v_min_u32_e32 v6, 32, v6
	s_delay_alu instid0(VALU_DEP_1) | instskip(NEXT) | instid1(VALU_DEP_1)
	v_subrev_nc_u32_e32 v7, 29, v6
	v_dual_lshlrev_b32 v4, v7, v4 :: v_dual_sub_nc_u32 v6, 30, v6
	s_delay_alu instid0(VALU_DEP_1) | instskip(NEXT) | instid1(VALU_DEP_1)
	v_dual_lshlrev_b32 v1, 24, v1 :: v_dual_bitop2_b32 v4, 3, v4 bitop3:0x40
	v_dual_cndmask_b32 v6, v8, v6, vcc_lo :: v_dual_cndmask_b32 v4, v5, v4, vcc_lo
	s_delay_alu instid0(VALU_DEP_2) | instskip(NEXT) | instid1(VALU_DEP_2)
	v_and_b32_e32 v1, 0x80000000, v1
	v_lshl_add_u32 v5, v6, 23, 0x37800000
	s_delay_alu instid0(VALU_DEP_3) | instskip(NEXT) | instid1(VALU_DEP_1)
	v_lshlrev_b32_e32 v4, 21, v4
	v_or3_b32 v40, v1, v5, v4
.LBB51_876:
	s_or_b32 exec_lo, exec_lo, s3
	s_mov_b32 s2, 0
	s_branch .LBB51_882
.LBB51_877:
	s_mov_b32 s3, -1
                                        ; implicit-def: $vgpr40
	s_branch .LBB51_888
.LBB51_878:
	s_or_saveexec_b32 s3, s3
	v_mov_b32_e32 v40, 0x7f800001
	s_xor_b32 exec_lo, exec_lo, s3
	s_cbranch_execz .LBB51_861
.LBB51_879:
	v_cmp_ne_u16_e32 vcc_lo, 0, v1
	v_mov_b32_e32 v40, 0
	s_and_not1_b32 s2, s2, exec_lo
	s_and_b32 s4, vcc_lo, exec_lo
	s_delay_alu instid0(SALU_CYCLE_1)
	s_or_b32 s2, s2, s4
	s_or_b32 exec_lo, exec_lo, s3
	s_and_saveexec_b32 s3, s2
	s_cbranch_execnz .LBB51_862
	s_branch .LBB51_863
.LBB51_880:
	s_mov_b32 s2, -1
                                        ; implicit-def: $vgpr40
	s_branch .LBB51_885
.LBB51_881:
	s_mov_b32 s2, -1
                                        ; implicit-def: $vgpr40
.LBB51_882:
	s_delay_alu instid0(SALU_CYCLE_1)
	s_and_b32 vcc_lo, exec_lo, s2
	s_cbranch_vccz .LBB51_884
; %bb.883:
	global_load_u8 v1, v[2:3], off
	s_wait_loadcnt 0x0
	v_lshlrev_b32_e32 v1, 24, v1
	s_delay_alu instid0(VALU_DEP_1) | instskip(NEXT) | instid1(VALU_DEP_1)
	v_and_b32_e32 v4, 0x7f000000, v1
	v_clz_i32_u32_e32 v5, v4
	v_cmp_ne_u32_e32 vcc_lo, 0, v4
	v_add_nc_u32_e32 v7, 0x1000000, v4
	s_delay_alu instid0(VALU_DEP_3) | instskip(NEXT) | instid1(VALU_DEP_1)
	v_min_u32_e32 v5, 32, v5
	v_sub_nc_u32_e64 v5, v5, 4 clamp
	s_delay_alu instid0(VALU_DEP_1) | instskip(NEXT) | instid1(VALU_DEP_1)
	v_dual_lshlrev_b32 v6, v5, v4 :: v_dual_lshlrev_b32 v5, 23, v5
	v_lshrrev_b32_e32 v6, 4, v6
	s_delay_alu instid0(VALU_DEP_1) | instskip(NEXT) | instid1(VALU_DEP_1)
	v_dual_sub_nc_u32 v5, v6, v5 :: v_dual_ashrrev_i32 v6, 8, v7
	v_add_nc_u32_e32 v5, 0x3c000000, v5
	s_delay_alu instid0(VALU_DEP_1) | instskip(NEXT) | instid1(VALU_DEP_1)
	v_and_or_b32 v5, 0x7f800000, v6, v5
	v_cndmask_b32_e32 v4, 0, v5, vcc_lo
	s_delay_alu instid0(VALU_DEP_1)
	v_and_or_b32 v40, 0x80000000, v1, v4
.LBB51_884:
	s_mov_b32 s2, 0
.LBB51_885:
	s_delay_alu instid0(SALU_CYCLE_1)
	s_and_not1_b32 vcc_lo, exec_lo, s2
	s_cbranch_vccnz .LBB51_887
; %bb.886:
	global_load_u8 v1, v[2:3], off
	s_wait_loadcnt 0x0
	v_lshlrev_b32_e32 v4, 25, v1
	v_lshlrev_b16 v1, 8, v1
	s_delay_alu instid0(VALU_DEP_1) | instskip(SKIP_1) | instid1(VALU_DEP_2)
	v_and_or_b32 v6, 0x7f00, v1, 0.5
	v_bfe_i32 v1, v1, 0, 16
	v_dual_add_f32 v6, -0.5, v6 :: v_dual_lshrrev_b32 v5, 4, v4
	v_cmp_gt_u32_e32 vcc_lo, 0x8000000, v4
	s_delay_alu instid0(VALU_DEP_2) | instskip(NEXT) | instid1(VALU_DEP_1)
	v_or_b32_e32 v5, 0x70000000, v5
	v_mul_f32_e32 v5, 0x7800000, v5
	s_delay_alu instid0(VALU_DEP_1) | instskip(NEXT) | instid1(VALU_DEP_1)
	v_cndmask_b32_e32 v4, v5, v6, vcc_lo
	v_and_or_b32 v40, 0x80000000, v1, v4
.LBB51_887:
	s_mov_b32 s3, 0
	s_mov_b32 s2, -1
.LBB51_888:
	s_and_not1_b32 vcc_lo, exec_lo, s3
	s_cbranch_vccnz .LBB51_901
; %bb.889:
	s_cmp_gt_i32 s1, 14
	s_cbranch_scc0 .LBB51_892
; %bb.890:
	s_cmp_eq_u32 s1, 15
	s_cbranch_scc0 .LBB51_895
; %bb.891:
	global_load_u16 v1, v[2:3], off
	s_mov_b32 s2, -1
	s_mov_b32 s84, 0
	s_wait_loadcnt 0x0
	v_lshlrev_b32_e32 v40, 16, v1
	s_branch .LBB51_896
.LBB51_892:
	s_mov_b32 s3, -1
                                        ; implicit-def: $vgpr40
	s_branch .LBB51_897
.LBB51_893:
	s_or_saveexec_b32 s3, s3
	v_mov_b32_e32 v40, 0x7f800001
	s_xor_b32 exec_lo, exec_lo, s3
	s_cbranch_execz .LBB51_874
.LBB51_894:
	v_cmp_ne_u16_e32 vcc_lo, 0, v1
	v_mov_b32_e32 v40, 0
	s_and_not1_b32 s2, s2, exec_lo
	s_and_b32 s4, vcc_lo, exec_lo
	s_delay_alu instid0(SALU_CYCLE_1)
	s_or_b32 s2, s2, s4
	s_or_b32 exec_lo, exec_lo, s3
	s_and_saveexec_b32 s3, s2
	s_cbranch_execnz .LBB51_875
	s_branch .LBB51_876
.LBB51_895:
	s_mov_b32 s84, -1
                                        ; implicit-def: $vgpr40
.LBB51_896:
	s_mov_b32 s3, 0
.LBB51_897:
	s_delay_alu instid0(SALU_CYCLE_1)
	s_and_b32 vcc_lo, exec_lo, s3
	s_cbranch_vccz .LBB51_901
; %bb.898:
	s_cmp_eq_u32 s1, 11
	s_cbranch_scc0 .LBB51_900
; %bb.899:
	global_load_u8 v1, v[2:3], off
	s_mov_b32 s84, 0
	s_mov_b32 s2, -1
	s_wait_loadcnt 0x0
	v_cmp_ne_u16_e32 vcc_lo, 0, v1
	v_cndmask_b32_e64 v40, 0, 1.0, vcc_lo
	s_branch .LBB51_901
.LBB51_900:
	s_mov_b32 s84, -1
                                        ; implicit-def: $vgpr40
.LBB51_901:
	s_mov_b32 s1, 0
.LBB51_902:
	s_delay_alu instid0(SALU_CYCLE_1)
	s_and_b32 vcc_lo, exec_lo, s1
	s_cbranch_vccz .LBB51_951
; %bb.903:
	s_and_b32 s0, 0xffff, s0
	s_delay_alu instid0(SALU_CYCLE_1)
	s_cmp_lt_i32 s0, 5
	s_cbranch_scc1 .LBB51_908
; %bb.904:
	s_cmp_lt_i32 s0, 8
	s_cbranch_scc1 .LBB51_909
; %bb.905:
	;; [unrolled: 3-line block ×3, first 2 shown]
	s_cmp_gt_i32 s0, 9
	s_cbranch_scc0 .LBB51_911
; %bb.907:
	global_load_b64 v[4:5], v[2:3], off
	s_mov_b32 s1, 0
	s_wait_loadcnt 0x0
	v_cvt_f32_f64_e32 v40, v[4:5]
	s_branch .LBB51_912
.LBB51_908:
	s_mov_b32 s1, -1
                                        ; implicit-def: $vgpr40
	s_branch .LBB51_930
.LBB51_909:
	s_mov_b32 s1, -1
                                        ; implicit-def: $vgpr40
	s_branch .LBB51_918
.LBB51_910:
	s_mov_b32 s1, -1
                                        ; implicit-def: $vgpr40
	s_branch .LBB51_915
.LBB51_911:
	s_mov_b32 s1, -1
                                        ; implicit-def: $vgpr40
.LBB51_912:
	s_delay_alu instid0(SALU_CYCLE_1)
	s_and_not1_b32 vcc_lo, exec_lo, s1
	s_cbranch_vccnz .LBB51_914
; %bb.913:
	s_wait_loadcnt 0x0
	global_load_b32 v40, v[2:3], off
.LBB51_914:
	s_mov_b32 s1, 0
.LBB51_915:
	s_delay_alu instid0(SALU_CYCLE_1)
	s_and_not1_b32 vcc_lo, exec_lo, s1
	s_cbranch_vccnz .LBB51_917
; %bb.916:
	global_load_b32 v1, v[2:3], off
	s_wait_loadcnt 0x0
	v_cvt_f32_f16_e32 v40, v1
.LBB51_917:
	s_mov_b32 s1, 0
.LBB51_918:
	s_delay_alu instid0(SALU_CYCLE_1)
	s_and_not1_b32 vcc_lo, exec_lo, s1
	s_cbranch_vccnz .LBB51_929
; %bb.919:
	s_cmp_lt_i32 s0, 6
	s_cbranch_scc1 .LBB51_922
; %bb.920:
	s_cmp_gt_i32 s0, 6
	s_cbranch_scc0 .LBB51_923
; %bb.921:
	global_load_b64 v[4:5], v[2:3], off
	s_mov_b32 s1, 0
	s_wait_loadcnt 0x0
	v_cvt_f32_f64_e32 v40, v[4:5]
	s_branch .LBB51_924
.LBB51_922:
	s_mov_b32 s1, -1
                                        ; implicit-def: $vgpr40
	s_branch .LBB51_927
.LBB51_923:
	s_mov_b32 s1, -1
                                        ; implicit-def: $vgpr40
.LBB51_924:
	s_delay_alu instid0(SALU_CYCLE_1)
	s_and_not1_b32 vcc_lo, exec_lo, s1
	s_cbranch_vccnz .LBB51_926
; %bb.925:
	s_wait_loadcnt 0x0
	global_load_b32 v40, v[2:3], off
.LBB51_926:
	s_mov_b32 s1, 0
.LBB51_927:
	s_delay_alu instid0(SALU_CYCLE_1)
	s_and_not1_b32 vcc_lo, exec_lo, s1
	s_cbranch_vccnz .LBB51_929
; %bb.928:
	global_load_u16 v1, v[2:3], off
	s_wait_loadcnt 0x0
	v_cvt_f32_f16_e32 v40, v1
.LBB51_929:
	s_mov_b32 s1, 0
.LBB51_930:
	s_delay_alu instid0(SALU_CYCLE_1)
	s_and_not1_b32 vcc_lo, exec_lo, s1
	s_cbranch_vccnz .LBB51_950
; %bb.931:
	s_cmp_lt_i32 s0, 2
	s_cbranch_scc1 .LBB51_935
; %bb.932:
	s_cmp_lt_i32 s0, 3
	s_cbranch_scc1 .LBB51_936
; %bb.933:
	s_cmp_gt_i32 s0, 3
	s_cbranch_scc0 .LBB51_937
; %bb.934:
	global_load_b64 v[4:5], v[2:3], off
	s_mov_b32 s1, 0
	s_wait_loadcnt 0x0
	v_xor_b32_e32 v1, v4, v5
	v_cls_i32_e32 v6, v5
	s_delay_alu instid0(VALU_DEP_2) | instskip(NEXT) | instid1(VALU_DEP_1)
	v_ashrrev_i32_e32 v1, 31, v1
	v_add_nc_u32_e32 v1, 32, v1
	s_delay_alu instid0(VALU_DEP_1) | instskip(NEXT) | instid1(VALU_DEP_1)
	v_add_min_u32_e64 v1, v6, -1, v1
	v_lshlrev_b64_e32 v[4:5], v1, v[4:5]
	v_sub_nc_u32_e32 v1, 32, v1
	s_delay_alu instid0(VALU_DEP_2) | instskip(NEXT) | instid1(VALU_DEP_1)
	v_min_u32_e32 v4, 1, v4
	v_or_b32_e32 v4, v5, v4
	s_delay_alu instid0(VALU_DEP_1) | instskip(NEXT) | instid1(VALU_DEP_1)
	v_cvt_f32_i32_e32 v4, v4
	v_ldexp_f32 v40, v4, v1
	s_branch .LBB51_938
.LBB51_935:
	s_mov_b32 s1, -1
                                        ; implicit-def: $vgpr40
	s_branch .LBB51_944
.LBB51_936:
	s_mov_b32 s1, -1
                                        ; implicit-def: $vgpr40
	s_branch .LBB51_941
.LBB51_937:
	s_mov_b32 s1, -1
                                        ; implicit-def: $vgpr40
.LBB51_938:
	s_delay_alu instid0(SALU_CYCLE_1)
	s_and_not1_b32 vcc_lo, exec_lo, s1
	s_cbranch_vccnz .LBB51_940
; %bb.939:
	global_load_b32 v1, v[2:3], off
	s_wait_loadcnt 0x0
	v_cvt_f32_i32_e32 v40, v1
.LBB51_940:
	s_mov_b32 s1, 0
.LBB51_941:
	s_delay_alu instid0(SALU_CYCLE_1)
	s_and_not1_b32 vcc_lo, exec_lo, s1
	s_cbranch_vccnz .LBB51_943
; %bb.942:
	global_load_i16 v1, v[2:3], off
	s_wait_loadcnt 0x0
	v_cvt_f32_i32_e32 v40, v1
.LBB51_943:
	s_mov_b32 s1, 0
.LBB51_944:
	s_delay_alu instid0(SALU_CYCLE_1)
	s_and_not1_b32 vcc_lo, exec_lo, s1
	s_cbranch_vccnz .LBB51_950
; %bb.945:
	s_cmp_gt_i32 s0, 0
	s_mov_b32 s0, 0
	s_cbranch_scc0 .LBB51_947
; %bb.946:
	global_load_i8 v1, v[2:3], off
	s_wait_loadcnt 0x0
	v_cvt_f32_i32_e32 v40, v1
	s_branch .LBB51_948
.LBB51_947:
	s_mov_b32 s0, -1
                                        ; implicit-def: $vgpr40
.LBB51_948:
	s_delay_alu instid0(SALU_CYCLE_1)
	s_and_not1_b32 vcc_lo, exec_lo, s0
	s_cbranch_vccnz .LBB51_950
; %bb.949:
	global_load_u8 v1, v[2:3], off
	s_wait_loadcnt 0x0
	v_cvt_f32_ubyte0_e32 v40, v1
.LBB51_950:
	s_mov_b32 s2, -1
.LBB51_951:
	s_delay_alu instid0(SALU_CYCLE_1)
	s_and_not1_b32 vcc_lo, exec_lo, s2
	s_cbranch_vccnz .LBB51_959
; %bb.952:
	v_mov_b32_e32 v1, 0
	s_and_b32 s0, 0xffff, s70
	s_delay_alu instid0(SALU_CYCLE_1) | instskip(NEXT) | instid1(VALU_DEP_1)
	s_cmp_lt_i32 s0, 11
	v_add_nc_u64_e32 v[0:1], s[56:57], v[0:1]
	s_cbranch_scc1 .LBB51_960
; %bb.953:
	s_cmp_gt_i32 s0, 25
	s_cbranch_scc0 .LBB51_961
; %bb.954:
	s_cmp_gt_i32 s0, 28
	s_cbranch_scc0 .LBB51_962
	;; [unrolled: 3-line block ×4, first 2 shown]
; %bb.957:
	s_cmp_eq_u32 s0, 46
	s_mov_b32 s2, 0
	s_cbranch_scc0 .LBB51_967
; %bb.958:
	global_load_b32 v2, v[0:1], off
	s_mov_b32 s1, -1
	s_mov_b32 s85, 0
	s_wait_loadcnt 0x0
	v_lshlrev_b32_e32 v42, 16, v2
	s_branch .LBB51_969
.LBB51_959:
	s_mov_b32 s1, 0
	s_mov_b32 s0, s80
	s_mov_b32 s85, s81
	s_branch .LBB51_1213
.LBB51_960:
	s_mov_b32 s2, -1
	s_mov_b32 s1, 0
	s_mov_b32 s85, s81
                                        ; implicit-def: $vgpr42
	s_branch .LBB51_1034
.LBB51_961:
	s_mov_b32 s2, -1
	s_mov_b32 s1, 0
	s_mov_b32 s85, s81
                                        ; implicit-def: $vgpr42
	s_branch .LBB51_998
.LBB51_962:
	s_mov_b32 s2, -1
	s_mov_b32 s1, 0
	s_mov_b32 s85, s81
                                        ; implicit-def: $vgpr42
	s_branch .LBB51_979
.LBB51_963:
	s_mov_b32 s2, -1
	s_mov_b32 s1, 0
	s_mov_b32 s85, s81
                                        ; implicit-def: $vgpr42
	s_branch .LBB51_974
.LBB51_964:
	s_mov_b32 s2, -1
	s_mov_b32 s1, 0
	s_mov_b32 s85, s81
	s_branch .LBB51_968
.LBB51_965:
	s_and_not1_saveexec_b32 s5, s5
	s_cbranch_execz .LBB51_728
.LBB51_966:
	v_add_f32_e64 v1, 0x42800000, |v0|
	s_and_not1_b32 s4, s4, exec_lo
	s_delay_alu instid0(VALU_DEP_1) | instskip(NEXT) | instid1(VALU_DEP_1)
	v_and_b32_e32 v1, 0xff, v1
	v_cmp_ne_u32_e32 vcc_lo, 0, v1
	s_and_b32 s6, vcc_lo, exec_lo
	s_delay_alu instid0(SALU_CYCLE_1)
	s_or_b32 s4, s4, s6
	s_or_b32 exec_lo, exec_lo, s5
	v_mov_b32_e32 v4, 0
	s_and_saveexec_b32 s5, s4
	s_cbranch_execnz .LBB51_729
	s_branch .LBB51_730
.LBB51_967:
	s_mov_b32 s85, -1
	s_mov_b32 s1, 0
.LBB51_968:
                                        ; implicit-def: $vgpr42
.LBB51_969:
	s_and_b32 vcc_lo, exec_lo, s2
	s_cbranch_vccz .LBB51_973
; %bb.970:
	s_cmp_eq_u32 s0, 44
	s_cbranch_scc0 .LBB51_972
; %bb.971:
	global_load_u8 v2, v[0:1], off
	s_mov_b32 s85, 0
	s_mov_b32 s1, -1
	s_wait_loadcnt 0x0
	v_lshlrev_b32_e32 v3, 23, v2
	v_cmp_ne_u32_e32 vcc_lo, 0xff, v2
	s_delay_alu instid0(VALU_DEP_2) | instskip(SKIP_1) | instid1(VALU_DEP_2)
	v_cndmask_b32_e32 v3, 0x7f800001, v3, vcc_lo
	v_cmp_ne_u32_e32 vcc_lo, 0, v2
	v_cndmask_b32_e32 v42, 0x400000, v3, vcc_lo
	s_branch .LBB51_973
.LBB51_972:
	s_mov_b32 s85, -1
                                        ; implicit-def: $vgpr42
.LBB51_973:
	s_mov_b32 s2, 0
.LBB51_974:
	s_delay_alu instid0(SALU_CYCLE_1)
	s_and_b32 vcc_lo, exec_lo, s2
	s_cbranch_vccz .LBB51_978
; %bb.975:
	s_cmp_eq_u32 s0, 29
	s_cbranch_scc0 .LBB51_977
; %bb.976:
	global_load_b64 v[2:3], v[0:1], off
	s_mov_b32 s1, -1
	s_mov_b32 s85, 0
	s_mov_b32 s2, 0
	s_wait_loadcnt 0x0
	v_clz_i32_u32_e32 v4, v3
	s_delay_alu instid0(VALU_DEP_1) | instskip(NEXT) | instid1(VALU_DEP_1)
	v_min_u32_e32 v4, 32, v4
	v_lshlrev_b64_e32 v[2:3], v4, v[2:3]
	s_delay_alu instid0(VALU_DEP_1) | instskip(NEXT) | instid1(VALU_DEP_1)
	v_min_u32_e32 v2, 1, v2
	v_dual_sub_nc_u32 v3, 32, v4 :: v_dual_bitop2_b32 v2, v3, v2 bitop3:0x54
	s_delay_alu instid0(VALU_DEP_1) | instskip(NEXT) | instid1(VALU_DEP_1)
	v_cvt_f32_u32_e32 v2, v2
	v_ldexp_f32 v42, v2, v3
	s_branch .LBB51_979
.LBB51_977:
	s_mov_b32 s85, -1
                                        ; implicit-def: $vgpr42
.LBB51_978:
	s_mov_b32 s2, 0
.LBB51_979:
	s_delay_alu instid0(SALU_CYCLE_1)
	s_and_b32 vcc_lo, exec_lo, s2
	s_cbranch_vccz .LBB51_997
; %bb.980:
	s_cmp_lt_i32 s0, 27
	s_cbranch_scc1 .LBB51_983
; %bb.981:
	s_cmp_gt_i32 s0, 27
	s_cbranch_scc0 .LBB51_984
; %bb.982:
	global_load_b32 v2, v[0:1], off
	s_mov_b32 s1, 0
	s_wait_loadcnt 0x0
	v_cvt_f32_u32_e32 v42, v2
	s_branch .LBB51_985
.LBB51_983:
	s_mov_b32 s1, -1
                                        ; implicit-def: $vgpr42
	s_branch .LBB51_988
.LBB51_984:
	s_mov_b32 s1, -1
                                        ; implicit-def: $vgpr42
.LBB51_985:
	s_delay_alu instid0(SALU_CYCLE_1)
	s_and_not1_b32 vcc_lo, exec_lo, s1
	s_cbranch_vccnz .LBB51_987
; %bb.986:
	global_load_u16 v2, v[0:1], off
	s_wait_loadcnt 0x0
	v_cvt_f32_u32_e32 v42, v2
.LBB51_987:
	s_mov_b32 s1, 0
.LBB51_988:
	s_delay_alu instid0(SALU_CYCLE_1)
	s_and_not1_b32 vcc_lo, exec_lo, s1
	s_cbranch_vccnz .LBB51_996
; %bb.989:
	global_load_u8 v2, v[0:1], off
	s_mov_b32 s1, 0
	s_mov_b32 s2, exec_lo
	s_wait_loadcnt 0x0
	v_cmpx_lt_i16_e32 0x7f, v2
	s_xor_b32 s2, exec_lo, s2
	s_cbranch_execz .LBB51_1010
; %bb.990:
	s_mov_b32 s1, -1
	s_mov_b32 s3, exec_lo
	v_cmpx_eq_u16_e32 0x80, v2
; %bb.991:
	s_xor_b32 s1, exec_lo, -1
; %bb.992:
	s_or_b32 exec_lo, exec_lo, s3
	s_delay_alu instid0(SALU_CYCLE_1)
	s_and_b32 s1, s1, exec_lo
	s_or_saveexec_b32 s2, s2
	v_mov_b32_e32 v42, 0x7f800001
	s_xor_b32 exec_lo, exec_lo, s2
	s_cbranch_execnz .LBB51_1011
.LBB51_993:
	s_or_b32 exec_lo, exec_lo, s2
	s_and_saveexec_b32 s2, s1
	s_cbranch_execz .LBB51_995
.LBB51_994:
	v_and_b32_e32 v3, 0xffff, v2
	s_delay_alu instid0(VALU_DEP_1) | instskip(SKIP_1) | instid1(VALU_DEP_2)
	v_and_b32_e32 v4, 7, v3
	v_bfe_u32 v7, v3, 3, 4
	v_clz_i32_u32_e32 v5, v4
	s_delay_alu instid0(VALU_DEP_2) | instskip(NEXT) | instid1(VALU_DEP_2)
	v_cmp_eq_u32_e32 vcc_lo, 0, v7
	v_min_u32_e32 v5, 32, v5
	s_delay_alu instid0(VALU_DEP_1) | instskip(NEXT) | instid1(VALU_DEP_1)
	v_subrev_nc_u32_e32 v6, 28, v5
	v_dual_lshlrev_b32 v3, v6, v3 :: v_dual_sub_nc_u32 v5, 29, v5
	s_delay_alu instid0(VALU_DEP_1) | instskip(NEXT) | instid1(VALU_DEP_1)
	v_dual_lshlrev_b32 v2, 24, v2 :: v_dual_bitop2_b32 v3, 7, v3 bitop3:0x40
	v_dual_cndmask_b32 v5, v7, v5, vcc_lo :: v_dual_cndmask_b32 v3, v4, v3, vcc_lo
	s_delay_alu instid0(VALU_DEP_2) | instskip(NEXT) | instid1(VALU_DEP_2)
	v_and_b32_e32 v2, 0x80000000, v2
	v_lshl_add_u32 v4, v5, 23, 0x3b800000
	s_delay_alu instid0(VALU_DEP_3) | instskip(NEXT) | instid1(VALU_DEP_1)
	v_lshlrev_b32_e32 v3, 20, v3
	v_or3_b32 v42, v2, v4, v3
.LBB51_995:
	s_or_b32 exec_lo, exec_lo, s2
.LBB51_996:
	s_mov_b32 s1, -1
.LBB51_997:
	s_mov_b32 s2, 0
.LBB51_998:
	s_delay_alu instid0(SALU_CYCLE_1)
	s_and_b32 vcc_lo, exec_lo, s2
	s_cbranch_vccz .LBB51_1033
; %bb.999:
	s_cmp_gt_i32 s0, 22
	s_cbranch_scc0 .LBB51_1009
; %bb.1000:
	s_cmp_lt_i32 s0, 24
	s_cbranch_scc1 .LBB51_1012
; %bb.1001:
	s_cmp_gt_i32 s0, 24
	s_cbranch_scc0 .LBB51_1013
; %bb.1002:
	global_load_u8 v2, v[0:1], off
	s_mov_b32 s1, 0
	s_mov_b32 s2, exec_lo
	s_wait_loadcnt 0x0
	v_cmpx_lt_i16_e32 0x7f, v2
	s_xor_b32 s2, exec_lo, s2
	s_cbranch_execz .LBB51_1025
; %bb.1003:
	s_mov_b32 s1, -1
	s_mov_b32 s3, exec_lo
	v_cmpx_eq_u16_e32 0x80, v2
; %bb.1004:
	s_xor_b32 s1, exec_lo, -1
; %bb.1005:
	s_or_b32 exec_lo, exec_lo, s3
	s_delay_alu instid0(SALU_CYCLE_1)
	s_and_b32 s1, s1, exec_lo
	s_or_saveexec_b32 s2, s2
	v_mov_b32_e32 v42, 0x7f800001
	s_xor_b32 exec_lo, exec_lo, s2
	s_cbranch_execnz .LBB51_1026
.LBB51_1006:
	s_or_b32 exec_lo, exec_lo, s2
	s_and_saveexec_b32 s2, s1
	s_cbranch_execz .LBB51_1008
.LBB51_1007:
	v_and_b32_e32 v3, 0xffff, v2
	s_delay_alu instid0(VALU_DEP_1) | instskip(SKIP_1) | instid1(VALU_DEP_2)
	v_and_b32_e32 v4, 3, v3
	v_bfe_u32 v7, v3, 2, 5
	v_clz_i32_u32_e32 v5, v4
	s_delay_alu instid0(VALU_DEP_2) | instskip(NEXT) | instid1(VALU_DEP_2)
	v_cmp_eq_u32_e32 vcc_lo, 0, v7
	v_min_u32_e32 v5, 32, v5
	s_delay_alu instid0(VALU_DEP_1) | instskip(NEXT) | instid1(VALU_DEP_1)
	v_subrev_nc_u32_e32 v6, 29, v5
	v_dual_lshlrev_b32 v3, v6, v3 :: v_dual_sub_nc_u32 v5, 30, v5
	s_delay_alu instid0(VALU_DEP_1) | instskip(NEXT) | instid1(VALU_DEP_1)
	v_dual_lshlrev_b32 v2, 24, v2 :: v_dual_bitop2_b32 v3, 3, v3 bitop3:0x40
	v_dual_cndmask_b32 v5, v7, v5, vcc_lo :: v_dual_cndmask_b32 v3, v4, v3, vcc_lo
	s_delay_alu instid0(VALU_DEP_2) | instskip(NEXT) | instid1(VALU_DEP_2)
	v_and_b32_e32 v2, 0x80000000, v2
	v_lshl_add_u32 v4, v5, 23, 0x37800000
	s_delay_alu instid0(VALU_DEP_3) | instskip(NEXT) | instid1(VALU_DEP_1)
	v_lshlrev_b32_e32 v3, 21, v3
	v_or3_b32 v42, v2, v4, v3
.LBB51_1008:
	s_or_b32 exec_lo, exec_lo, s2
	s_mov_b32 s1, 0
	s_branch .LBB51_1014
.LBB51_1009:
	s_mov_b32 s2, -1
                                        ; implicit-def: $vgpr42
	s_branch .LBB51_1020
.LBB51_1010:
	s_or_saveexec_b32 s2, s2
	v_mov_b32_e32 v42, 0x7f800001
	s_xor_b32 exec_lo, exec_lo, s2
	s_cbranch_execz .LBB51_993
.LBB51_1011:
	v_cmp_ne_u16_e32 vcc_lo, 0, v2
	v_mov_b32_e32 v42, 0
	s_and_not1_b32 s1, s1, exec_lo
	s_and_b32 s3, vcc_lo, exec_lo
	s_delay_alu instid0(SALU_CYCLE_1)
	s_or_b32 s1, s1, s3
	s_or_b32 exec_lo, exec_lo, s2
	s_and_saveexec_b32 s2, s1
	s_cbranch_execnz .LBB51_994
	s_branch .LBB51_995
.LBB51_1012:
	s_mov_b32 s1, -1
                                        ; implicit-def: $vgpr42
	s_branch .LBB51_1017
.LBB51_1013:
	s_mov_b32 s1, -1
                                        ; implicit-def: $vgpr42
.LBB51_1014:
	s_delay_alu instid0(SALU_CYCLE_1)
	s_and_b32 vcc_lo, exec_lo, s1
	s_cbranch_vccz .LBB51_1016
; %bb.1015:
	global_load_u8 v2, v[0:1], off
	s_wait_loadcnt 0x0
	v_lshlrev_b32_e32 v2, 24, v2
	s_delay_alu instid0(VALU_DEP_1) | instskip(NEXT) | instid1(VALU_DEP_1)
	v_and_b32_e32 v3, 0x7f000000, v2
	v_clz_i32_u32_e32 v4, v3
	v_cmp_ne_u32_e32 vcc_lo, 0, v3
	v_add_nc_u32_e32 v6, 0x1000000, v3
	s_delay_alu instid0(VALU_DEP_3) | instskip(NEXT) | instid1(VALU_DEP_1)
	v_min_u32_e32 v4, 32, v4
	v_sub_nc_u32_e64 v4, v4, 4 clamp
	s_delay_alu instid0(VALU_DEP_1) | instskip(NEXT) | instid1(VALU_DEP_1)
	v_dual_lshlrev_b32 v5, v4, v3 :: v_dual_lshlrev_b32 v4, 23, v4
	v_lshrrev_b32_e32 v5, 4, v5
	s_delay_alu instid0(VALU_DEP_1) | instskip(NEXT) | instid1(VALU_DEP_1)
	v_dual_sub_nc_u32 v4, v5, v4 :: v_dual_ashrrev_i32 v5, 8, v6
	v_add_nc_u32_e32 v4, 0x3c000000, v4
	s_delay_alu instid0(VALU_DEP_1) | instskip(NEXT) | instid1(VALU_DEP_1)
	v_and_or_b32 v4, 0x7f800000, v5, v4
	v_cndmask_b32_e32 v3, 0, v4, vcc_lo
	s_delay_alu instid0(VALU_DEP_1)
	v_and_or_b32 v42, 0x80000000, v2, v3
.LBB51_1016:
	s_mov_b32 s1, 0
.LBB51_1017:
	s_delay_alu instid0(SALU_CYCLE_1)
	s_and_not1_b32 vcc_lo, exec_lo, s1
	s_cbranch_vccnz .LBB51_1019
; %bb.1018:
	global_load_u8 v2, v[0:1], off
	s_wait_loadcnt 0x0
	v_lshlrev_b32_e32 v3, 25, v2
	v_lshlrev_b16 v2, 8, v2
	s_delay_alu instid0(VALU_DEP_1) | instskip(SKIP_1) | instid1(VALU_DEP_2)
	v_and_or_b32 v5, 0x7f00, v2, 0.5
	v_bfe_i32 v2, v2, 0, 16
	v_dual_add_f32 v5, -0.5, v5 :: v_dual_lshrrev_b32 v4, 4, v3
	v_cmp_gt_u32_e32 vcc_lo, 0x8000000, v3
	s_delay_alu instid0(VALU_DEP_2) | instskip(NEXT) | instid1(VALU_DEP_1)
	v_or_b32_e32 v4, 0x70000000, v4
	v_mul_f32_e32 v4, 0x7800000, v4
	s_delay_alu instid0(VALU_DEP_1) | instskip(NEXT) | instid1(VALU_DEP_1)
	v_cndmask_b32_e32 v3, v4, v5, vcc_lo
	v_and_or_b32 v42, 0x80000000, v2, v3
.LBB51_1019:
	s_mov_b32 s2, 0
	s_mov_b32 s1, -1
.LBB51_1020:
	s_and_not1_b32 vcc_lo, exec_lo, s2
	s_cbranch_vccnz .LBB51_1033
; %bb.1021:
	s_cmp_gt_i32 s0, 14
	s_cbranch_scc0 .LBB51_1024
; %bb.1022:
	s_cmp_eq_u32 s0, 15
	s_cbranch_scc0 .LBB51_1027
; %bb.1023:
	global_load_u16 v2, v[0:1], off
	s_mov_b32 s1, -1
	s_mov_b32 s85, 0
	s_wait_loadcnt 0x0
	v_lshlrev_b32_e32 v42, 16, v2
	s_branch .LBB51_1028
.LBB51_1024:
	s_mov_b32 s2, -1
                                        ; implicit-def: $vgpr42
	s_branch .LBB51_1029
.LBB51_1025:
	s_or_saveexec_b32 s2, s2
	v_mov_b32_e32 v42, 0x7f800001
	s_xor_b32 exec_lo, exec_lo, s2
	s_cbranch_execz .LBB51_1006
.LBB51_1026:
	v_cmp_ne_u16_e32 vcc_lo, 0, v2
	v_mov_b32_e32 v42, 0
	s_and_not1_b32 s1, s1, exec_lo
	s_and_b32 s3, vcc_lo, exec_lo
	s_delay_alu instid0(SALU_CYCLE_1)
	s_or_b32 s1, s1, s3
	s_or_b32 exec_lo, exec_lo, s2
	s_and_saveexec_b32 s2, s1
	s_cbranch_execnz .LBB51_1007
	s_branch .LBB51_1008
.LBB51_1027:
	s_mov_b32 s85, -1
                                        ; implicit-def: $vgpr42
.LBB51_1028:
	s_mov_b32 s2, 0
.LBB51_1029:
	s_delay_alu instid0(SALU_CYCLE_1)
	s_and_b32 vcc_lo, exec_lo, s2
	s_cbranch_vccz .LBB51_1033
; %bb.1030:
	s_cmp_eq_u32 s0, 11
	s_cbranch_scc0 .LBB51_1032
; %bb.1031:
	global_load_u8 v2, v[0:1], off
	s_mov_b32 s85, 0
	s_mov_b32 s1, -1
	s_wait_loadcnt 0x0
	v_cmp_ne_u16_e32 vcc_lo, 0, v2
	v_cndmask_b32_e64 v42, 0, 1.0, vcc_lo
	s_branch .LBB51_1033
.LBB51_1032:
	s_mov_b32 s85, -1
                                        ; implicit-def: $vgpr42
.LBB51_1033:
	s_mov_b32 s2, 0
.LBB51_1034:
	s_delay_alu instid0(SALU_CYCLE_1)
	s_and_b32 vcc_lo, exec_lo, s2
	s_cbranch_vccz .LBB51_1083
; %bb.1035:
	s_cmp_lt_i32 s0, 5
	s_cbranch_scc1 .LBB51_1040
; %bb.1036:
	s_cmp_lt_i32 s0, 8
	s_cbranch_scc1 .LBB51_1041
; %bb.1037:
	s_cmp_lt_i32 s0, 9
	s_cbranch_scc1 .LBB51_1042
; %bb.1038:
	s_cmp_gt_i32 s0, 9
	s_cbranch_scc0 .LBB51_1043
; %bb.1039:
	global_load_b64 v[2:3], v[0:1], off
	s_mov_b32 s1, 0
	s_wait_loadcnt 0x0
	v_cvt_f32_f64_e32 v42, v[2:3]
	s_branch .LBB51_1044
.LBB51_1040:
	s_mov_b32 s1, -1
                                        ; implicit-def: $vgpr42
	s_branch .LBB51_1062
.LBB51_1041:
	s_mov_b32 s1, -1
                                        ; implicit-def: $vgpr42
	s_branch .LBB51_1050
.LBB51_1042:
	s_mov_b32 s1, -1
                                        ; implicit-def: $vgpr42
	s_branch .LBB51_1047
.LBB51_1043:
	s_mov_b32 s1, -1
                                        ; implicit-def: $vgpr42
.LBB51_1044:
	s_delay_alu instid0(SALU_CYCLE_1)
	s_and_not1_b32 vcc_lo, exec_lo, s1
	s_cbranch_vccnz .LBB51_1046
; %bb.1045:
	s_wait_loadcnt 0x0
	global_load_b32 v42, v[0:1], off
.LBB51_1046:
	s_mov_b32 s1, 0
.LBB51_1047:
	s_delay_alu instid0(SALU_CYCLE_1)
	s_and_not1_b32 vcc_lo, exec_lo, s1
	s_cbranch_vccnz .LBB51_1049
; %bb.1048:
	global_load_b32 v2, v[0:1], off
	s_wait_loadcnt 0x0
	v_cvt_f32_f16_e32 v42, v2
.LBB51_1049:
	s_mov_b32 s1, 0
.LBB51_1050:
	s_delay_alu instid0(SALU_CYCLE_1)
	s_and_not1_b32 vcc_lo, exec_lo, s1
	s_cbranch_vccnz .LBB51_1061
; %bb.1051:
	s_cmp_lt_i32 s0, 6
	s_cbranch_scc1 .LBB51_1054
; %bb.1052:
	s_cmp_gt_i32 s0, 6
	s_cbranch_scc0 .LBB51_1055
; %bb.1053:
	global_load_b64 v[2:3], v[0:1], off
	s_mov_b32 s1, 0
	s_wait_loadcnt 0x0
	v_cvt_f32_f64_e32 v42, v[2:3]
	s_branch .LBB51_1056
.LBB51_1054:
	s_mov_b32 s1, -1
                                        ; implicit-def: $vgpr42
	s_branch .LBB51_1059
.LBB51_1055:
	s_mov_b32 s1, -1
                                        ; implicit-def: $vgpr42
.LBB51_1056:
	s_delay_alu instid0(SALU_CYCLE_1)
	s_and_not1_b32 vcc_lo, exec_lo, s1
	s_cbranch_vccnz .LBB51_1058
; %bb.1057:
	s_wait_loadcnt 0x0
	global_load_b32 v42, v[0:1], off
.LBB51_1058:
	s_mov_b32 s1, 0
.LBB51_1059:
	s_delay_alu instid0(SALU_CYCLE_1)
	s_and_not1_b32 vcc_lo, exec_lo, s1
	s_cbranch_vccnz .LBB51_1061
; %bb.1060:
	global_load_u16 v2, v[0:1], off
	s_wait_loadcnt 0x0
	v_cvt_f32_f16_e32 v42, v2
.LBB51_1061:
	s_mov_b32 s1, 0
.LBB51_1062:
	s_delay_alu instid0(SALU_CYCLE_1)
	s_and_not1_b32 vcc_lo, exec_lo, s1
	s_cbranch_vccnz .LBB51_1082
; %bb.1063:
	s_cmp_lt_i32 s0, 2
	s_cbranch_scc1 .LBB51_1067
; %bb.1064:
	s_cmp_lt_i32 s0, 3
	s_cbranch_scc1 .LBB51_1068
; %bb.1065:
	s_cmp_gt_i32 s0, 3
	s_cbranch_scc0 .LBB51_1069
; %bb.1066:
	global_load_b64 v[2:3], v[0:1], off
	s_mov_b32 s1, 0
	s_wait_loadcnt 0x0
	v_xor_b32_e32 v4, v2, v3
	v_cls_i32_e32 v5, v3
	s_delay_alu instid0(VALU_DEP_2) | instskip(NEXT) | instid1(VALU_DEP_1)
	v_ashrrev_i32_e32 v4, 31, v4
	v_add_nc_u32_e32 v4, 32, v4
	s_delay_alu instid0(VALU_DEP_1) | instskip(NEXT) | instid1(VALU_DEP_1)
	v_add_min_u32_e64 v4, v5, -1, v4
	v_lshlrev_b64_e32 v[2:3], v4, v[2:3]
	s_delay_alu instid0(VALU_DEP_1) | instskip(NEXT) | instid1(VALU_DEP_1)
	v_min_u32_e32 v2, 1, v2
	v_dual_sub_nc_u32 v3, 32, v4 :: v_dual_bitop2_b32 v2, v3, v2 bitop3:0x54
	s_delay_alu instid0(VALU_DEP_1) | instskip(NEXT) | instid1(VALU_DEP_1)
	v_cvt_f32_i32_e32 v2, v2
	v_ldexp_f32 v42, v2, v3
	s_branch .LBB51_1070
.LBB51_1067:
	s_mov_b32 s1, -1
                                        ; implicit-def: $vgpr42
	s_branch .LBB51_1076
.LBB51_1068:
	s_mov_b32 s1, -1
                                        ; implicit-def: $vgpr42
	s_branch .LBB51_1073
.LBB51_1069:
	s_mov_b32 s1, -1
                                        ; implicit-def: $vgpr42
.LBB51_1070:
	s_delay_alu instid0(SALU_CYCLE_1)
	s_and_not1_b32 vcc_lo, exec_lo, s1
	s_cbranch_vccnz .LBB51_1072
; %bb.1071:
	global_load_b32 v2, v[0:1], off
	s_wait_loadcnt 0x0
	v_cvt_f32_i32_e32 v42, v2
.LBB51_1072:
	s_mov_b32 s1, 0
.LBB51_1073:
	s_delay_alu instid0(SALU_CYCLE_1)
	s_and_not1_b32 vcc_lo, exec_lo, s1
	s_cbranch_vccnz .LBB51_1075
; %bb.1074:
	global_load_i16 v2, v[0:1], off
	s_wait_loadcnt 0x0
	v_cvt_f32_i32_e32 v42, v2
.LBB51_1075:
	s_mov_b32 s1, 0
.LBB51_1076:
	s_delay_alu instid0(SALU_CYCLE_1)
	s_and_not1_b32 vcc_lo, exec_lo, s1
	s_cbranch_vccnz .LBB51_1082
; %bb.1077:
	s_cmp_gt_i32 s0, 0
	s_mov_b32 s0, 0
	s_cbranch_scc0 .LBB51_1079
; %bb.1078:
	global_load_i8 v2, v[0:1], off
	s_wait_loadcnt 0x0
	v_cvt_f32_i32_e32 v42, v2
	s_branch .LBB51_1080
.LBB51_1079:
	s_mov_b32 s0, -1
                                        ; implicit-def: $vgpr42
.LBB51_1080:
	s_delay_alu instid0(SALU_CYCLE_1)
	s_and_not1_b32 vcc_lo, exec_lo, s0
	s_cbranch_vccnz .LBB51_1082
; %bb.1081:
	global_load_u8 v0, v[0:1], off
	s_wait_loadcnt 0x0
	v_cvt_f32_ubyte0_e32 v42, v0
.LBB51_1082:
	s_mov_b32 s1, -1
.LBB51_1083:
	s_delay_alu instid0(SALU_CYCLE_1)
	s_and_not1_b32 vcc_lo, exec_lo, s1
	s_cbranch_vccnz .LBB51_1086
; %bb.1084:
	s_and_not1_b32 vcc_lo, exec_lo, s49
	s_cbranch_vccnz .LBB51_1087
; %bb.1085:
	s_wait_loadcnt 0x0
	s_delay_alu instid0(VALU_DEP_1) | instskip(SKIP_2) | instid1(SALU_CYCLE_1)
	v_dual_mov_b32 v0, v40 :: v_dual_mov_b32 v1, v42
	s_get_pc_i64 s[0:1]
	s_add_nc_u64 s[0:1], s[0:1], _ZN12_GLOBAL__N_111calc_igammaIfEET_S1_S1_@rel64+4
	s_swap_pc_i64 s[30:31], s[0:1]
	s_mov_b32 s0, 0
	s_branch .LBB51_1088
.LBB51_1086:
	s_mov_b32 s1, 0
	s_mov_b32 s0, s80
	s_branch .LBB51_1213
.LBB51_1087:
	s_mov_b32 s0, -1
                                        ; implicit-def: $vgpr0
.LBB51_1088:
	s_delay_alu instid0(SALU_CYCLE_1)
	s_and_not1_b32 vcc_lo, exec_lo, s0
	s_cbranch_vccnz .LBB51_1090
; %bb.1089:
	s_wait_loadcnt 0x0
	s_delay_alu instid0(VALU_DEP_1) | instskip(SKIP_2) | instid1(SALU_CYCLE_1)
	v_dual_mov_b32 v0, v40 :: v_dual_mov_b32 v1, v42
	s_get_pc_i64 s[0:1]
	s_add_nc_u64 s[0:1], s[0:1], _ZN12_GLOBAL__N_112calc_igammacIfEET_S1_S1_@rel64+4
	s_swap_pc_i64 s[30:31], s[0:1]
.LBB51_1090:
	v_mov_b32_e32 v47, 0
	s_and_b32 s1, s69, 0xff
	s_delay_alu instid0(SALU_CYCLE_1) | instskip(SKIP_1) | instid1(VALU_DEP_1)
	s_cmp_lt_i32 s1, 11
	s_wait_xcnt 0x0
	v_add_nc_u64_e32 v[2:3], s[36:37], v[46:47]
	s_cbranch_scc1 .LBB51_1097
; %bb.1091:
	s_and_b32 s2, 0xffff, s1
	s_delay_alu instid0(SALU_CYCLE_1)
	s_cmp_gt_i32 s2, 25
	s_cbranch_scc0 .LBB51_1098
; %bb.1092:
	s_cmp_gt_i32 s2, 28
	s_cbranch_scc0 .LBB51_1099
; %bb.1093:
	;; [unrolled: 3-line block ×4, first 2 shown]
	s_mov_b32 s4, 0
	s_mov_b32 s0, -1
	s_cmp_eq_u32 s2, 46
	s_mov_b32 s3, 0
	s_cbranch_scc0 .LBB51_1102
; %bb.1096:
	v_bfe_u32 v1, v0, 16, 1
	v_cmp_o_f32_e32 vcc_lo, v0, v0
	s_mov_b32 s3, -1
	s_mov_b32 s0, 0
	s_delay_alu instid0(VALU_DEP_2) | instskip(NEXT) | instid1(VALU_DEP_1)
	v_add3_u32 v1, v0, v1, 0x7fff
	v_lshrrev_b32_e32 v1, 16, v1
	s_delay_alu instid0(VALU_DEP_1)
	v_cndmask_b32_e32 v1, 0x7fc0, v1, vcc_lo
	global_store_b32 v[2:3], v1, off
	s_branch .LBB51_1102
.LBB51_1097:
	s_mov_b32 s2, -1
	s_mov_b32 s3, 0
	s_mov_b32 s0, s80
	s_branch .LBB51_1171
.LBB51_1098:
	s_mov_b32 s4, -1
	s_mov_b32 s3, 0
	s_mov_b32 s0, s80
	s_branch .LBB51_1129
.LBB51_1099:
	s_mov_b32 s4, -1
	s_mov_b32 s3, 0
	s_mov_b32 s0, s80
	s_branch .LBB51_1112
.LBB51_1100:
	s_mov_b32 s4, -1
	s_mov_b32 s3, 0
	s_mov_b32 s0, s80
	s_branch .LBB51_1108
.LBB51_1101:
	s_mov_b32 s4, -1
	s_mov_b32 s3, 0
	s_mov_b32 s0, s80
.LBB51_1102:
	s_and_b32 vcc_lo, exec_lo, s4
	s_cbranch_vccz .LBB51_1107
; %bb.1103:
	s_cmp_eq_u32 s2, 44
	s_mov_b32 s0, -1
	s_cbranch_scc0 .LBB51_1107
; %bb.1104:
	v_bfe_u32 v4, v0, 23, 8
	s_wait_xcnt 0x0
	v_mov_b32_e32 v1, 0xff
	s_mov_b32 s3, exec_lo
	s_delay_alu instid0(VALU_DEP_2)
	v_cmpx_ne_u32_e32 0xff, v4
	s_cbranch_execz .LBB51_1106
; %bb.1105:
	v_and_b32_e32 v1, 0x400000, v0
	v_and_or_b32 v4, 0x3fffff, v0, v4
	s_delay_alu instid0(VALU_DEP_2) | instskip(NEXT) | instid1(VALU_DEP_2)
	v_cmp_ne_u32_e32 vcc_lo, 0, v1
	v_cmp_ne_u32_e64 s0, 0, v4
	v_lshrrev_b32_e32 v1, 23, v0
	s_and_b32 s0, vcc_lo, s0
	s_delay_alu instid0(SALU_CYCLE_1) | instskip(NEXT) | instid1(VALU_DEP_1)
	v_cndmask_b32_e64 v4, 0, 1, s0
	v_add_nc_u32_e32 v1, v1, v4
.LBB51_1106:
	s_or_b32 exec_lo, exec_lo, s3
	s_mov_b32 s3, -1
	s_mov_b32 s0, 0
	global_store_b8 v[2:3], v1, off
.LBB51_1107:
	s_mov_b32 s4, 0
.LBB51_1108:
	s_delay_alu instid0(SALU_CYCLE_1)
	s_and_b32 vcc_lo, exec_lo, s4
	s_cbranch_vccz .LBB51_1111
; %bb.1109:
	s_cmp_eq_u32 s2, 29
	s_mov_b32 s0, -1
	s_cbranch_scc0 .LBB51_1111
; %bb.1110:
	s_wait_xcnt 0x0
	v_trunc_f32_e32 v1, v0
	s_mov_b32 s3, -1
	s_mov_b32 s0, 0
	s_mov_b32 s4, 0
	s_delay_alu instid0(VALU_DEP_1) | instskip(NEXT) | instid1(VALU_DEP_1)
	v_mul_f32_e32 v4, 0x2f800000, v1
	v_floor_f32_e32 v4, v4
	s_delay_alu instid0(VALU_DEP_1) | instskip(SKIP_1) | instid1(VALU_DEP_2)
	v_fmamk_f32 v1, v4, 0xcf800000, v1
	v_cvt_u32_f32_e32 v5, v4
	v_cvt_u32_f32_e32 v4, v1
	global_store_b64 v[2:3], v[4:5], off
	s_branch .LBB51_1112
.LBB51_1111:
	s_mov_b32 s4, 0
.LBB51_1112:
	s_delay_alu instid0(SALU_CYCLE_1)
	s_and_b32 vcc_lo, exec_lo, s4
	s_cbranch_vccz .LBB51_1128
; %bb.1113:
	s_cmp_lt_i32 s2, 27
	s_mov_b32 s3, -1
	s_cbranch_scc1 .LBB51_1119
; %bb.1114:
	s_cmp_gt_i32 s2, 27
	s_cbranch_scc0 .LBB51_1116
; %bb.1115:
	s_wait_xcnt 0x0
	v_cvt_u32_f32_e32 v1, v0
	s_mov_b32 s3, 0
	global_store_b32 v[2:3], v1, off
.LBB51_1116:
	s_and_not1_b32 vcc_lo, exec_lo, s3
	s_cbranch_vccnz .LBB51_1118
; %bb.1117:
	s_wait_xcnt 0x0
	v_cvt_u32_f32_e32 v1, v0
	global_store_b16 v[2:3], v1, off
.LBB51_1118:
	s_mov_b32 s3, 0
.LBB51_1119:
	s_delay_alu instid0(SALU_CYCLE_1)
	s_and_not1_b32 vcc_lo, exec_lo, s3
	s_cbranch_vccnz .LBB51_1127
; %bb.1120:
	s_wait_xcnt 0x0
	v_and_b32_e32 v1, 0x7fffffff, v0
	v_mov_b32_e32 v4, 0x80
	s_mov_b32 s3, exec_lo
	s_delay_alu instid0(VALU_DEP_2)
	v_cmpx_gt_u32_e32 0x43800000, v1
	s_cbranch_execz .LBB51_1126
; %bb.1121:
	v_cmp_lt_u32_e32 vcc_lo, 0x3bffffff, v1
	s_mov_b32 s4, 0
                                        ; implicit-def: $vgpr1
	s_and_saveexec_b32 s5, vcc_lo
	s_delay_alu instid0(SALU_CYCLE_1)
	s_xor_b32 s5, exec_lo, s5
	s_cbranch_execz .LBB51_1241
; %bb.1122:
	v_bfe_u32 v1, v0, 20, 1
	s_mov_b32 s4, exec_lo
	s_delay_alu instid0(VALU_DEP_1) | instskip(NEXT) | instid1(VALU_DEP_1)
	v_add3_u32 v1, v0, v1, 0x487ffff
	v_lshrrev_b32_e32 v1, 20, v1
	s_and_not1_saveexec_b32 s5, s5
	s_cbranch_execnz .LBB51_1242
.LBB51_1123:
	s_or_b32 exec_lo, exec_lo, s5
	v_mov_b32_e32 v4, 0
	s_and_saveexec_b32 s5, s4
.LBB51_1124:
	v_lshrrev_b32_e32 v4, 24, v0
	s_delay_alu instid0(VALU_DEP_1)
	v_and_or_b32 v4, 0x80, v4, v1
.LBB51_1125:
	s_or_b32 exec_lo, exec_lo, s5
.LBB51_1126:
	s_delay_alu instid0(SALU_CYCLE_1)
	s_or_b32 exec_lo, exec_lo, s3
	global_store_b8 v[2:3], v4, off
.LBB51_1127:
	s_mov_b32 s3, -1
.LBB51_1128:
	s_mov_b32 s4, 0
.LBB51_1129:
	s_delay_alu instid0(SALU_CYCLE_1)
	s_and_b32 vcc_lo, exec_lo, s4
	s_cbranch_vccz .LBB51_1170
; %bb.1130:
	s_cmp_gt_i32 s2, 22
	s_mov_b32 s4, -1
	s_cbranch_scc0 .LBB51_1162
; %bb.1131:
	s_cmp_lt_i32 s2, 24
	s_mov_b32 s3, -1
	s_cbranch_scc1 .LBB51_1151
; %bb.1132:
	s_cmp_gt_i32 s2, 24
	s_cbranch_scc0 .LBB51_1140
; %bb.1133:
	s_wait_xcnt 0x0
	v_and_b32_e32 v1, 0x7fffffff, v0
	v_mov_b32_e32 v4, 0x80
	s_mov_b32 s3, exec_lo
	s_delay_alu instid0(VALU_DEP_2)
	v_cmpx_gt_u32_e32 0x47800000, v1
	s_cbranch_execz .LBB51_1139
; %bb.1134:
	v_cmp_lt_u32_e32 vcc_lo, 0x37ffffff, v1
	s_mov_b32 s4, 0
                                        ; implicit-def: $vgpr1
	s_and_saveexec_b32 s5, vcc_lo
	s_delay_alu instid0(SALU_CYCLE_1)
	s_xor_b32 s5, exec_lo, s5
	s_cbranch_execz .LBB51_2326
; %bb.1135:
	v_bfe_u32 v1, v0, 21, 1
	s_mov_b32 s4, exec_lo
	s_delay_alu instid0(VALU_DEP_1) | instskip(NEXT) | instid1(VALU_DEP_1)
	v_add3_u32 v1, v0, v1, 0x88fffff
	v_lshrrev_b32_e32 v1, 21, v1
	s_and_not1_saveexec_b32 s5, s5
	s_cbranch_execnz .LBB51_2327
.LBB51_1136:
	s_or_b32 exec_lo, exec_lo, s5
	v_mov_b32_e32 v4, 0
	s_and_saveexec_b32 s5, s4
.LBB51_1137:
	v_lshrrev_b32_e32 v4, 24, v0
	s_delay_alu instid0(VALU_DEP_1)
	v_and_or_b32 v4, 0x80, v4, v1
.LBB51_1138:
	s_or_b32 exec_lo, exec_lo, s5
.LBB51_1139:
	s_delay_alu instid0(SALU_CYCLE_1)
	s_or_b32 exec_lo, exec_lo, s3
	s_mov_b32 s3, 0
	global_store_b8 v[2:3], v4, off
.LBB51_1140:
	s_and_b32 vcc_lo, exec_lo, s3
	s_cbranch_vccz .LBB51_1150
; %bb.1141:
	s_wait_xcnt 0x0
	v_and_b32_e32 v4, 0x7fffffff, v0
	s_mov_b32 s3, exec_lo
                                        ; implicit-def: $vgpr1
	s_delay_alu instid0(VALU_DEP_1)
	v_cmpx_gt_u32_e32 0x43f00000, v4
	s_xor_b32 s3, exec_lo, s3
	s_cbranch_execz .LBB51_1147
; %bb.1142:
	s_mov_b32 s4, exec_lo
                                        ; implicit-def: $vgpr1
	v_cmpx_lt_u32_e32 0x3c7fffff, v4
	s_xor_b32 s4, exec_lo, s4
; %bb.1143:
	v_bfe_u32 v1, v0, 20, 1
	s_delay_alu instid0(VALU_DEP_1) | instskip(NEXT) | instid1(VALU_DEP_1)
	v_add3_u32 v1, v0, v1, 0x407ffff
	v_and_b32_e32 v4, 0xff00000, v1
	v_lshrrev_b32_e32 v1, 20, v1
	s_delay_alu instid0(VALU_DEP_2) | instskip(NEXT) | instid1(VALU_DEP_2)
	v_cmp_ne_u32_e32 vcc_lo, 0x7f00000, v4
	v_cndmask_b32_e32 v1, 0x7e, v1, vcc_lo
; %bb.1144:
	s_and_not1_saveexec_b32 s4, s4
; %bb.1145:
	v_add_f32_e64 v1, 0x46800000, |v0|
; %bb.1146:
	s_or_b32 exec_lo, exec_lo, s4
                                        ; implicit-def: $vgpr4
.LBB51_1147:
	s_and_not1_saveexec_b32 s3, s3
; %bb.1148:
	v_mov_b32_e32 v1, 0x7f
	v_cmp_lt_u32_e32 vcc_lo, 0x7f800000, v4
	s_delay_alu instid0(VALU_DEP_2)
	v_cndmask_b32_e32 v1, 0x7e, v1, vcc_lo
; %bb.1149:
	s_or_b32 exec_lo, exec_lo, s3
	v_lshrrev_b32_e32 v4, 24, v0
	s_delay_alu instid0(VALU_DEP_1)
	v_and_or_b32 v1, 0x80, v4, v1
	global_store_b8 v[2:3], v1, off
.LBB51_1150:
	s_mov_b32 s3, 0
.LBB51_1151:
	s_delay_alu instid0(SALU_CYCLE_1)
	s_and_not1_b32 vcc_lo, exec_lo, s3
	s_cbranch_vccnz .LBB51_1161
; %bb.1152:
	s_wait_xcnt 0x0
	v_and_b32_e32 v4, 0x7fffffff, v0
	s_mov_b32 s3, exec_lo
                                        ; implicit-def: $vgpr1
	s_delay_alu instid0(VALU_DEP_1)
	v_cmpx_gt_u32_e32 0x47800000, v4
	s_xor_b32 s3, exec_lo, s3
	s_cbranch_execz .LBB51_1158
; %bb.1153:
	s_mov_b32 s4, exec_lo
                                        ; implicit-def: $vgpr1
	v_cmpx_lt_u32_e32 0x387fffff, v4
	s_xor_b32 s4, exec_lo, s4
; %bb.1154:
	v_bfe_u32 v1, v0, 21, 1
	s_delay_alu instid0(VALU_DEP_1) | instskip(NEXT) | instid1(VALU_DEP_1)
	v_add3_u32 v1, v0, v1, 0x80fffff
	v_lshrrev_b32_e32 v1, 21, v1
; %bb.1155:
	s_and_not1_saveexec_b32 s4, s4
; %bb.1156:
	v_add_f32_e64 v1, 0x43000000, |v0|
; %bb.1157:
	s_or_b32 exec_lo, exec_lo, s4
                                        ; implicit-def: $vgpr4
.LBB51_1158:
	s_and_not1_saveexec_b32 s3, s3
; %bb.1159:
	v_mov_b32_e32 v1, 0x7f
	v_cmp_lt_u32_e32 vcc_lo, 0x7f800000, v4
	s_delay_alu instid0(VALU_DEP_2)
	v_cndmask_b32_e32 v1, 0x7c, v1, vcc_lo
; %bb.1160:
	s_or_b32 exec_lo, exec_lo, s3
	v_lshrrev_b32_e32 v4, 24, v0
	s_delay_alu instid0(VALU_DEP_1)
	v_and_or_b32 v1, 0x80, v4, v1
	global_store_b8 v[2:3], v1, off
.LBB51_1161:
	s_mov_b32 s4, 0
	s_mov_b32 s3, -1
.LBB51_1162:
	s_and_not1_b32 vcc_lo, exec_lo, s4
	s_cbranch_vccnz .LBB51_1170
; %bb.1163:
	s_cmp_gt_i32 s2, 14
	s_mov_b32 s4, -1
	s_cbranch_scc0 .LBB51_1167
; %bb.1164:
	s_cmp_eq_u32 s2, 15
	s_mov_b32 s0, -1
	s_cbranch_scc0 .LBB51_1166
; %bb.1165:
	s_wait_xcnt 0x0
	v_bfe_u32 v1, v0, 16, 1
	v_cmp_o_f32_e32 vcc_lo, v0, v0
	s_mov_b32 s3, -1
	s_mov_b32 s0, 0
	s_delay_alu instid0(VALU_DEP_2) | instskip(NEXT) | instid1(VALU_DEP_1)
	v_add3_u32 v1, v0, v1, 0x7fff
	v_lshrrev_b32_e32 v1, 16, v1
	s_delay_alu instid0(VALU_DEP_1)
	v_cndmask_b32_e32 v1, 0x7fc0, v1, vcc_lo
	global_store_b16 v[2:3], v1, off
.LBB51_1166:
	s_mov_b32 s4, 0
.LBB51_1167:
	s_delay_alu instid0(SALU_CYCLE_1)
	s_and_b32 vcc_lo, exec_lo, s4
	s_cbranch_vccz .LBB51_1170
; %bb.1168:
	s_cmp_eq_u32 s2, 11
	s_mov_b32 s0, -1
	s_cbranch_scc0 .LBB51_1170
; %bb.1169:
	v_cmp_neq_f32_e32 vcc_lo, 0, v0
	s_mov_b32 s0, 0
	s_mov_b32 s3, -1
	s_wait_xcnt 0x0
	v_cndmask_b32_e64 v1, 0, 1, vcc_lo
	global_store_b8 v[2:3], v1, off
.LBB51_1170:
	s_mov_b32 s2, 0
.LBB51_1171:
	s_delay_alu instid0(SALU_CYCLE_1)
	s_and_b32 vcc_lo, exec_lo, s2
	s_cbranch_vccz .LBB51_1210
; %bb.1172:
	s_and_b32 s1, 0xffff, s1
	s_mov_b32 s2, -1
	s_cmp_lt_i32 s1, 5
	s_cbranch_scc1 .LBB51_1193
; %bb.1173:
	s_cmp_lt_i32 s1, 8
	s_cbranch_scc1 .LBB51_1183
; %bb.1174:
	s_cmp_lt_i32 s1, 9
	s_cbranch_scc1 .LBB51_1180
; %bb.1175:
	s_cmp_gt_i32 s1, 9
	s_cbranch_scc0 .LBB51_1177
; %bb.1176:
	s_wait_xcnt 0x0
	v_cvt_f64_f32_e32 v[4:5], v0
	v_mov_b32_e32 v6, 0
	s_mov_b32 s2, 0
	s_delay_alu instid0(VALU_DEP_1)
	v_mov_b32_e32 v7, v6
	global_store_b128 v[2:3], v[4:7], off
.LBB51_1177:
	s_and_not1_b32 vcc_lo, exec_lo, s2
	s_cbranch_vccnz .LBB51_1179
; %bb.1178:
	s_wait_xcnt 0x0
	v_mov_b32_e32 v1, 0
	global_store_b64 v[2:3], v[0:1], off
.LBB51_1179:
	s_mov_b32 s2, 0
.LBB51_1180:
	s_delay_alu instid0(SALU_CYCLE_1)
	s_and_not1_b32 vcc_lo, exec_lo, s2
	s_cbranch_vccnz .LBB51_1182
; %bb.1181:
	s_wait_xcnt 0x0
	v_cvt_f16_f32_e32 v1, v0
	s_delay_alu instid0(VALU_DEP_1)
	v_and_b32_e32 v1, 0xffff, v1
	global_store_b32 v[2:3], v1, off
.LBB51_1182:
	s_mov_b32 s2, 0
.LBB51_1183:
	s_delay_alu instid0(SALU_CYCLE_1)
	s_and_not1_b32 vcc_lo, exec_lo, s2
	s_cbranch_vccnz .LBB51_1192
; %bb.1184:
	s_cmp_lt_i32 s1, 6
	s_mov_b32 s2, -1
	s_cbranch_scc1 .LBB51_1190
; %bb.1185:
	s_cmp_gt_i32 s1, 6
	s_cbranch_scc0 .LBB51_1187
; %bb.1186:
	s_wait_xcnt 0x0
	v_cvt_f64_f32_e32 v[4:5], v0
	s_mov_b32 s2, 0
	global_store_b64 v[2:3], v[4:5], off
.LBB51_1187:
	s_and_not1_b32 vcc_lo, exec_lo, s2
	s_cbranch_vccnz .LBB51_1189
; %bb.1188:
	global_store_b32 v[2:3], v0, off
.LBB51_1189:
	s_mov_b32 s2, 0
.LBB51_1190:
	s_delay_alu instid0(SALU_CYCLE_1)
	s_and_not1_b32 vcc_lo, exec_lo, s2
	s_cbranch_vccnz .LBB51_1192
; %bb.1191:
	s_wait_xcnt 0x0
	v_cvt_f16_f32_e32 v1, v0
	global_store_b16 v[2:3], v1, off
.LBB51_1192:
	s_mov_b32 s2, 0
.LBB51_1193:
	s_delay_alu instid0(SALU_CYCLE_1)
	s_and_not1_b32 vcc_lo, exec_lo, s2
	s_cbranch_vccnz .LBB51_1209
; %bb.1194:
	s_cmp_lt_i32 s1, 2
	s_mov_b32 s2, -1
	s_cbranch_scc1 .LBB51_1204
; %bb.1195:
	s_cmp_lt_i32 s1, 3
	s_cbranch_scc1 .LBB51_1201
; %bb.1196:
	s_cmp_gt_i32 s1, 3
	s_cbranch_scc0 .LBB51_1198
; %bb.1197:
	s_wait_xcnt 0x0
	v_trunc_f32_e32 v1, v0
	s_mov_b32 s2, 0
	s_delay_alu instid0(VALU_DEP_1) | instskip(NEXT) | instid1(VALU_DEP_1)
	v_mul_f32_e64 v4, 0x2f800000, |v1|
	v_floor_f32_e32 v5, v4
	v_ashrrev_i32_e32 v4, 31, v1
	s_delay_alu instid0(VALU_DEP_2) | instskip(SKIP_1) | instid1(VALU_DEP_3)
	v_fma_f32 v6, 0xcf800000, v5, |v1|
	v_cvt_u32_f32_e32 v1, v5
	v_mov_b32_e32 v5, v4
	s_delay_alu instid0(VALU_DEP_3) | instskip(NEXT) | instid1(VALU_DEP_3)
	v_cvt_u32_f32_e32 v6, v6
	v_xor_b32_e32 v7, v1, v4
	s_delay_alu instid0(VALU_DEP_2) | instskip(NEXT) | instid1(VALU_DEP_1)
	v_xor_b32_e32 v6, v6, v4
	v_sub_nc_u64_e32 v[4:5], v[6:7], v[4:5]
	global_store_b64 v[2:3], v[4:5], off
.LBB51_1198:
	s_and_not1_b32 vcc_lo, exec_lo, s2
	s_cbranch_vccnz .LBB51_1200
; %bb.1199:
	s_wait_xcnt 0x0
	v_cvt_i32_f32_e32 v1, v0
	global_store_b32 v[2:3], v1, off
.LBB51_1200:
	s_mov_b32 s2, 0
.LBB51_1201:
	s_delay_alu instid0(SALU_CYCLE_1)
	s_and_not1_b32 vcc_lo, exec_lo, s2
	s_cbranch_vccnz .LBB51_1203
; %bb.1202:
	s_wait_xcnt 0x0
	v_cvt_i32_f32_e32 v1, v0
	global_store_b16 v[2:3], v1, off
.LBB51_1203:
	s_mov_b32 s2, 0
.LBB51_1204:
	s_delay_alu instid0(SALU_CYCLE_1)
	s_and_not1_b32 vcc_lo, exec_lo, s2
	s_cbranch_vccnz .LBB51_1209
; %bb.1205:
	s_cmp_gt_i32 s1, 0
	s_mov_b32 s1, -1
	s_cbranch_scc0 .LBB51_1207
; %bb.1206:
	s_wait_xcnt 0x0
	v_cvt_i32_f32_e32 v1, v0
	s_mov_b32 s1, 0
	global_store_b8 v[2:3], v1, off
.LBB51_1207:
	s_and_not1_b32 vcc_lo, exec_lo, s1
	s_cbranch_vccnz .LBB51_1209
; %bb.1208:
	s_wait_xcnt 0x0
	v_trunc_f32_e32 v0, v0
	s_delay_alu instid0(VALU_DEP_1) | instskip(NEXT) | instid1(VALU_DEP_1)
	v_mul_f32_e64 v1, 0x2f800000, |v0|
	v_floor_f32_e32 v1, v1
	s_delay_alu instid0(VALU_DEP_1) | instskip(SKIP_1) | instid1(VALU_DEP_2)
	v_fma_f32 v1, 0xcf800000, v1, |v0|
	v_ashrrev_i32_e32 v0, 31, v0
	v_cvt_u32_f32_e32 v1, v1
	s_delay_alu instid0(VALU_DEP_1) | instskip(NEXT) | instid1(VALU_DEP_1)
	v_xor_b32_e32 v1, v1, v0
	v_sub_nc_u32_e32 v0, v1, v0
	global_store_b8 v[2:3], v0, off
.LBB51_1209:
	s_mov_b32 s3, -1
.LBB51_1210:
	s_delay_alu instid0(SALU_CYCLE_1)
	s_and_not1_b32 vcc_lo, exec_lo, s3
	s_cbranch_vccnz .LBB51_1212
; %bb.1211:
	v_add_nc_u32_e32 v44, 0x80, v44
	s_mov_b32 s1, -1
	s_branch .LBB51_1214
.LBB51_1212:
	s_mov_b32 s1, 0
.LBB51_1213:
                                        ; implicit-def: $vgpr44
.LBB51_1214:
	s_and_not1_b32 s2, s80, exec_lo
	s_and_b32 s0, s0, exec_lo
	s_and_not1_b32 s5, s79, exec_lo
	s_or_b32 s3, s2, s0
	s_and_not1_b32 s0, s81, exec_lo
	s_and_b32 s2, s85, exec_lo
	s_and_b32 s6, s84, exec_lo
	s_or_b32 s4, s0, s2
	s_or_b32 s2, s5, s6
	s_or_not1_b32 s8, s1, exec_lo
.LBB51_1215:
	s_wait_xcnt 0x0
	s_or_b32 exec_lo, exec_lo, s83
	s_mov_b32 s6, 0
	s_mov_b32 s7, 0
	s_mov_b32 s1, 0
                                        ; implicit-def: $sgpr0
                                        ; implicit-def: $vgpr2_vgpr3
                                        ; implicit-def: $vgpr0
                                        ; implicit-def: $vgpr46
                                        ; implicit-def: $vgpr40
	s_and_saveexec_b32 s5, s8
	s_cbranch_execz .LBB51_1310
; %bb.1216:
	s_mov_b32 s8, 0
	s_mov_b32 s10, s2
	;; [unrolled: 1-line block ×3, first 2 shown]
	s_mov_b32 s6, exec_lo
                                        ; implicit-def: $sgpr0
                                        ; implicit-def: $vgpr2_vgpr3
                                        ; implicit-def: $vgpr0
                                        ; implicit-def: $vgpr46
                                        ; implicit-def: $vgpr40
	v_cmpx_gt_i32_e64 s74, v44
	s_cbranch_execz .LBB51_1309
; %bb.1217:
	s_and_not1_b32 vcc_lo, exec_lo, s67
	s_cbranch_vccnz .LBB51_1223
; %bb.1218:
	s_and_not1_b32 vcc_lo, exec_lo, s75
	s_cbranch_vccnz .LBB51_1224
; %bb.1219:
	v_dual_mov_b32 v46, 0 :: v_dual_mov_b32 v1, v44
	v_dual_mov_b32 v2, 0 :: v_dual_mov_b32 v0, 0
	s_add_co_i32 s7, s73, 1
	s_mov_b64 s[0:1], 0xffffffffffffffe8
	s_and_b32 s7, s7, 30
	s_add_nc_u64 s[0:1], s[34:35], s[0:1]
.LBB51_1220:                            ; =>This Inner Loop Header: Depth=1
	s_clause 0x1
	s_load_b128 s[8:11], s[0:1], 0x1c
	s_load_b64 s[16:17], s[0:1], 0x2c
	s_add_co_i32 s7, s7, -2
	s_delay_alu instid0(SALU_CYCLE_1) | instskip(SKIP_2) | instid1(VALU_DEP_1)
	s_cmp_eq_u32 s7, 0
	s_wait_kmcnt 0x0
	v_mul_hi_u32 v3, s9, v1
	v_add_nc_u32_e32 v3, v1, v3
	s_delay_alu instid0(VALU_DEP_1) | instskip(NEXT) | instid1(VALU_DEP_1)
	v_lshrrev_b32_e32 v3, s10, v3
	v_mul_hi_u32 v4, s16, v3
	v_mul_lo_u32 v5, v3, s8
	s_clause 0x1
	s_load_b128 s[12:15], s[0:1], 0xdc
	s_load_b64 s[8:9], s[0:1], 0xec
	s_wait_xcnt 0x0
	s_add_nc_u64 s[0:1], s[0:1], 24
	s_delay_alu instid0(VALU_DEP_1) | instskip(NEXT) | instid1(VALU_DEP_1)
	v_dual_add_nc_u32 v4, v3, v4 :: v_dual_sub_nc_u32 v5, v1, v5
	v_lshrrev_b32_e32 v1, s17, v4
	s_wait_kmcnt 0x0
	s_delay_alu instid0(VALU_DEP_2) | instskip(NEXT) | instid1(VALU_DEP_2)
	v_mad_u32 v6, v5, s12, v46
	v_mul_lo_u32 v4, v1, s11
	v_mad_u32 v0, v5, s14, v0
	v_mad_u32 v2, v5, s13, v2
	s_delay_alu instid0(VALU_DEP_3) | instskip(NEXT) | instid1(VALU_DEP_1)
	v_sub_nc_u32_e32 v3, v3, v4
	v_mad_u32 v46, v3, s15, v6
	s_delay_alu instid0(VALU_DEP_4) | instskip(NEXT) | instid1(VALU_DEP_4)
	v_mad_u32 v0, v3, s9, v0
	v_mad_u32 v2, v3, s8, v2
	s_cbranch_scc0 .LBB51_1220
; %bb.1221:
	s_bitcmp1_b32 s73, 0
	s_cselect_b32 s7, -1, 0
	s_delay_alu instid0(SALU_CYCLE_1)
	s_and_b32 vcc_lo, exec_lo, s7
	s_cbranch_vccnz .LBB51_1225
; %bb.1222:
	s_clause 0x1
	s_load_b96 s[8:10], s[0:1], 0x1c
	s_load_b96 s[12:14], s[0:1], 0xdc
	s_wait_kmcnt 0x0
	v_mul_hi_u32 v3, s9, v1
	s_delay_alu instid0(VALU_DEP_1) | instskip(NEXT) | instid1(VALU_DEP_1)
	v_add_nc_u32_e32 v3, v1, v3
	v_lshrrev_b32_e32 v3, s10, v3
	s_delay_alu instid0(VALU_DEP_1) | instskip(NEXT) | instid1(VALU_DEP_1)
	v_mul_lo_u32 v3, v3, s8
	v_sub_nc_u32_e32 v1, v1, v3
	s_delay_alu instid0(VALU_DEP_1)
	v_mad_u32 v46, v1, s12, v46
	v_mad_u32 v2, v1, s13, v2
	;; [unrolled: 1-line block ×3, first 2 shown]
	s_branch .LBB51_1225
.LBB51_1223:
	s_mov_b32 s0, -1
                                        ; implicit-def: $vgpr0
                                        ; implicit-def: $vgpr2
                                        ; implicit-def: $vgpr46
	s_branch .LBB51_1226
.LBB51_1224:
	v_dual_mov_b32 v0, 0 :: v_dual_mov_b32 v2, 0
	v_mov_b32_e32 v46, 0
.LBB51_1225:
	s_mov_b32 s0, 0
.LBB51_1226:
	s_delay_alu instid0(SALU_CYCLE_1)
	s_and_not1_b32 vcc_lo, exec_lo, s0
	s_cbranch_vccnz .LBB51_1229
; %bb.1227:
	v_mov_b32_e32 v45, 0
	s_and_not1_b32 vcc_lo, exec_lo, s72
	s_delay_alu instid0(VALU_DEP_1) | instskip(NEXT) | instid1(VALU_DEP_1)
	v_mul_u64_e32 v[0:1], s[46:47], v[44:45]
	v_add_nc_u32_e32 v0, v44, v1
	s_delay_alu instid0(VALU_DEP_1) | instskip(NEXT) | instid1(VALU_DEP_1)
	v_lshrrev_b32_e32 v4, s50, v0
	v_mul_lo_u32 v0, v4, s48
	s_delay_alu instid0(VALU_DEP_1) | instskip(NEXT) | instid1(VALU_DEP_1)
	v_sub_nc_u32_e32 v1, v44, v0
	v_mul_lo_u32 v46, v1, s52
	v_mul_lo_u32 v0, v1, s54
	;; [unrolled: 1-line block ×3, first 2 shown]
	s_cbranch_vccnz .LBB51_1229
; %bb.1228:
	v_mov_b32_e32 v5, v45
	s_delay_alu instid0(VALU_DEP_1) | instskip(NEXT) | instid1(VALU_DEP_1)
	v_mul_u64_e32 v[6:7], s[58:59], v[4:5]
	v_add_nc_u32_e32 v1, v4, v7
	s_delay_alu instid0(VALU_DEP_1) | instskip(NEXT) | instid1(VALU_DEP_1)
	v_lshrrev_b32_e32 v1, s63, v1
	v_mul_lo_u32 v1, v1, s51
	s_delay_alu instid0(VALU_DEP_1) | instskip(NEXT) | instid1(VALU_DEP_1)
	v_sub_nc_u32_e32 v1, v4, v1
	v_mad_u32 v46, v1, s55, v46
	v_mad_u32 v2, v1, s60, v2
	;; [unrolled: 1-line block ×3, first 2 shown]
.LBB51_1229:
	v_mov_b32_e32 v3, 0
	s_and_b32 s0, s71, 0xff
	s_delay_alu instid0(SALU_CYCLE_1) | instskip(NEXT) | instid1(VALU_DEP_1)
	s_cmp_lt_i32 s0, 11
	v_add_nc_u64_e32 v[2:3], s[38:39], v[2:3]
	s_cbranch_scc1 .LBB51_1236
; %bb.1230:
	s_and_b32 s1, 0xffff, s0
	s_mov_b32 s8, 0
	s_cmp_gt_i32 s1, 25
	s_cbranch_scc0 .LBB51_1237
; %bb.1231:
	s_cmp_gt_i32 s1, 28
	s_cbranch_scc0 .LBB51_1238
; %bb.1232:
	;; [unrolled: 3-line block ×4, first 2 shown]
	s_cmp_eq_u32 s1, 46
	s_mov_b32 s10, 0
	s_cbranch_scc0 .LBB51_1243
; %bb.1235:
	global_load_b32 v1, v[2:3], off
	s_mov_b32 s7, 0
	s_mov_b32 s9, -1
	s_wait_loadcnt 0x0
	v_lshlrev_b32_e32 v40, 16, v1
	s_branch .LBB51_1245
.LBB51_1236:
	s_mov_b32 s10, -1
	s_mov_b32 s9, 0
	s_mov_b32 s8, 0
	;; [unrolled: 1-line block ×3, first 2 shown]
                                        ; implicit-def: $vgpr40
	s_branch .LBB51_1308
.LBB51_1237:
	s_mov_b32 s10, -1
	s_mov_b32 s9, 0
	s_mov_b32 s7, s2
                                        ; implicit-def: $vgpr40
	s_branch .LBB51_1274
.LBB51_1238:
	s_mov_b32 s10, -1
	s_mov_b32 s9, 0
	s_mov_b32 s7, s2
                                        ; implicit-def: $vgpr40
	s_branch .LBB51_1255
.LBB51_1239:
	s_mov_b32 s10, -1
	s_mov_b32 s9, 0
	s_mov_b32 s7, s2
                                        ; implicit-def: $vgpr40
	s_branch .LBB51_1250
.LBB51_1240:
	s_mov_b32 s10, -1
	s_mov_b32 s9, 0
	s_mov_b32 s7, s2
	s_branch .LBB51_1244
.LBB51_1241:
	s_and_not1_saveexec_b32 s5, s5
	s_cbranch_execz .LBB51_1123
.LBB51_1242:
	v_add_f32_e64 v1, 0x46000000, |v0|
	s_and_not1_b32 s4, s4, exec_lo
	s_delay_alu instid0(VALU_DEP_1) | instskip(NEXT) | instid1(VALU_DEP_1)
	v_and_b32_e32 v1, 0xff, v1
	v_cmp_ne_u32_e32 vcc_lo, 0, v1
	s_and_b32 s6, vcc_lo, exec_lo
	s_delay_alu instid0(SALU_CYCLE_1)
	s_or_b32 s4, s4, s6
	s_or_b32 exec_lo, exec_lo, s5
	v_mov_b32_e32 v4, 0
	s_and_saveexec_b32 s5, s4
	s_cbranch_execnz .LBB51_1124
	s_branch .LBB51_1125
.LBB51_1243:
	s_mov_b32 s7, -1
	s_mov_b32 s9, 0
.LBB51_1244:
                                        ; implicit-def: $vgpr40
.LBB51_1245:
	s_and_b32 vcc_lo, exec_lo, s10
	s_cbranch_vccz .LBB51_1249
; %bb.1246:
	s_cmp_eq_u32 s1, 44
	s_cbranch_scc0 .LBB51_1248
; %bb.1247:
	global_load_u8 v1, v[2:3], off
	s_mov_b32 s7, 0
	s_mov_b32 s9, -1
	s_wait_loadcnt 0x0
	v_lshlrev_b32_e32 v4, 23, v1
	v_cmp_ne_u32_e32 vcc_lo, 0xff, v1
	s_delay_alu instid0(VALU_DEP_2) | instskip(SKIP_1) | instid1(VALU_DEP_2)
	v_cndmask_b32_e32 v4, 0x7f800001, v4, vcc_lo
	v_cmp_ne_u32_e32 vcc_lo, 0, v1
	v_cndmask_b32_e32 v40, 0x400000, v4, vcc_lo
	s_branch .LBB51_1249
.LBB51_1248:
	s_mov_b32 s7, -1
                                        ; implicit-def: $vgpr40
.LBB51_1249:
	s_mov_b32 s10, 0
.LBB51_1250:
	s_delay_alu instid0(SALU_CYCLE_1)
	s_and_b32 vcc_lo, exec_lo, s10
	s_cbranch_vccz .LBB51_1254
; %bb.1251:
	s_cmp_eq_u32 s1, 29
	s_cbranch_scc0 .LBB51_1253
; %bb.1252:
	global_load_b64 v[4:5], v[2:3], off
	s_mov_b32 s7, 0
	s_mov_b32 s9, -1
	s_mov_b32 s10, 0
	s_wait_loadcnt 0x0
	v_clz_i32_u32_e32 v1, v5
	s_delay_alu instid0(VALU_DEP_1) | instskip(NEXT) | instid1(VALU_DEP_1)
	v_min_u32_e32 v1, 32, v1
	v_lshlrev_b64_e32 v[4:5], v1, v[4:5]
	v_sub_nc_u32_e32 v1, 32, v1
	s_delay_alu instid0(VALU_DEP_2) | instskip(NEXT) | instid1(VALU_DEP_1)
	v_min_u32_e32 v4, 1, v4
	v_or_b32_e32 v4, v5, v4
	s_delay_alu instid0(VALU_DEP_1) | instskip(NEXT) | instid1(VALU_DEP_1)
	v_cvt_f32_u32_e32 v4, v4
	v_ldexp_f32 v40, v4, v1
	s_branch .LBB51_1255
.LBB51_1253:
	s_mov_b32 s7, -1
                                        ; implicit-def: $vgpr40
.LBB51_1254:
	s_mov_b32 s10, 0
.LBB51_1255:
	s_delay_alu instid0(SALU_CYCLE_1)
	s_and_b32 vcc_lo, exec_lo, s10
	s_cbranch_vccz .LBB51_1273
; %bb.1256:
	s_cmp_lt_i32 s1, 27
	s_cbranch_scc1 .LBB51_1259
; %bb.1257:
	s_cmp_gt_i32 s1, 27
	s_cbranch_scc0 .LBB51_1260
; %bb.1258:
	global_load_b32 v1, v[2:3], off
	s_mov_b32 s9, 0
	s_wait_loadcnt 0x0
	v_cvt_f32_u32_e32 v40, v1
	s_branch .LBB51_1261
.LBB51_1259:
	s_mov_b32 s9, -1
                                        ; implicit-def: $vgpr40
	s_branch .LBB51_1264
.LBB51_1260:
	s_mov_b32 s9, -1
                                        ; implicit-def: $vgpr40
.LBB51_1261:
	s_delay_alu instid0(SALU_CYCLE_1)
	s_and_not1_b32 vcc_lo, exec_lo, s9
	s_cbranch_vccnz .LBB51_1263
; %bb.1262:
	global_load_u16 v1, v[2:3], off
	s_wait_loadcnt 0x0
	v_cvt_f32_u32_e32 v40, v1
.LBB51_1263:
	s_mov_b32 s9, 0
.LBB51_1264:
	s_delay_alu instid0(SALU_CYCLE_1)
	s_and_not1_b32 vcc_lo, exec_lo, s9
	s_cbranch_vccnz .LBB51_1272
; %bb.1265:
	global_load_u8 v1, v[2:3], off
	s_mov_b32 s9, 0
	s_mov_b32 s10, exec_lo
	s_wait_loadcnt 0x0
	v_cmpx_lt_i16_e32 0x7f, v1
	s_xor_b32 s10, exec_lo, s10
	s_cbranch_execz .LBB51_1286
; %bb.1266:
	s_mov_b32 s9, -1
	s_mov_b32 s11, exec_lo
	v_cmpx_eq_u16_e32 0x80, v1
; %bb.1267:
	s_xor_b32 s9, exec_lo, -1
; %bb.1268:
	s_or_b32 exec_lo, exec_lo, s11
	s_delay_alu instid0(SALU_CYCLE_1)
	s_and_b32 s9, s9, exec_lo
	s_or_saveexec_b32 s10, s10
	v_mov_b32_e32 v40, 0x7f800001
	s_xor_b32 exec_lo, exec_lo, s10
	s_cbranch_execnz .LBB51_1287
.LBB51_1269:
	s_or_b32 exec_lo, exec_lo, s10
	s_and_saveexec_b32 s10, s9
	s_cbranch_execz .LBB51_1271
.LBB51_1270:
	v_and_b32_e32 v4, 0xffff, v1
	s_delay_alu instid0(VALU_DEP_1) | instskip(SKIP_1) | instid1(VALU_DEP_2)
	v_and_b32_e32 v5, 7, v4
	v_bfe_u32 v8, v4, 3, 4
	v_clz_i32_u32_e32 v6, v5
	s_delay_alu instid0(VALU_DEP_2) | instskip(NEXT) | instid1(VALU_DEP_2)
	v_cmp_eq_u32_e32 vcc_lo, 0, v8
	v_min_u32_e32 v6, 32, v6
	s_delay_alu instid0(VALU_DEP_1) | instskip(NEXT) | instid1(VALU_DEP_1)
	v_subrev_nc_u32_e32 v7, 28, v6
	v_dual_lshlrev_b32 v4, v7, v4 :: v_dual_sub_nc_u32 v6, 29, v6
	s_delay_alu instid0(VALU_DEP_1) | instskip(NEXT) | instid1(VALU_DEP_1)
	v_dual_lshlrev_b32 v1, 24, v1 :: v_dual_bitop2_b32 v4, 7, v4 bitop3:0x40
	v_dual_cndmask_b32 v6, v8, v6, vcc_lo :: v_dual_cndmask_b32 v4, v5, v4, vcc_lo
	s_delay_alu instid0(VALU_DEP_2) | instskip(NEXT) | instid1(VALU_DEP_2)
	v_and_b32_e32 v1, 0x80000000, v1
	v_lshl_add_u32 v5, v6, 23, 0x3b800000
	s_delay_alu instid0(VALU_DEP_3) | instskip(NEXT) | instid1(VALU_DEP_1)
	v_lshlrev_b32_e32 v4, 20, v4
	v_or3_b32 v40, v1, v5, v4
.LBB51_1271:
	s_or_b32 exec_lo, exec_lo, s10
.LBB51_1272:
	s_mov_b32 s9, -1
.LBB51_1273:
	s_mov_b32 s10, 0
.LBB51_1274:
	s_delay_alu instid0(SALU_CYCLE_1)
	s_and_b32 vcc_lo, exec_lo, s10
	s_cbranch_vccz .LBB51_1307
; %bb.1275:
	s_cmp_gt_i32 s1, 22
	s_cbranch_scc0 .LBB51_1285
; %bb.1276:
	s_cmp_lt_i32 s1, 24
	s_cbranch_scc1 .LBB51_1288
; %bb.1277:
	s_cmp_gt_i32 s1, 24
	s_cbranch_scc0 .LBB51_1289
; %bb.1278:
	global_load_u8 v1, v[2:3], off
	s_mov_b32 s9, exec_lo
	s_wait_loadcnt 0x0
	v_cmpx_lt_i16_e32 0x7f, v1
	s_xor_b32 s9, exec_lo, s9
	s_cbranch_execz .LBB51_1301
; %bb.1279:
	s_mov_b32 s8, -1
	s_mov_b32 s10, exec_lo
	v_cmpx_eq_u16_e32 0x80, v1
; %bb.1280:
	s_xor_b32 s8, exec_lo, -1
; %bb.1281:
	s_or_b32 exec_lo, exec_lo, s10
	s_delay_alu instid0(SALU_CYCLE_1)
	s_and_b32 s8, s8, exec_lo
	s_or_saveexec_b32 s9, s9
	v_mov_b32_e32 v40, 0x7f800001
	s_xor_b32 exec_lo, exec_lo, s9
	s_cbranch_execnz .LBB51_1302
.LBB51_1282:
	s_or_b32 exec_lo, exec_lo, s9
	s_and_saveexec_b32 s9, s8
	s_cbranch_execz .LBB51_1284
.LBB51_1283:
	v_and_b32_e32 v4, 0xffff, v1
	s_delay_alu instid0(VALU_DEP_1) | instskip(SKIP_1) | instid1(VALU_DEP_2)
	v_and_b32_e32 v5, 3, v4
	v_bfe_u32 v8, v4, 2, 5
	v_clz_i32_u32_e32 v6, v5
	s_delay_alu instid0(VALU_DEP_2) | instskip(NEXT) | instid1(VALU_DEP_2)
	v_cmp_eq_u32_e32 vcc_lo, 0, v8
	v_min_u32_e32 v6, 32, v6
	s_delay_alu instid0(VALU_DEP_1) | instskip(NEXT) | instid1(VALU_DEP_1)
	v_subrev_nc_u32_e32 v7, 29, v6
	v_dual_lshlrev_b32 v4, v7, v4 :: v_dual_sub_nc_u32 v6, 30, v6
	s_delay_alu instid0(VALU_DEP_1) | instskip(NEXT) | instid1(VALU_DEP_1)
	v_dual_lshlrev_b32 v1, 24, v1 :: v_dual_bitop2_b32 v4, 3, v4 bitop3:0x40
	v_dual_cndmask_b32 v6, v8, v6, vcc_lo :: v_dual_cndmask_b32 v4, v5, v4, vcc_lo
	s_delay_alu instid0(VALU_DEP_2) | instskip(NEXT) | instid1(VALU_DEP_2)
	v_and_b32_e32 v1, 0x80000000, v1
	v_lshl_add_u32 v5, v6, 23, 0x37800000
	s_delay_alu instid0(VALU_DEP_3) | instskip(NEXT) | instid1(VALU_DEP_1)
	v_lshlrev_b32_e32 v4, 21, v4
	v_or3_b32 v40, v1, v5, v4
.LBB51_1284:
	s_or_b32 exec_lo, exec_lo, s9
	s_mov_b32 s8, 0
	s_branch .LBB51_1290
.LBB51_1285:
	s_mov_b32 s8, -1
                                        ; implicit-def: $vgpr40
	s_branch .LBB51_1296
.LBB51_1286:
	s_or_saveexec_b32 s10, s10
	v_mov_b32_e32 v40, 0x7f800001
	s_xor_b32 exec_lo, exec_lo, s10
	s_cbranch_execz .LBB51_1269
.LBB51_1287:
	v_cmp_ne_u16_e32 vcc_lo, 0, v1
	v_mov_b32_e32 v40, 0
	s_and_not1_b32 s9, s9, exec_lo
	s_and_b32 s11, vcc_lo, exec_lo
	s_delay_alu instid0(SALU_CYCLE_1)
	s_or_b32 s9, s9, s11
	s_or_b32 exec_lo, exec_lo, s10
	s_and_saveexec_b32 s10, s9
	s_cbranch_execnz .LBB51_1270
	s_branch .LBB51_1271
.LBB51_1288:
	s_mov_b32 s8, -1
                                        ; implicit-def: $vgpr40
	s_branch .LBB51_1293
.LBB51_1289:
	s_mov_b32 s8, -1
                                        ; implicit-def: $vgpr40
.LBB51_1290:
	s_delay_alu instid0(SALU_CYCLE_1)
	s_and_b32 vcc_lo, exec_lo, s8
	s_cbranch_vccz .LBB51_1292
; %bb.1291:
	global_load_u8 v1, v[2:3], off
	s_wait_loadcnt 0x0
	v_lshlrev_b32_e32 v1, 24, v1
	s_delay_alu instid0(VALU_DEP_1) | instskip(NEXT) | instid1(VALU_DEP_1)
	v_and_b32_e32 v4, 0x7f000000, v1
	v_clz_i32_u32_e32 v5, v4
	v_cmp_ne_u32_e32 vcc_lo, 0, v4
	v_add_nc_u32_e32 v7, 0x1000000, v4
	s_delay_alu instid0(VALU_DEP_3) | instskip(NEXT) | instid1(VALU_DEP_1)
	v_min_u32_e32 v5, 32, v5
	v_sub_nc_u32_e64 v5, v5, 4 clamp
	s_delay_alu instid0(VALU_DEP_1) | instskip(NEXT) | instid1(VALU_DEP_1)
	v_dual_lshlrev_b32 v6, v5, v4 :: v_dual_lshlrev_b32 v5, 23, v5
	v_lshrrev_b32_e32 v6, 4, v6
	s_delay_alu instid0(VALU_DEP_1) | instskip(NEXT) | instid1(VALU_DEP_1)
	v_dual_sub_nc_u32 v5, v6, v5 :: v_dual_ashrrev_i32 v6, 8, v7
	v_add_nc_u32_e32 v5, 0x3c000000, v5
	s_delay_alu instid0(VALU_DEP_1) | instskip(NEXT) | instid1(VALU_DEP_1)
	v_and_or_b32 v5, 0x7f800000, v6, v5
	v_cndmask_b32_e32 v4, 0, v5, vcc_lo
	s_delay_alu instid0(VALU_DEP_1)
	v_and_or_b32 v40, 0x80000000, v1, v4
.LBB51_1292:
	s_mov_b32 s8, 0
.LBB51_1293:
	s_delay_alu instid0(SALU_CYCLE_1)
	s_and_not1_b32 vcc_lo, exec_lo, s8
	s_cbranch_vccnz .LBB51_1295
; %bb.1294:
	global_load_u8 v1, v[2:3], off
	s_wait_loadcnt 0x0
	v_lshlrev_b32_e32 v4, 25, v1
	v_lshlrev_b16 v1, 8, v1
	s_delay_alu instid0(VALU_DEP_1) | instskip(SKIP_1) | instid1(VALU_DEP_2)
	v_and_or_b32 v6, 0x7f00, v1, 0.5
	v_bfe_i32 v1, v1, 0, 16
	v_dual_add_f32 v6, -0.5, v6 :: v_dual_lshrrev_b32 v5, 4, v4
	v_cmp_gt_u32_e32 vcc_lo, 0x8000000, v4
	s_delay_alu instid0(VALU_DEP_2) | instskip(NEXT) | instid1(VALU_DEP_1)
	v_or_b32_e32 v5, 0x70000000, v5
	v_mul_f32_e32 v5, 0x7800000, v5
	s_delay_alu instid0(VALU_DEP_1) | instskip(NEXT) | instid1(VALU_DEP_1)
	v_cndmask_b32_e32 v4, v5, v6, vcc_lo
	v_and_or_b32 v40, 0x80000000, v1, v4
.LBB51_1295:
	s_mov_b32 s8, 0
	s_mov_b32 s9, -1
.LBB51_1296:
	s_and_not1_b32 vcc_lo, exec_lo, s8
	s_mov_b32 s8, 0
	s_cbranch_vccnz .LBB51_1307
; %bb.1297:
	s_cmp_gt_i32 s1, 14
	s_cbranch_scc0 .LBB51_1300
; %bb.1298:
	s_cmp_eq_u32 s1, 15
	s_cbranch_scc0 .LBB51_1303
; %bb.1299:
	global_load_u16 v1, v[2:3], off
	s_mov_b32 s7, 0
	s_mov_b32 s9, -1
	s_wait_loadcnt 0x0
	v_lshlrev_b32_e32 v40, 16, v1
	s_branch .LBB51_1305
.LBB51_1300:
	s_mov_b32 s8, -1
	s_branch .LBB51_1304
.LBB51_1301:
	s_or_saveexec_b32 s9, s9
	v_mov_b32_e32 v40, 0x7f800001
	s_xor_b32 exec_lo, exec_lo, s9
	s_cbranch_execz .LBB51_1282
.LBB51_1302:
	v_cmp_ne_u16_e32 vcc_lo, 0, v1
	v_mov_b32_e32 v40, 0
	s_and_not1_b32 s8, s8, exec_lo
	s_and_b32 s10, vcc_lo, exec_lo
	s_delay_alu instid0(SALU_CYCLE_1)
	s_or_b32 s8, s8, s10
	s_or_b32 exec_lo, exec_lo, s9
	s_and_saveexec_b32 s9, s8
	s_cbranch_execnz .LBB51_1283
	s_branch .LBB51_1284
.LBB51_1303:
	s_mov_b32 s7, -1
.LBB51_1304:
                                        ; implicit-def: $vgpr40
.LBB51_1305:
	s_and_b32 vcc_lo, exec_lo, s8
	s_mov_b32 s8, 0
	s_cbranch_vccz .LBB51_1307
; %bb.1306:
	s_cmp_lg_u32 s1, 11
	s_mov_b32 s8, -1
	s_cselect_b32 s1, -1, 0
	s_and_not1_b32 s7, s7, exec_lo
	s_and_b32 s1, s1, exec_lo
	s_delay_alu instid0(SALU_CYCLE_1)
	s_or_b32 s7, s7, s1
.LBB51_1307:
	s_mov_b32 s10, 0
.LBB51_1308:
	s_and_b32 s1, s9, exec_lo
	s_and_b32 s9, s10, exec_lo
	s_and_not1_b32 s10, s2, exec_lo
	s_and_b32 s7, s7, exec_lo
	s_and_b32 s8, s8, exec_lo
	s_or_b32 s10, s10, s7
.LBB51_1309:
	s_wait_xcnt 0x0
	s_or_b32 exec_lo, exec_lo, s6
	s_delay_alu instid0(SALU_CYCLE_1)
	s_and_b32 s7, s9, exec_lo
	s_and_not1_b32 s2, s2, exec_lo
	s_and_b32 s9, s10, exec_lo
	s_and_b32 s1, s1, exec_lo
	;; [unrolled: 1-line block ×3, first 2 shown]
	s_or_b32 s2, s2, s9
.LBB51_1310:
	s_or_b32 exec_lo, exec_lo, s5
	s_delay_alu instid0(SALU_CYCLE_1)
	s_and_not1_b32 s5, s80, exec_lo
	s_and_b32 s3, s3, exec_lo
	s_and_not1_b32 s8, s81, exec_lo
	s_and_b32 s4, s4, exec_lo
	s_or_b32 s80, s5, s3
	s_or_b32 s81, s8, s4
	s_and_not1_b32 s4, s79, exec_lo
	s_and_b32 s5, s2, exec_lo
	s_and_b32 s1, s1, exec_lo
	;; [unrolled: 1-line block ×4, first 2 shown]
	s_or_b32 s79, s4, s5
.LBB51_1311:
	s_or_b32 exec_lo, exec_lo, s82
	s_delay_alu instid0(SALU_CYCLE_1)
	s_and_not1_b32 s4, s62, exec_lo
	s_and_b32 s5, s80, exec_lo
	s_and_not1_b32 s6, s76, exec_lo
	s_and_b32 s7, s81, exec_lo
	s_or_b32 s62, s4, s5
	s_and_not1_b32 s4, s77, exec_lo
	s_and_b32 s5, s79, exec_lo
	s_or_b32 s76, s6, s7
	s_and_b32 s1, s1, exec_lo
	s_and_b32 s3, s3, exec_lo
	;; [unrolled: 1-line block ×3, first 2 shown]
	s_or_b32 s77, s4, s5
	s_or_b32 exec_lo, exec_lo, s78
	s_mov_b32 s38, 0
	s_and_saveexec_b32 s2, s77
	s_cbranch_execz .LBB51_407
.LBB51_1312:
	s_mov_b32 s38, exec_lo
	s_and_not1_b32 s47, s47, exec_lo
	s_trap 2
	s_or_b32 exec_lo, exec_lo, s2
	s_and_saveexec_b32 s2, s47
	s_delay_alu instid0(SALU_CYCLE_1)
	s_xor_b32 s2, exec_lo, s2
	s_cbranch_execnz .LBB51_408
.LBB51_1313:
	s_or_b32 exec_lo, exec_lo, s2
	s_and_saveexec_b32 s2, s3
	s_cbranch_execz .LBB51_1359
.LBB51_1314:
	s_sext_i32_i16 s3, s0
	s_delay_alu instid0(SALU_CYCLE_1)
	s_cmp_lt_i32 s3, 5
	s_cbranch_scc1 .LBB51_1319
; %bb.1315:
	s_cmp_lt_i32 s3, 8
	s_cbranch_scc1 .LBB51_1320
; %bb.1316:
	;; [unrolled: 3-line block ×3, first 2 shown]
	s_cmp_gt_i32 s3, 9
	s_cbranch_scc0 .LBB51_1322
; %bb.1318:
	global_load_b64 v[4:5], v[2:3], off
	s_mov_b32 s3, 0
	s_wait_loadcnt 0x0
	v_cvt_f32_f64_e32 v40, v[4:5]
	s_branch .LBB51_1323
.LBB51_1319:
                                        ; implicit-def: $vgpr40
	s_branch .LBB51_1340
.LBB51_1320:
                                        ; implicit-def: $vgpr40
	s_branch .LBB51_1329
.LBB51_1321:
	s_mov_b32 s3, -1
                                        ; implicit-def: $vgpr40
	s_branch .LBB51_1326
.LBB51_1322:
	s_mov_b32 s3, -1
                                        ; implicit-def: $vgpr40
.LBB51_1323:
	s_delay_alu instid0(SALU_CYCLE_1)
	s_and_not1_b32 vcc_lo, exec_lo, s3
	s_cbranch_vccnz .LBB51_1325
; %bb.1324:
	s_wait_loadcnt 0x0
	global_load_b32 v40, v[2:3], off
.LBB51_1325:
	s_mov_b32 s3, 0
.LBB51_1326:
	s_delay_alu instid0(SALU_CYCLE_1)
	s_and_not1_b32 vcc_lo, exec_lo, s3
	s_cbranch_vccnz .LBB51_1328
; %bb.1327:
	global_load_b32 v1, v[2:3], off
	s_wait_loadcnt 0x0
	v_cvt_f32_f16_e32 v40, v1
.LBB51_1328:
	s_cbranch_execnz .LBB51_1339
.LBB51_1329:
	s_sext_i32_i16 s3, s0
	s_delay_alu instid0(SALU_CYCLE_1)
	s_cmp_lt_i32 s3, 6
	s_cbranch_scc1 .LBB51_1332
; %bb.1330:
	s_cmp_gt_i32 s3, 6
	s_cbranch_scc0 .LBB51_1333
; %bb.1331:
	global_load_b64 v[4:5], v[2:3], off
	s_mov_b32 s3, 0
	s_wait_loadcnt 0x0
	v_cvt_f32_f64_e32 v40, v[4:5]
	s_branch .LBB51_1334
.LBB51_1332:
	s_mov_b32 s3, -1
                                        ; implicit-def: $vgpr40
	s_branch .LBB51_1337
.LBB51_1333:
	s_mov_b32 s3, -1
                                        ; implicit-def: $vgpr40
.LBB51_1334:
	s_delay_alu instid0(SALU_CYCLE_1)
	s_and_not1_b32 vcc_lo, exec_lo, s3
	s_cbranch_vccnz .LBB51_1336
; %bb.1335:
	s_wait_loadcnt 0x0
	global_load_b32 v40, v[2:3], off
.LBB51_1336:
	s_mov_b32 s3, 0
.LBB51_1337:
	s_delay_alu instid0(SALU_CYCLE_1)
	s_and_not1_b32 vcc_lo, exec_lo, s3
	s_cbranch_vccnz .LBB51_1339
; %bb.1338:
	global_load_u16 v1, v[2:3], off
	s_wait_loadcnt 0x0
	v_cvt_f32_f16_e32 v40, v1
.LBB51_1339:
	s_cbranch_execnz .LBB51_1358
.LBB51_1340:
	s_sext_i32_i16 s3, s0
	s_delay_alu instid0(SALU_CYCLE_1)
	s_cmp_lt_i32 s3, 2
	s_cbranch_scc1 .LBB51_1344
; %bb.1341:
	s_cmp_lt_i32 s3, 3
	s_cbranch_scc1 .LBB51_1345
; %bb.1342:
	s_cmp_gt_i32 s3, 3
	s_cbranch_scc0 .LBB51_1346
; %bb.1343:
	global_load_b64 v[4:5], v[2:3], off
	s_mov_b32 s3, 0
	s_wait_loadcnt 0x0
	v_xor_b32_e32 v1, v4, v5
	v_cls_i32_e32 v6, v5
	s_delay_alu instid0(VALU_DEP_2) | instskip(NEXT) | instid1(VALU_DEP_1)
	v_ashrrev_i32_e32 v1, 31, v1
	v_add_nc_u32_e32 v1, 32, v1
	s_delay_alu instid0(VALU_DEP_1) | instskip(NEXT) | instid1(VALU_DEP_1)
	v_add_min_u32_e64 v1, v6, -1, v1
	v_lshlrev_b64_e32 v[4:5], v1, v[4:5]
	v_sub_nc_u32_e32 v1, 32, v1
	s_delay_alu instid0(VALU_DEP_2) | instskip(NEXT) | instid1(VALU_DEP_1)
	v_min_u32_e32 v4, 1, v4
	v_or_b32_e32 v4, v5, v4
	s_delay_alu instid0(VALU_DEP_1) | instskip(NEXT) | instid1(VALU_DEP_1)
	v_cvt_f32_i32_e32 v4, v4
	v_ldexp_f32 v40, v4, v1
	s_branch .LBB51_1347
.LBB51_1344:
                                        ; implicit-def: $vgpr40
	s_branch .LBB51_1353
.LBB51_1345:
	s_mov_b32 s3, -1
                                        ; implicit-def: $vgpr40
	s_branch .LBB51_1350
.LBB51_1346:
	s_mov_b32 s3, -1
                                        ; implicit-def: $vgpr40
.LBB51_1347:
	s_delay_alu instid0(SALU_CYCLE_1)
	s_and_not1_b32 vcc_lo, exec_lo, s3
	s_cbranch_vccnz .LBB51_1349
; %bb.1348:
	global_load_b32 v1, v[2:3], off
	s_wait_loadcnt 0x0
	v_cvt_f32_i32_e32 v40, v1
.LBB51_1349:
	s_mov_b32 s3, 0
.LBB51_1350:
	s_delay_alu instid0(SALU_CYCLE_1)
	s_and_not1_b32 vcc_lo, exec_lo, s3
	s_cbranch_vccnz .LBB51_1352
; %bb.1351:
	global_load_i16 v1, v[2:3], off
	s_wait_loadcnt 0x0
	v_cvt_f32_i32_e32 v40, v1
.LBB51_1352:
	s_cbranch_execnz .LBB51_1358
.LBB51_1353:
	s_sext_i32_i16 s0, s0
	s_delay_alu instid0(SALU_CYCLE_1)
	s_cmp_gt_i32 s0, 0
	s_mov_b32 s0, 0
	s_cbranch_scc0 .LBB51_1355
; %bb.1354:
	global_load_i8 v1, v[2:3], off
	s_wait_loadcnt 0x0
	v_cvt_f32_i32_e32 v40, v1
	s_branch .LBB51_1356
.LBB51_1355:
	s_mov_b32 s0, -1
                                        ; implicit-def: $vgpr40
.LBB51_1356:
	s_delay_alu instid0(SALU_CYCLE_1)
	s_and_not1_b32 vcc_lo, exec_lo, s0
	s_cbranch_vccnz .LBB51_1358
; %bb.1357:
	global_load_u8 v1, v[2:3], off
	s_wait_loadcnt 0x0
	v_cvt_f32_ubyte0_e32 v40, v1
.LBB51_1358:
	s_or_b32 s1, s1, exec_lo
.LBB51_1359:
	s_wait_xcnt 0x0
	s_or_b32 exec_lo, exec_lo, s2
	s_mov_b32 s2, 0
	s_mov_b32 s5, 0
	s_mov_b32 s4, 0
                                        ; implicit-def: $vgpr2_vgpr3
                                        ; implicit-def: $vgpr42
	s_and_saveexec_b32 s0, s1
	s_cbranch_execz .LBB51_1367
; %bb.1360:
	v_mov_b32_e32 v1, 0
	s_and_b32 s1, 0xffff, s70
	s_delay_alu instid0(SALU_CYCLE_1) | instskip(NEXT) | instid1(VALU_DEP_1)
	s_cmp_lt_i32 s1, 11
	v_add_nc_u64_e32 v[2:3], s[56:57], v[0:1]
	s_cbranch_scc1 .LBB51_1370
; %bb.1361:
	s_cmp_gt_i32 s1, 25
	s_mov_b32 s3, 0
	s_cbranch_scc0 .LBB51_1371
; %bb.1362:
	s_cmp_gt_i32 s1, 28
	s_cbranch_scc0 .LBB51_1372
; %bb.1363:
	s_cmp_gt_i32 s1, 43
	;; [unrolled: 3-line block ×3, first 2 shown]
	s_cbranch_scc0 .LBB51_1374
; %bb.1365:
	s_cmp_eq_u32 s1, 46
	s_cbranch_scc0 .LBB51_1375
; %bb.1366:
	global_load_b32 v0, v[2:3], off
	s_mov_b32 s4, -1
	s_wait_loadcnt 0x0
	v_lshlrev_b32_e32 v42, 16, v0
	s_branch .LBB51_1377
.LBB51_1367:
	s_or_b32 exec_lo, exec_lo, s0
	s_and_saveexec_b32 s0, s76
	s_cbranch_execnz .LBB51_1440
.LBB51_1368:
	s_or_b32 exec_lo, exec_lo, s0
	s_and_saveexec_b32 s0, s2
	s_delay_alu instid0(SALU_CYCLE_1)
	s_xor_b32 s0, exec_lo, s0
	s_cbranch_execz .LBB51_1441
.LBB51_1369:
	global_load_u8 v0, v[2:3], off
	s_or_b32 s4, s4, exec_lo
	s_wait_loadcnt 0x0
	v_cmp_ne_u16_e32 vcc_lo, 0, v0
	v_cndmask_b32_e64 v42, 0, 1.0, vcc_lo
	s_wait_xcnt 0x0
	s_or_b32 exec_lo, exec_lo, s0
	s_and_saveexec_b32 s0, s5
	s_cbranch_execz .LBB51_1487
	s_branch .LBB51_1442
.LBB51_1370:
	s_mov_b32 s1, -1
	s_mov_b32 s3, 0
	s_mov_b32 s2, s76
                                        ; implicit-def: $vgpr42
	s_branch .LBB51_1439
.LBB51_1371:
	s_mov_b32 s2, s76
                                        ; implicit-def: $vgpr42
	s_cbranch_execnz .LBB51_1406
	s_branch .LBB51_1438
.LBB51_1372:
	s_mov_b32 s5, -1
	s_mov_b32 s2, s76
                                        ; implicit-def: $vgpr42
	s_branch .LBB51_1387
.LBB51_1373:
	s_mov_b32 s5, -1
	s_mov_b32 s2, s76
                                        ; implicit-def: $vgpr42
	s_branch .LBB51_1382
.LBB51_1374:
	s_mov_b32 s5, -1
	s_mov_b32 s2, s76
	s_branch .LBB51_1376
.LBB51_1375:
	s_mov_b32 s2, -1
.LBB51_1376:
                                        ; implicit-def: $vgpr42
.LBB51_1377:
	s_and_b32 vcc_lo, exec_lo, s5
	s_cbranch_vccz .LBB51_1381
; %bb.1378:
	s_cmp_eq_u32 s1, 44
	s_cbranch_scc0 .LBB51_1380
; %bb.1379:
	global_load_u8 v0, v[2:3], off
	s_mov_b32 s2, 0
	s_mov_b32 s4, -1
	s_wait_loadcnt 0x0
	v_lshlrev_b32_e32 v1, 23, v0
	v_cmp_ne_u32_e32 vcc_lo, 0xff, v0
	s_delay_alu instid0(VALU_DEP_2) | instskip(SKIP_1) | instid1(VALU_DEP_2)
	v_cndmask_b32_e32 v1, 0x7f800001, v1, vcc_lo
	v_cmp_ne_u32_e32 vcc_lo, 0, v0
	v_cndmask_b32_e32 v42, 0x400000, v1, vcc_lo
	s_branch .LBB51_1381
.LBB51_1380:
	s_mov_b32 s2, -1
                                        ; implicit-def: $vgpr42
.LBB51_1381:
	s_mov_b32 s5, 0
.LBB51_1382:
	s_delay_alu instid0(SALU_CYCLE_1)
	s_and_b32 vcc_lo, exec_lo, s5
	s_cbranch_vccz .LBB51_1386
; %bb.1383:
	s_cmp_eq_u32 s1, 29
	s_cbranch_scc0 .LBB51_1385
; %bb.1384:
	global_load_b64 v[0:1], v[2:3], off
	s_mov_b32 s2, 0
	s_mov_b32 s4, -1
	s_mov_b32 s5, 0
	s_wait_loadcnt 0x0
	v_clz_i32_u32_e32 v4, v1
	s_delay_alu instid0(VALU_DEP_1) | instskip(NEXT) | instid1(VALU_DEP_1)
	v_min_u32_e32 v4, 32, v4
	v_lshlrev_b64_e32 v[0:1], v4, v[0:1]
	s_delay_alu instid0(VALU_DEP_1) | instskip(NEXT) | instid1(VALU_DEP_1)
	v_min_u32_e32 v0, 1, v0
	v_or_b32_e32 v0, v1, v0
	v_sub_nc_u32_e32 v1, 32, v4
	s_delay_alu instid0(VALU_DEP_2) | instskip(NEXT) | instid1(VALU_DEP_1)
	v_cvt_f32_u32_e32 v0, v0
	v_ldexp_f32 v42, v0, v1
	s_branch .LBB51_1387
.LBB51_1385:
	s_mov_b32 s2, -1
                                        ; implicit-def: $vgpr42
.LBB51_1386:
	s_mov_b32 s5, 0
.LBB51_1387:
	s_delay_alu instid0(SALU_CYCLE_1)
	s_and_b32 vcc_lo, exec_lo, s5
	s_cbranch_vccz .LBB51_1405
; %bb.1388:
	s_cmp_lt_i32 s1, 27
	s_cbranch_scc1 .LBB51_1391
; %bb.1389:
	s_cmp_gt_i32 s1, 27
	s_cbranch_scc0 .LBB51_1392
; %bb.1390:
	global_load_b32 v0, v[2:3], off
	s_mov_b32 s4, 0
	s_wait_loadcnt 0x0
	v_cvt_f32_u32_e32 v42, v0
	s_branch .LBB51_1393
.LBB51_1391:
	s_mov_b32 s4, -1
                                        ; implicit-def: $vgpr42
	s_branch .LBB51_1396
.LBB51_1392:
	s_mov_b32 s4, -1
                                        ; implicit-def: $vgpr42
.LBB51_1393:
	s_delay_alu instid0(SALU_CYCLE_1)
	s_and_not1_b32 vcc_lo, exec_lo, s4
	s_cbranch_vccnz .LBB51_1395
; %bb.1394:
	global_load_u16 v0, v[2:3], off
	s_wait_loadcnt 0x0
	v_cvt_f32_u32_e32 v42, v0
.LBB51_1395:
	s_mov_b32 s4, 0
.LBB51_1396:
	s_delay_alu instid0(SALU_CYCLE_1)
	s_and_not1_b32 vcc_lo, exec_lo, s4
	s_cbranch_vccnz .LBB51_1404
; %bb.1397:
	global_load_u8 v0, v[2:3], off
	s_mov_b32 s4, 0
	s_mov_b32 s5, exec_lo
	s_wait_loadcnt 0x0
	v_cmpx_lt_i16_e32 0x7f, v0
	s_xor_b32 s5, exec_lo, s5
	s_cbranch_execz .LBB51_1417
; %bb.1398:
	s_mov_b32 s4, -1
	s_mov_b32 s6, exec_lo
	v_cmpx_eq_u16_e32 0x80, v0
; %bb.1399:
	s_xor_b32 s4, exec_lo, -1
; %bb.1400:
	s_or_b32 exec_lo, exec_lo, s6
	s_delay_alu instid0(SALU_CYCLE_1)
	s_and_b32 s4, s4, exec_lo
	s_or_saveexec_b32 s5, s5
	v_mov_b32_e32 v42, 0x7f800001
	s_xor_b32 exec_lo, exec_lo, s5
	s_cbranch_execnz .LBB51_1418
.LBB51_1401:
	s_or_b32 exec_lo, exec_lo, s5
	s_and_saveexec_b32 s5, s4
	s_cbranch_execz .LBB51_1403
.LBB51_1402:
	v_and_b32_e32 v1, 0xffff, v0
	s_delay_alu instid0(VALU_DEP_1) | instskip(SKIP_1) | instid1(VALU_DEP_2)
	v_dual_lshlrev_b32 v0, 24, v0 :: v_dual_bitop2_b32 v4, 7, v1 bitop3:0x40
	v_bfe_u32 v7, v1, 3, 4
	v_and_b32_e32 v0, 0x80000000, v0
	s_delay_alu instid0(VALU_DEP_3) | instskip(NEXT) | instid1(VALU_DEP_3)
	v_clz_i32_u32_e32 v5, v4
	v_cmp_eq_u32_e32 vcc_lo, 0, v7
	s_delay_alu instid0(VALU_DEP_2) | instskip(NEXT) | instid1(VALU_DEP_1)
	v_min_u32_e32 v5, 32, v5
	v_subrev_nc_u32_e32 v6, 28, v5
	v_sub_nc_u32_e32 v5, 29, v5
	s_delay_alu instid0(VALU_DEP_2) | instskip(NEXT) | instid1(VALU_DEP_2)
	v_lshlrev_b32_e32 v1, v6, v1
	v_cndmask_b32_e32 v5, v7, v5, vcc_lo
	s_delay_alu instid0(VALU_DEP_2) | instskip(NEXT) | instid1(VALU_DEP_1)
	v_and_b32_e32 v1, 7, v1
	v_cndmask_b32_e32 v1, v4, v1, vcc_lo
	s_delay_alu instid0(VALU_DEP_3) | instskip(NEXT) | instid1(VALU_DEP_2)
	v_lshl_add_u32 v4, v5, 23, 0x3b800000
	v_lshlrev_b32_e32 v1, 20, v1
	s_delay_alu instid0(VALU_DEP_1)
	v_or3_b32 v42, v0, v4, v1
.LBB51_1403:
	s_or_b32 exec_lo, exec_lo, s5
.LBB51_1404:
	s_mov_b32 s4, -1
.LBB51_1405:
	s_branch .LBB51_1438
.LBB51_1406:
	s_cmp_gt_i32 s1, 22
	s_cbranch_scc0 .LBB51_1416
; %bb.1407:
	s_cmp_lt_i32 s1, 24
	s_cbranch_scc1 .LBB51_1419
; %bb.1408:
	s_cmp_gt_i32 s1, 24
	s_cbranch_scc0 .LBB51_1420
; %bb.1409:
	global_load_u8 v0, v[2:3], off
	s_mov_b32 s4, exec_lo
	s_wait_loadcnt 0x0
	v_cmpx_lt_i16_e32 0x7f, v0
	s_xor_b32 s4, exec_lo, s4
	s_cbranch_execz .LBB51_1432
; %bb.1410:
	s_mov_b32 s3, -1
	s_mov_b32 s5, exec_lo
	v_cmpx_eq_u16_e32 0x80, v0
; %bb.1411:
	s_xor_b32 s3, exec_lo, -1
; %bb.1412:
	s_or_b32 exec_lo, exec_lo, s5
	s_delay_alu instid0(SALU_CYCLE_1)
	s_and_b32 s3, s3, exec_lo
	s_or_saveexec_b32 s4, s4
	v_mov_b32_e32 v42, 0x7f800001
	s_xor_b32 exec_lo, exec_lo, s4
	s_cbranch_execnz .LBB51_1433
.LBB51_1413:
	s_or_b32 exec_lo, exec_lo, s4
	s_and_saveexec_b32 s4, s3
	s_cbranch_execz .LBB51_1415
.LBB51_1414:
	v_and_b32_e32 v1, 0xffff, v0
	s_delay_alu instid0(VALU_DEP_1) | instskip(SKIP_1) | instid1(VALU_DEP_2)
	v_dual_lshlrev_b32 v0, 24, v0 :: v_dual_bitop2_b32 v4, 3, v1 bitop3:0x40
	v_bfe_u32 v7, v1, 2, 5
	v_and_b32_e32 v0, 0x80000000, v0
	s_delay_alu instid0(VALU_DEP_3) | instskip(NEXT) | instid1(VALU_DEP_3)
	v_clz_i32_u32_e32 v5, v4
	v_cmp_eq_u32_e32 vcc_lo, 0, v7
	s_delay_alu instid0(VALU_DEP_2) | instskip(NEXT) | instid1(VALU_DEP_1)
	v_min_u32_e32 v5, 32, v5
	v_subrev_nc_u32_e32 v6, 29, v5
	v_sub_nc_u32_e32 v5, 30, v5
	s_delay_alu instid0(VALU_DEP_2) | instskip(NEXT) | instid1(VALU_DEP_2)
	v_lshlrev_b32_e32 v1, v6, v1
	v_cndmask_b32_e32 v5, v7, v5, vcc_lo
	s_delay_alu instid0(VALU_DEP_2) | instskip(NEXT) | instid1(VALU_DEP_1)
	v_and_b32_e32 v1, 3, v1
	v_cndmask_b32_e32 v1, v4, v1, vcc_lo
	s_delay_alu instid0(VALU_DEP_3) | instskip(NEXT) | instid1(VALU_DEP_2)
	v_lshl_add_u32 v4, v5, 23, 0x37800000
	v_lshlrev_b32_e32 v1, 21, v1
	s_delay_alu instid0(VALU_DEP_1)
	v_or3_b32 v42, v0, v4, v1
.LBB51_1415:
	s_or_b32 exec_lo, exec_lo, s4
	s_mov_b32 s3, 0
	s_branch .LBB51_1421
.LBB51_1416:
	s_mov_b32 s3, -1
                                        ; implicit-def: $vgpr42
	s_branch .LBB51_1427
.LBB51_1417:
	s_or_saveexec_b32 s5, s5
	v_mov_b32_e32 v42, 0x7f800001
	s_xor_b32 exec_lo, exec_lo, s5
	s_cbranch_execz .LBB51_1401
.LBB51_1418:
	v_cmp_ne_u16_e32 vcc_lo, 0, v0
	v_mov_b32_e32 v42, 0
	s_and_not1_b32 s4, s4, exec_lo
	s_and_b32 s6, vcc_lo, exec_lo
	s_delay_alu instid0(SALU_CYCLE_1)
	s_or_b32 s4, s4, s6
	s_or_b32 exec_lo, exec_lo, s5
	s_and_saveexec_b32 s5, s4
	s_cbranch_execnz .LBB51_1402
	s_branch .LBB51_1403
.LBB51_1419:
	s_mov_b32 s3, -1
                                        ; implicit-def: $vgpr42
	s_branch .LBB51_1424
.LBB51_1420:
	s_mov_b32 s3, -1
                                        ; implicit-def: $vgpr42
.LBB51_1421:
	s_delay_alu instid0(SALU_CYCLE_1)
	s_and_b32 vcc_lo, exec_lo, s3
	s_cbranch_vccz .LBB51_1423
; %bb.1422:
	global_load_u8 v0, v[2:3], off
	s_wait_loadcnt 0x0
	v_lshlrev_b32_e32 v0, 24, v0
	s_delay_alu instid0(VALU_DEP_1) | instskip(NEXT) | instid1(VALU_DEP_1)
	v_and_b32_e32 v1, 0x7f000000, v0
	v_clz_i32_u32_e32 v4, v1
	v_cmp_ne_u32_e32 vcc_lo, 0, v1
	v_add_nc_u32_e32 v6, 0x1000000, v1
	s_delay_alu instid0(VALU_DEP_3) | instskip(NEXT) | instid1(VALU_DEP_1)
	v_min_u32_e32 v4, 32, v4
	v_sub_nc_u32_e64 v4, v4, 4 clamp
	s_delay_alu instid0(VALU_DEP_1) | instskip(NEXT) | instid1(VALU_DEP_1)
	v_dual_lshlrev_b32 v5, v4, v1 :: v_dual_lshlrev_b32 v4, 23, v4
	v_lshrrev_b32_e32 v5, 4, v5
	s_delay_alu instid0(VALU_DEP_1) | instskip(NEXT) | instid1(VALU_DEP_1)
	v_dual_sub_nc_u32 v4, v5, v4 :: v_dual_ashrrev_i32 v5, 8, v6
	v_add_nc_u32_e32 v4, 0x3c000000, v4
	s_delay_alu instid0(VALU_DEP_1) | instskip(NEXT) | instid1(VALU_DEP_1)
	v_and_or_b32 v4, 0x7f800000, v5, v4
	v_cndmask_b32_e32 v1, 0, v4, vcc_lo
	s_delay_alu instid0(VALU_DEP_1)
	v_and_or_b32 v42, 0x80000000, v0, v1
.LBB51_1423:
	s_mov_b32 s3, 0
.LBB51_1424:
	s_delay_alu instid0(SALU_CYCLE_1)
	s_and_not1_b32 vcc_lo, exec_lo, s3
	s_cbranch_vccnz .LBB51_1426
; %bb.1425:
	global_load_u8 v0, v[2:3], off
	s_wait_loadcnt 0x0
	v_lshlrev_b32_e32 v1, 25, v0
	v_lshlrev_b16 v0, 8, v0
	s_delay_alu instid0(VALU_DEP_1) | instskip(SKIP_1) | instid1(VALU_DEP_2)
	v_and_or_b32 v5, 0x7f00, v0, 0.5
	v_bfe_i32 v0, v0, 0, 16
	v_add_f32_e32 v5, -0.5, v5
	v_lshrrev_b32_e32 v4, 4, v1
	v_cmp_gt_u32_e32 vcc_lo, 0x8000000, v1
	s_delay_alu instid0(VALU_DEP_2) | instskip(NEXT) | instid1(VALU_DEP_1)
	v_or_b32_e32 v4, 0x70000000, v4
	v_mul_f32_e32 v4, 0x7800000, v4
	s_delay_alu instid0(VALU_DEP_1) | instskip(NEXT) | instid1(VALU_DEP_1)
	v_cndmask_b32_e32 v1, v4, v5, vcc_lo
	v_and_or_b32 v42, 0x80000000, v0, v1
.LBB51_1426:
	s_mov_b32 s3, 0
	s_mov_b32 s4, -1
.LBB51_1427:
	s_and_not1_b32 vcc_lo, exec_lo, s3
	s_mov_b32 s3, 0
	s_cbranch_vccnz .LBB51_1438
; %bb.1428:
	s_cmp_gt_i32 s1, 14
	s_cbranch_scc0 .LBB51_1431
; %bb.1429:
	s_cmp_eq_u32 s1, 15
	s_cbranch_scc0 .LBB51_1434
; %bb.1430:
	global_load_u16 v0, v[2:3], off
	s_mov_b32 s2, 0
	s_mov_b32 s4, -1
	s_wait_loadcnt 0x0
	v_lshlrev_b32_e32 v42, 16, v0
	s_branch .LBB51_1436
.LBB51_1431:
	s_mov_b32 s3, -1
	s_branch .LBB51_1435
.LBB51_1432:
	s_or_saveexec_b32 s4, s4
	v_mov_b32_e32 v42, 0x7f800001
	s_xor_b32 exec_lo, exec_lo, s4
	s_cbranch_execz .LBB51_1413
.LBB51_1433:
	v_cmp_ne_u16_e32 vcc_lo, 0, v0
	v_mov_b32_e32 v42, 0
	s_and_not1_b32 s3, s3, exec_lo
	s_and_b32 s5, vcc_lo, exec_lo
	s_delay_alu instid0(SALU_CYCLE_1)
	s_or_b32 s3, s3, s5
	s_or_b32 exec_lo, exec_lo, s4
	s_and_saveexec_b32 s4, s3
	s_cbranch_execnz .LBB51_1414
	s_branch .LBB51_1415
.LBB51_1434:
	s_mov_b32 s2, -1
.LBB51_1435:
                                        ; implicit-def: $vgpr42
.LBB51_1436:
	s_and_b32 vcc_lo, exec_lo, s3
	s_mov_b32 s3, 0
	s_cbranch_vccz .LBB51_1438
; %bb.1437:
	s_cmp_lg_u32 s1, 11
	s_mov_b32 s3, -1
	s_cselect_b32 s1, -1, 0
	s_and_not1_b32 s2, s2, exec_lo
	s_and_b32 s1, s1, exec_lo
	s_delay_alu instid0(SALU_CYCLE_1)
	s_or_b32 s2, s2, s1
.LBB51_1438:
	s_mov_b32 s1, 0
.LBB51_1439:
	s_delay_alu instid0(SALU_CYCLE_1)
	s_and_b32 s5, s1, exec_lo
	s_and_not1_b32 s1, s76, exec_lo
	s_and_b32 s6, s2, exec_lo
	s_and_b32 s4, s4, exec_lo
	;; [unrolled: 1-line block ×3, first 2 shown]
	s_or_b32 s76, s1, s6
	s_wait_xcnt 0x0
	s_or_b32 exec_lo, exec_lo, s0
	s_and_saveexec_b32 s0, s76
	s_cbranch_execz .LBB51_1368
.LBB51_1440:
	s_or_b32 s38, s38, exec_lo
	s_and_not1_b32 s2, s2, exec_lo
	s_trap 2
	s_or_b32 exec_lo, exec_lo, s0
	s_and_saveexec_b32 s0, s2
	s_delay_alu instid0(SALU_CYCLE_1)
	s_xor_b32 s0, exec_lo, s0
	s_cbranch_execnz .LBB51_1369
.LBB51_1441:
	s_or_b32 exec_lo, exec_lo, s0
	s_and_saveexec_b32 s0, s5
	s_cbranch_execz .LBB51_1487
.LBB51_1442:
	s_sext_i32_i16 s1, s70
	s_delay_alu instid0(SALU_CYCLE_1)
	s_cmp_lt_i32 s1, 5
	s_cbranch_scc1 .LBB51_1447
; %bb.1443:
	s_cmp_lt_i32 s1, 8
	s_cbranch_scc1 .LBB51_1448
; %bb.1444:
	;; [unrolled: 3-line block ×3, first 2 shown]
	s_cmp_gt_i32 s1, 9
	s_cbranch_scc0 .LBB51_1450
; %bb.1446:
	global_load_b64 v[0:1], v[2:3], off
	s_mov_b32 s1, 0
	s_wait_loadcnt 0x0
	v_cvt_f32_f64_e32 v42, v[0:1]
	s_branch .LBB51_1451
.LBB51_1447:
                                        ; implicit-def: $vgpr42
	s_branch .LBB51_1468
.LBB51_1448:
                                        ; implicit-def: $vgpr42
	s_branch .LBB51_1457
.LBB51_1449:
	s_mov_b32 s1, -1
                                        ; implicit-def: $vgpr42
	s_branch .LBB51_1454
.LBB51_1450:
	s_mov_b32 s1, -1
                                        ; implicit-def: $vgpr42
.LBB51_1451:
	s_delay_alu instid0(SALU_CYCLE_1)
	s_and_not1_b32 vcc_lo, exec_lo, s1
	s_cbranch_vccnz .LBB51_1453
; %bb.1452:
	s_wait_loadcnt 0x0
	global_load_b32 v42, v[2:3], off
.LBB51_1453:
	s_mov_b32 s1, 0
.LBB51_1454:
	s_delay_alu instid0(SALU_CYCLE_1)
	s_and_not1_b32 vcc_lo, exec_lo, s1
	s_cbranch_vccnz .LBB51_1456
; %bb.1455:
	global_load_b32 v0, v[2:3], off
	s_wait_loadcnt 0x0
	v_cvt_f32_f16_e32 v42, v0
.LBB51_1456:
	s_cbranch_execnz .LBB51_1467
.LBB51_1457:
	s_sext_i32_i16 s1, s70
	s_delay_alu instid0(SALU_CYCLE_1)
	s_cmp_lt_i32 s1, 6
	s_cbranch_scc1 .LBB51_1460
; %bb.1458:
	s_cmp_gt_i32 s1, 6
	s_cbranch_scc0 .LBB51_1461
; %bb.1459:
	global_load_b64 v[0:1], v[2:3], off
	s_mov_b32 s1, 0
	s_wait_loadcnt 0x0
	v_cvt_f32_f64_e32 v42, v[0:1]
	s_branch .LBB51_1462
.LBB51_1460:
	s_mov_b32 s1, -1
                                        ; implicit-def: $vgpr42
	s_branch .LBB51_1465
.LBB51_1461:
	s_mov_b32 s1, -1
                                        ; implicit-def: $vgpr42
.LBB51_1462:
	s_delay_alu instid0(SALU_CYCLE_1)
	s_and_not1_b32 vcc_lo, exec_lo, s1
	s_cbranch_vccnz .LBB51_1464
; %bb.1463:
	s_wait_loadcnt 0x0
	global_load_b32 v42, v[2:3], off
.LBB51_1464:
	s_mov_b32 s1, 0
.LBB51_1465:
	s_delay_alu instid0(SALU_CYCLE_1)
	s_and_not1_b32 vcc_lo, exec_lo, s1
	s_cbranch_vccnz .LBB51_1467
; %bb.1466:
	global_load_u16 v0, v[2:3], off
	s_wait_loadcnt 0x0
	v_cvt_f32_f16_e32 v42, v0
.LBB51_1467:
	s_cbranch_execnz .LBB51_1486
.LBB51_1468:
	s_sext_i32_i16 s1, s70
	s_delay_alu instid0(SALU_CYCLE_1)
	s_cmp_lt_i32 s1, 2
	s_cbranch_scc1 .LBB51_1472
; %bb.1469:
	s_cmp_lt_i32 s1, 3
	s_cbranch_scc1 .LBB51_1473
; %bb.1470:
	s_cmp_gt_i32 s1, 3
	s_cbranch_scc0 .LBB51_1474
; %bb.1471:
	global_load_b64 v[0:1], v[2:3], off
	s_mov_b32 s1, 0
	s_wait_loadcnt 0x0
	v_xor_b32_e32 v4, v0, v1
	v_cls_i32_e32 v5, v1
	s_delay_alu instid0(VALU_DEP_2) | instskip(NEXT) | instid1(VALU_DEP_1)
	v_ashrrev_i32_e32 v4, 31, v4
	v_add_nc_u32_e32 v4, 32, v4
	s_delay_alu instid0(VALU_DEP_1) | instskip(NEXT) | instid1(VALU_DEP_1)
	v_add_min_u32_e64 v4, v5, -1, v4
	v_lshlrev_b64_e32 v[0:1], v4, v[0:1]
	s_delay_alu instid0(VALU_DEP_1) | instskip(NEXT) | instid1(VALU_DEP_1)
	v_min_u32_e32 v0, 1, v0
	v_or_b32_e32 v0, v1, v0
	v_sub_nc_u32_e32 v1, 32, v4
	s_delay_alu instid0(VALU_DEP_2) | instskip(NEXT) | instid1(VALU_DEP_1)
	v_cvt_f32_i32_e32 v0, v0
	v_ldexp_f32 v42, v0, v1
	s_branch .LBB51_1475
.LBB51_1472:
                                        ; implicit-def: $vgpr42
	s_branch .LBB51_1481
.LBB51_1473:
	s_mov_b32 s1, -1
                                        ; implicit-def: $vgpr42
	s_branch .LBB51_1478
.LBB51_1474:
	s_mov_b32 s1, -1
                                        ; implicit-def: $vgpr42
.LBB51_1475:
	s_delay_alu instid0(SALU_CYCLE_1)
	s_and_not1_b32 vcc_lo, exec_lo, s1
	s_cbranch_vccnz .LBB51_1477
; %bb.1476:
	global_load_b32 v0, v[2:3], off
	s_wait_loadcnt 0x0
	v_cvt_f32_i32_e32 v42, v0
.LBB51_1477:
	s_mov_b32 s1, 0
.LBB51_1478:
	s_delay_alu instid0(SALU_CYCLE_1)
	s_and_not1_b32 vcc_lo, exec_lo, s1
	s_cbranch_vccnz .LBB51_1480
; %bb.1479:
	global_load_i16 v0, v[2:3], off
	s_wait_loadcnt 0x0
	v_cvt_f32_i32_e32 v42, v0
.LBB51_1480:
	s_cbranch_execnz .LBB51_1486
.LBB51_1481:
	s_sext_i32_i16 s1, s70
	s_delay_alu instid0(SALU_CYCLE_1)
	s_cmp_gt_i32 s1, 0
	s_mov_b32 s1, 0
	s_cbranch_scc0 .LBB51_1483
; %bb.1482:
	global_load_i8 v0, v[2:3], off
	s_wait_loadcnt 0x0
	v_cvt_f32_i32_e32 v42, v0
	s_branch .LBB51_1484
.LBB51_1483:
	s_mov_b32 s1, -1
                                        ; implicit-def: $vgpr42
.LBB51_1484:
	s_delay_alu instid0(SALU_CYCLE_1)
	s_and_not1_b32 vcc_lo, exec_lo, s1
	s_cbranch_vccnz .LBB51_1486
; %bb.1485:
	global_load_u8 v0, v[2:3], off
	s_wait_loadcnt 0x0
	v_cvt_f32_ubyte0_e32 v42, v0
.LBB51_1486:
	s_or_b32 s4, s4, exec_lo
.LBB51_1487:
	s_wait_xcnt 0x0
	s_or_b32 exec_lo, exec_lo, s0
	s_mov_b32 s0, 0
	s_mov_b32 s2, 0
                                        ; implicit-def: $sgpr1
                                        ; implicit-def: $vgpr2_vgpr3
                                        ; implicit-def: $vgpr0
	s_and_saveexec_b32 s39, s4
	s_cbranch_execz .LBB51_1490
; %bb.1488:
	s_and_not1_b32 vcc_lo, exec_lo, s49
	s_cbranch_vccnz .LBB51_1493
; %bb.1489:
	s_wait_loadcnt 0x0
	s_delay_alu instid0(VALU_DEP_1) | instskip(SKIP_2) | instid1(SALU_CYCLE_1)
	v_dual_mov_b32 v0, v40 :: v_dual_mov_b32 v1, v42
	s_get_pc_i64 s[0:1]
	s_add_nc_u64 s[0:1], s[0:1], _ZN12_GLOBAL__N_111calc_igammaIfEET_S1_S1_@rel64+4
	s_swap_pc_i64 s[30:31], s[0:1]
	s_cbranch_execz .LBB51_1494
	s_branch .LBB51_1495
.LBB51_1490:
	s_or_b32 exec_lo, exec_lo, s39
	s_and_saveexec_b32 s3, s62
	s_cbranch_execnz .LBB51_1572
.LBB51_1491:
	s_or_b32 exec_lo, exec_lo, s3
	s_and_saveexec_b32 s3, s0
	s_delay_alu instid0(SALU_CYCLE_1)
	s_xor_b32 s0, exec_lo, s3
	s_cbranch_execz .LBB51_1573
.LBB51_1492:
	v_cmp_neq_f32_e32 vcc_lo, 0, v0
	v_cndmask_b32_e64 v1, 0, 1, vcc_lo
	global_store_b8 v[2:3], v1, off
	s_wait_xcnt 0x0
	s_or_b32 exec_lo, exec_lo, s0
	s_and_saveexec_b32 s0, s2
	s_delay_alu instid0(SALU_CYCLE_1)
	s_xor_b32 s0, exec_lo, s0
	s_cbranch_execz .LBB51_1611
	s_branch .LBB51_1574
.LBB51_1493:
                                        ; implicit-def: $vgpr0
.LBB51_1494:
	s_wait_loadcnt 0x0
	s_delay_alu instid0(VALU_DEP_1) | instskip(SKIP_2) | instid1(SALU_CYCLE_1)
	v_dual_mov_b32 v0, v40 :: v_dual_mov_b32 v1, v42
	s_get_pc_i64 s[0:1]
	s_add_nc_u64 s[0:1], s[0:1], _ZN12_GLOBAL__N_112calc_igammacIfEET_S1_S1_@rel64+4
	s_swap_pc_i64 s[30:31], s[0:1]
.LBB51_1495:
	v_mov_b32_e32 v47, 0
	s_and_b32 s1, s69, 0xff
	s_delay_alu instid0(SALU_CYCLE_1) | instskip(NEXT) | instid1(VALU_DEP_1)
	s_cmp_lt_i32 s1, 11
	v_add_nc_u64_e32 v[2:3], s[36:37], v[46:47]
	s_cbranch_scc1 .LBB51_1502
; %bb.1496:
	s_and_b32 s2, 0xffff, s1
	s_mov_b32 s3, -1
	s_cmp_gt_i32 s2, 25
	s_mov_b32 s0, s62
	s_cbranch_scc0 .LBB51_1530
; %bb.1497:
	s_cmp_gt_i32 s2, 28
	s_mov_b32 s0, s62
	s_cbranch_scc0 .LBB51_1514
; %bb.1498:
	;; [unrolled: 4-line block ×4, first 2 shown]
	s_cmp_eq_u32 s2, 46
	s_mov_b32 s0, -1
	s_cbranch_scc0 .LBB51_1503
; %bb.1501:
	v_bfe_u32 v1, v0, 16, 1
	v_cmp_o_f32_e32 vcc_lo, v0, v0
	s_mov_b32 s0, 0
	s_mov_b32 s3, 0
	s_delay_alu instid0(VALU_DEP_2) | instskip(NEXT) | instid1(VALU_DEP_1)
	v_add3_u32 v1, v0, v1, 0x7fff
	v_lshrrev_b32_e32 v1, 16, v1
	s_delay_alu instid0(VALU_DEP_1)
	v_cndmask_b32_e32 v1, 0x7fc0, v1, vcc_lo
	global_store_b32 v[2:3], v1, off
	s_branch .LBB51_1504
.LBB51_1502:
	s_mov_b32 s4, 0
	s_mov_b32 s3, -1
	s_mov_b32 s0, s62
	s_branch .LBB51_1571
.LBB51_1503:
	s_mov_b32 s3, 0
.LBB51_1504:
	s_delay_alu instid0(SALU_CYCLE_1)
	s_and_b32 vcc_lo, exec_lo, s3
	s_cbranch_vccz .LBB51_1509
; %bb.1505:
	s_cmp_eq_u32 s2, 44
	s_mov_b32 s0, -1
	s_cbranch_scc0 .LBB51_1509
; %bb.1506:
	v_bfe_u32 v4, v0, 23, 8
	s_wait_xcnt 0x0
	v_mov_b32_e32 v1, 0xff
	s_mov_b32 s3, exec_lo
	s_delay_alu instid0(VALU_DEP_2)
	v_cmpx_ne_u32_e32 0xff, v4
	s_cbranch_execz .LBB51_1508
; %bb.1507:
	v_and_b32_e32 v1, 0x400000, v0
	v_and_or_b32 v4, 0x3fffff, v0, v4
	s_delay_alu instid0(VALU_DEP_2) | instskip(NEXT) | instid1(VALU_DEP_2)
	v_cmp_ne_u32_e32 vcc_lo, 0, v1
	v_cmp_ne_u32_e64 s0, 0, v4
	v_lshrrev_b32_e32 v1, 23, v0
	s_and_b32 s0, vcc_lo, s0
	s_delay_alu instid0(SALU_CYCLE_1) | instskip(NEXT) | instid1(VALU_DEP_1)
	v_cndmask_b32_e64 v4, 0, 1, s0
	v_add_nc_u32_e32 v1, v1, v4
.LBB51_1508:
	s_or_b32 exec_lo, exec_lo, s3
	s_mov_b32 s0, 0
	global_store_b8 v[2:3], v1, off
.LBB51_1509:
	s_mov_b32 s3, 0
.LBB51_1510:
	s_delay_alu instid0(SALU_CYCLE_1)
	s_and_b32 vcc_lo, exec_lo, s3
	s_cbranch_vccz .LBB51_1513
; %bb.1511:
	s_cmp_eq_u32 s2, 29
	s_mov_b32 s0, -1
	s_cbranch_scc0 .LBB51_1513
; %bb.1512:
	s_wait_xcnt 0x0
	v_trunc_f32_e32 v1, v0
	s_mov_b32 s0, 0
	s_mov_b32 s3, 0
	s_delay_alu instid0(VALU_DEP_1) | instskip(NEXT) | instid1(VALU_DEP_1)
	v_mul_f32_e32 v4, 0x2f800000, v1
	v_floor_f32_e32 v4, v4
	s_delay_alu instid0(VALU_DEP_1) | instskip(SKIP_1) | instid1(VALU_DEP_2)
	v_fmamk_f32 v1, v4, 0xcf800000, v1
	v_cvt_u32_f32_e32 v5, v4
	v_cvt_u32_f32_e32 v4, v1
	global_store_b64 v[2:3], v[4:5], off
	s_branch .LBB51_1514
.LBB51_1513:
	s_mov_b32 s3, 0
.LBB51_1514:
	s_delay_alu instid0(SALU_CYCLE_1)
	s_and_b32 vcc_lo, exec_lo, s3
	s_cbranch_vccz .LBB51_1529
; %bb.1515:
	s_cmp_lt_i32 s2, 27
	s_mov_b32 s3, -1
	s_cbranch_scc1 .LBB51_1521
; %bb.1516:
	s_cmp_gt_i32 s2, 27
	s_cbranch_scc0 .LBB51_1518
; %bb.1517:
	s_wait_xcnt 0x0
	v_cvt_u32_f32_e32 v1, v0
	s_mov_b32 s3, 0
	global_store_b32 v[2:3], v1, off
.LBB51_1518:
	s_and_not1_b32 vcc_lo, exec_lo, s3
	s_cbranch_vccnz .LBB51_1520
; %bb.1519:
	s_wait_xcnt 0x0
	v_cvt_u32_f32_e32 v1, v0
	global_store_b16 v[2:3], v1, off
.LBB51_1520:
	s_mov_b32 s3, 0
.LBB51_1521:
	s_delay_alu instid0(SALU_CYCLE_1)
	s_and_not1_b32 vcc_lo, exec_lo, s3
	s_cbranch_vccnz .LBB51_1529
; %bb.1522:
	s_wait_xcnt 0x0
	v_and_b32_e32 v1, 0x7fffffff, v0
	v_mov_b32_e32 v4, 0x80
	s_mov_b32 s3, exec_lo
	s_delay_alu instid0(VALU_DEP_2)
	v_cmpx_gt_u32_e32 0x43800000, v1
	s_cbranch_execz .LBB51_1528
; %bb.1523:
	v_cmp_lt_u32_e32 vcc_lo, 0x3bffffff, v1
	s_mov_b32 s4, 0
                                        ; implicit-def: $vgpr1
	s_and_saveexec_b32 s5, vcc_lo
	s_delay_alu instid0(SALU_CYCLE_1)
	s_xor_b32 s5, exec_lo, s5
	s_cbranch_execz .LBB51_1670
; %bb.1524:
	v_bfe_u32 v1, v0, 20, 1
	s_mov_b32 s4, exec_lo
	s_delay_alu instid0(VALU_DEP_1) | instskip(NEXT) | instid1(VALU_DEP_1)
	v_add3_u32 v1, v0, v1, 0x487ffff
	v_lshrrev_b32_e32 v1, 20, v1
	s_and_not1_saveexec_b32 s5, s5
	s_cbranch_execnz .LBB51_1671
.LBB51_1525:
	s_or_b32 exec_lo, exec_lo, s5
	v_mov_b32_e32 v4, 0
	s_and_saveexec_b32 s5, s4
.LBB51_1526:
	v_lshrrev_b32_e32 v4, 24, v0
	s_delay_alu instid0(VALU_DEP_1)
	v_and_or_b32 v4, 0x80, v4, v1
.LBB51_1527:
	s_or_b32 exec_lo, exec_lo, s5
.LBB51_1528:
	s_delay_alu instid0(SALU_CYCLE_1)
	s_or_b32 exec_lo, exec_lo, s3
	global_store_b8 v[2:3], v4, off
.LBB51_1529:
	s_mov_b32 s3, 0
.LBB51_1530:
	s_delay_alu instid0(SALU_CYCLE_1)
	s_and_b32 vcc_lo, exec_lo, s3
	s_mov_b32 s3, 0
	s_cbranch_vccz .LBB51_1570
; %bb.1531:
	s_cmp_gt_i32 s2, 22
	s_mov_b32 s4, -1
	s_cbranch_scc0 .LBB51_1563
; %bb.1532:
	s_cmp_lt_i32 s2, 24
	s_cbranch_scc1 .LBB51_1552
; %bb.1533:
	s_cmp_gt_i32 s2, 24
	s_cbranch_scc0 .LBB51_1541
; %bb.1534:
	s_wait_xcnt 0x0
	v_and_b32_e32 v1, 0x7fffffff, v0
	v_mov_b32_e32 v4, 0x80
	s_mov_b32 s4, exec_lo
	s_delay_alu instid0(VALU_DEP_2)
	v_cmpx_gt_u32_e32 0x47800000, v1
	s_cbranch_execz .LBB51_1540
; %bb.1535:
	v_cmp_lt_u32_e32 vcc_lo, 0x37ffffff, v1
	s_mov_b32 s5, 0
                                        ; implicit-def: $vgpr1
	s_and_saveexec_b32 s6, vcc_lo
	s_delay_alu instid0(SALU_CYCLE_1)
	s_xor_b32 s6, exec_lo, s6
	s_cbranch_execz .LBB51_1796
; %bb.1536:
	v_bfe_u32 v1, v0, 21, 1
	s_mov_b32 s5, exec_lo
	s_delay_alu instid0(VALU_DEP_1) | instskip(NEXT) | instid1(VALU_DEP_1)
	v_add3_u32 v1, v0, v1, 0x88fffff
	v_lshrrev_b32_e32 v1, 21, v1
	s_and_not1_saveexec_b32 s6, s6
	s_cbranch_execnz .LBB51_1797
.LBB51_1537:
	s_or_b32 exec_lo, exec_lo, s6
	v_mov_b32_e32 v4, 0
	s_and_saveexec_b32 s6, s5
.LBB51_1538:
	v_lshrrev_b32_e32 v4, 24, v0
	s_delay_alu instid0(VALU_DEP_1)
	v_and_or_b32 v4, 0x80, v4, v1
.LBB51_1539:
	s_or_b32 exec_lo, exec_lo, s6
.LBB51_1540:
	s_delay_alu instid0(SALU_CYCLE_1)
	s_or_b32 exec_lo, exec_lo, s4
	s_mov_b32 s4, 0
	global_store_b8 v[2:3], v4, off
.LBB51_1541:
	s_and_b32 vcc_lo, exec_lo, s4
	s_cbranch_vccz .LBB51_1551
; %bb.1542:
	s_wait_xcnt 0x0
	v_and_b32_e32 v4, 0x7fffffff, v0
	s_mov_b32 s4, exec_lo
                                        ; implicit-def: $vgpr1
	s_delay_alu instid0(VALU_DEP_1)
	v_cmpx_gt_u32_e32 0x43f00000, v4
	s_xor_b32 s4, exec_lo, s4
	s_cbranch_execz .LBB51_1548
; %bb.1543:
	s_mov_b32 s5, exec_lo
                                        ; implicit-def: $vgpr1
	v_cmpx_lt_u32_e32 0x3c7fffff, v4
	s_xor_b32 s5, exec_lo, s5
; %bb.1544:
	v_bfe_u32 v1, v0, 20, 1
	s_delay_alu instid0(VALU_DEP_1) | instskip(NEXT) | instid1(VALU_DEP_1)
	v_add3_u32 v1, v0, v1, 0x407ffff
	v_and_b32_e32 v4, 0xff00000, v1
	v_lshrrev_b32_e32 v1, 20, v1
	s_delay_alu instid0(VALU_DEP_2) | instskip(NEXT) | instid1(VALU_DEP_2)
	v_cmp_ne_u32_e32 vcc_lo, 0x7f00000, v4
	v_cndmask_b32_e32 v1, 0x7e, v1, vcc_lo
; %bb.1545:
	s_and_not1_saveexec_b32 s5, s5
; %bb.1546:
	v_add_f32_e64 v1, 0x46800000, |v0|
; %bb.1547:
	s_or_b32 exec_lo, exec_lo, s5
                                        ; implicit-def: $vgpr4
.LBB51_1548:
	s_and_not1_saveexec_b32 s4, s4
; %bb.1549:
	v_mov_b32_e32 v1, 0x7f
	v_cmp_lt_u32_e32 vcc_lo, 0x7f800000, v4
	s_delay_alu instid0(VALU_DEP_2)
	v_cndmask_b32_e32 v1, 0x7e, v1, vcc_lo
; %bb.1550:
	s_or_b32 exec_lo, exec_lo, s4
	v_lshrrev_b32_e32 v4, 24, v0
	s_delay_alu instid0(VALU_DEP_1)
	v_and_or_b32 v1, 0x80, v4, v1
	global_store_b8 v[2:3], v1, off
.LBB51_1551:
	s_mov_b32 s4, 0
.LBB51_1552:
	s_delay_alu instid0(SALU_CYCLE_1)
	s_and_not1_b32 vcc_lo, exec_lo, s4
	s_cbranch_vccnz .LBB51_1562
; %bb.1553:
	s_wait_xcnt 0x0
	v_and_b32_e32 v4, 0x7fffffff, v0
	s_mov_b32 s4, exec_lo
                                        ; implicit-def: $vgpr1
	s_delay_alu instid0(VALU_DEP_1)
	v_cmpx_gt_u32_e32 0x47800000, v4
	s_xor_b32 s4, exec_lo, s4
	s_cbranch_execz .LBB51_1559
; %bb.1554:
	s_mov_b32 s5, exec_lo
                                        ; implicit-def: $vgpr1
	v_cmpx_lt_u32_e32 0x387fffff, v4
	s_xor_b32 s5, exec_lo, s5
; %bb.1555:
	v_bfe_u32 v1, v0, 21, 1
	s_delay_alu instid0(VALU_DEP_1) | instskip(NEXT) | instid1(VALU_DEP_1)
	v_add3_u32 v1, v0, v1, 0x80fffff
	v_lshrrev_b32_e32 v1, 21, v1
; %bb.1556:
	s_and_not1_saveexec_b32 s5, s5
; %bb.1557:
	v_add_f32_e64 v1, 0x43000000, |v0|
; %bb.1558:
	s_or_b32 exec_lo, exec_lo, s5
                                        ; implicit-def: $vgpr4
.LBB51_1559:
	s_and_not1_saveexec_b32 s4, s4
; %bb.1560:
	v_mov_b32_e32 v1, 0x7f
	v_cmp_lt_u32_e32 vcc_lo, 0x7f800000, v4
	s_delay_alu instid0(VALU_DEP_2)
	v_cndmask_b32_e32 v1, 0x7c, v1, vcc_lo
; %bb.1561:
	s_or_b32 exec_lo, exec_lo, s4
	v_lshrrev_b32_e32 v4, 24, v0
	s_delay_alu instid0(VALU_DEP_1)
	v_and_or_b32 v1, 0x80, v4, v1
	global_store_b8 v[2:3], v1, off
.LBB51_1562:
	s_mov_b32 s4, 0
.LBB51_1563:
	s_delay_alu instid0(SALU_CYCLE_1)
	s_and_not1_b32 vcc_lo, exec_lo, s4
	s_mov_b32 s4, 0
	s_cbranch_vccnz .LBB51_1571
; %bb.1564:
	s_cmp_gt_i32 s2, 14
	s_mov_b32 s4, -1
	s_cbranch_scc0 .LBB51_1568
; %bb.1565:
	s_cmp_eq_u32 s2, 15
	s_mov_b32 s0, -1
	s_cbranch_scc0 .LBB51_1567
; %bb.1566:
	s_wait_xcnt 0x0
	v_bfe_u32 v1, v0, 16, 1
	v_cmp_o_f32_e32 vcc_lo, v0, v0
	s_mov_b32 s0, 0
	s_delay_alu instid0(VALU_DEP_2) | instskip(NEXT) | instid1(VALU_DEP_1)
	v_add3_u32 v1, v0, v1, 0x7fff
	v_lshrrev_b32_e32 v1, 16, v1
	s_delay_alu instid0(VALU_DEP_1)
	v_cndmask_b32_e32 v1, 0x7fc0, v1, vcc_lo
	global_store_b16 v[2:3], v1, off
.LBB51_1567:
	s_mov_b32 s4, 0
.LBB51_1568:
	s_delay_alu instid0(SALU_CYCLE_1)
	s_and_b32 vcc_lo, exec_lo, s4
	s_mov_b32 s4, 0
	s_cbranch_vccz .LBB51_1571
; %bb.1569:
	s_cmp_lg_u32 s2, 11
	s_mov_b32 s4, -1
	s_cselect_b32 s2, -1, 0
	s_and_not1_b32 s0, s0, exec_lo
	s_and_b32 s2, s2, exec_lo
	s_delay_alu instid0(SALU_CYCLE_1)
	s_or_b32 s0, s0, s2
	s_branch .LBB51_1571
.LBB51_1570:
	s_mov_b32 s4, 0
.LBB51_1571:
	s_and_b32 s2, s3, exec_lo
	s_and_not1_b32 s3, s62, exec_lo
	s_and_b32 s5, s0, exec_lo
	s_and_b32 s0, s4, exec_lo
	s_or_b32 s62, s3, s5
	s_wait_xcnt 0x0
	s_or_b32 exec_lo, exec_lo, s39
	s_and_saveexec_b32 s3, s62
	s_cbranch_execz .LBB51_1491
.LBB51_1572:
	s_or_b32 s38, s38, exec_lo
	s_and_not1_b32 s0, s0, exec_lo
	s_trap 2
	s_or_b32 exec_lo, exec_lo, s3
	s_and_saveexec_b32 s3, s0
	s_delay_alu instid0(SALU_CYCLE_1)
	s_xor_b32 s0, exec_lo, s3
	s_cbranch_execnz .LBB51_1492
.LBB51_1573:
	s_or_b32 exec_lo, exec_lo, s0
	s_and_saveexec_b32 s0, s2
	s_delay_alu instid0(SALU_CYCLE_1)
	s_xor_b32 s0, exec_lo, s0
	s_cbranch_execz .LBB51_1611
.LBB51_1574:
	s_sext_i32_i16 s3, s1
	s_mov_b32 s2, -1
	s_cmp_lt_i32 s3, 5
	s_cbranch_scc1 .LBB51_1595
; %bb.1575:
	s_cmp_lt_i32 s3, 8
	s_cbranch_scc1 .LBB51_1585
; %bb.1576:
	;; [unrolled: 3-line block ×3, first 2 shown]
	s_cmp_gt_i32 s3, 9
	s_cbranch_scc0 .LBB51_1579
; %bb.1578:
	v_cvt_f64_f32_e32 v[4:5], v0
	v_mov_b32_e32 v6, 0
	s_mov_b32 s2, 0
	s_delay_alu instid0(VALU_DEP_1)
	v_mov_b32_e32 v7, v6
	global_store_b128 v[2:3], v[4:7], off
.LBB51_1579:
	s_and_not1_b32 vcc_lo, exec_lo, s2
	s_cbranch_vccnz .LBB51_1581
; %bb.1580:
	v_mov_b32_e32 v1, 0
	global_store_b64 v[2:3], v[0:1], off
.LBB51_1581:
	s_mov_b32 s2, 0
.LBB51_1582:
	s_delay_alu instid0(SALU_CYCLE_1)
	s_and_not1_b32 vcc_lo, exec_lo, s2
	s_cbranch_vccnz .LBB51_1584
; %bb.1583:
	s_wait_xcnt 0x0
	v_cvt_f16_f32_e32 v1, v0
	s_delay_alu instid0(VALU_DEP_1)
	v_and_b32_e32 v1, 0xffff, v1
	global_store_b32 v[2:3], v1, off
.LBB51_1584:
	s_mov_b32 s2, 0
.LBB51_1585:
	s_delay_alu instid0(SALU_CYCLE_1)
	s_and_not1_b32 vcc_lo, exec_lo, s2
	s_cbranch_vccnz .LBB51_1594
; %bb.1586:
	s_sext_i32_i16 s3, s1
	s_mov_b32 s2, -1
	s_cmp_lt_i32 s3, 6
	s_cbranch_scc1 .LBB51_1592
; %bb.1587:
	s_cmp_gt_i32 s3, 6
	s_cbranch_scc0 .LBB51_1589
; %bb.1588:
	s_wait_xcnt 0x0
	v_cvt_f64_f32_e32 v[4:5], v0
	s_mov_b32 s2, 0
	global_store_b64 v[2:3], v[4:5], off
.LBB51_1589:
	s_and_not1_b32 vcc_lo, exec_lo, s2
	s_cbranch_vccnz .LBB51_1591
; %bb.1590:
	global_store_b32 v[2:3], v0, off
.LBB51_1591:
	s_mov_b32 s2, 0
.LBB51_1592:
	s_delay_alu instid0(SALU_CYCLE_1)
	s_and_not1_b32 vcc_lo, exec_lo, s2
	s_cbranch_vccnz .LBB51_1594
; %bb.1593:
	s_wait_xcnt 0x0
	v_cvt_f16_f32_e32 v1, v0
	global_store_b16 v[2:3], v1, off
.LBB51_1594:
	s_mov_b32 s2, 0
.LBB51_1595:
	s_delay_alu instid0(SALU_CYCLE_1)
	s_and_not1_b32 vcc_lo, exec_lo, s2
	s_cbranch_vccnz .LBB51_1611
; %bb.1596:
	s_sext_i32_i16 s3, s1
	s_mov_b32 s2, -1
	s_cmp_lt_i32 s3, 2
	s_cbranch_scc1 .LBB51_1606
; %bb.1597:
	s_cmp_lt_i32 s3, 3
	s_cbranch_scc1 .LBB51_1603
; %bb.1598:
	s_cmp_gt_i32 s3, 3
	s_cbranch_scc0 .LBB51_1600
; %bb.1599:
	s_wait_xcnt 0x0
	v_trunc_f32_e32 v1, v0
	s_mov_b32 s2, 0
	s_delay_alu instid0(VALU_DEP_1) | instskip(NEXT) | instid1(VALU_DEP_1)
	v_mul_f32_e64 v4, 0x2f800000, |v1|
	v_floor_f32_e32 v5, v4
	v_ashrrev_i32_e32 v4, 31, v1
	s_delay_alu instid0(VALU_DEP_2) | instskip(SKIP_1) | instid1(VALU_DEP_3)
	v_fma_f32 v6, 0xcf800000, v5, |v1|
	v_cvt_u32_f32_e32 v1, v5
	v_mov_b32_e32 v5, v4
	s_delay_alu instid0(VALU_DEP_3) | instskip(NEXT) | instid1(VALU_DEP_3)
	v_cvt_u32_f32_e32 v6, v6
	v_xor_b32_e32 v7, v1, v4
	s_delay_alu instid0(VALU_DEP_2) | instskip(NEXT) | instid1(VALU_DEP_1)
	v_xor_b32_e32 v6, v6, v4
	v_sub_nc_u64_e32 v[4:5], v[6:7], v[4:5]
	global_store_b64 v[2:3], v[4:5], off
.LBB51_1600:
	s_and_not1_b32 vcc_lo, exec_lo, s2
	s_cbranch_vccnz .LBB51_1602
; %bb.1601:
	s_wait_xcnt 0x0
	v_cvt_i32_f32_e32 v1, v0
	global_store_b32 v[2:3], v1, off
.LBB51_1602:
	s_mov_b32 s2, 0
.LBB51_1603:
	s_delay_alu instid0(SALU_CYCLE_1)
	s_and_not1_b32 vcc_lo, exec_lo, s2
	s_cbranch_vccnz .LBB51_1605
; %bb.1604:
	s_wait_xcnt 0x0
	v_cvt_i32_f32_e32 v1, v0
	global_store_b16 v[2:3], v1, off
.LBB51_1605:
	s_mov_b32 s2, 0
.LBB51_1606:
	s_delay_alu instid0(SALU_CYCLE_1)
	s_and_not1_b32 vcc_lo, exec_lo, s2
	s_cbranch_vccnz .LBB51_1611
; %bb.1607:
	s_sext_i32_i16 s1, s1
	s_delay_alu instid0(SALU_CYCLE_1)
	s_cmp_gt_i32 s1, 0
	s_mov_b32 s1, -1
	s_cbranch_scc0 .LBB51_1609
; %bb.1608:
	s_wait_xcnt 0x0
	v_cvt_i32_f32_e32 v1, v0
	s_mov_b32 s1, 0
	global_store_b8 v[2:3], v1, off
.LBB51_1609:
	s_and_not1_b32 vcc_lo, exec_lo, s1
	s_cbranch_vccnz .LBB51_1611
; %bb.1610:
	s_wait_xcnt 0x0
	v_trunc_f32_e32 v0, v0
	s_delay_alu instid0(VALU_DEP_1) | instskip(NEXT) | instid1(VALU_DEP_1)
	v_mul_f32_e64 v1, 0x2f800000, |v0|
	v_floor_f32_e32 v1, v1
	s_delay_alu instid0(VALU_DEP_1) | instskip(SKIP_1) | instid1(VALU_DEP_2)
	v_fma_f32 v1, 0xcf800000, v1, |v0|
	v_ashrrev_i32_e32 v0, 31, v0
	v_cvt_u32_f32_e32 v1, v1
	s_delay_alu instid0(VALU_DEP_1) | instskip(NEXT) | instid1(VALU_DEP_1)
	v_xor_b32_e32 v1, v1, v0
	v_sub_nc_u32_e32 v0, v1, v0
	global_store_b8 v[2:3], v0, off
.LBB51_1611:
	s_wait_xcnt 0x0
	s_or_b32 exec_lo, exec_lo, s0
	s_delay_alu instid0(SALU_CYCLE_1)
	s_and_b32 s48, s38, exec_lo
                                        ; implicit-def: $vgpr1
                                        ; implicit-def: $vgpr44
.LBB51_1612:
	s_or_saveexec_b32 s49, s68
	s_mov_b32 s0, 0
                                        ; implicit-def: $vgpr2_vgpr3
                                        ; implicit-def: $sgpr1
                                        ; implicit-def: $vgpr0
	s_xor_b32 exec_lo, exec_lo, s49
	s_cbranch_execz .LBB51_2717
; %bb.1613:
	v_cndmask_b32_e64 v3, 0, 1, s67
	s_and_not1_b32 vcc_lo, exec_lo, s67
	s_cbranch_vccnz .LBB51_1619
; %bb.1614:
	s_cmp_lg_u32 s64, 0
	s_mov_b32 s2, 0
	s_cbranch_scc0 .LBB51_1623
; %bb.1615:
	s_min_u32 s3, s65, 15
	v_dual_mov_b32 v62, 0 :: v_dual_mov_b32 v4, v44
	v_dual_mov_b32 v2, 0 :: v_dual_mov_b32 v0, 0
	s_add_co_i32 s4, s3, 1
	s_mov_b64 s[0:1], 0xffffffffffffffe8
	s_and_b32 s4, s4, 30
	s_add_nc_u64 s[0:1], s[34:35], s[0:1]
.LBB51_1616:                            ; =>This Inner Loop Header: Depth=1
	s_clause 0x1
	s_load_b128 s[8:11], s[0:1], 0x1c
	s_load_b64 s[6:7], s[0:1], 0x2c
	s_add_co_i32 s4, s4, -2
	s_delay_alu instid0(SALU_CYCLE_1) | instskip(SKIP_2) | instid1(VALU_DEP_1)
	s_cmp_lg_u32 s4, 0
	s_wait_kmcnt 0x0
	v_mul_hi_u32 v5, s9, v4
	v_add_nc_u32_e32 v5, v4, v5
	s_delay_alu instid0(VALU_DEP_1) | instskip(NEXT) | instid1(VALU_DEP_1)
	v_lshrrev_b32_e32 v5, s10, v5
	v_mul_hi_u32 v6, s6, v5
	v_mul_lo_u32 v7, v5, s8
	s_clause 0x1
	s_load_b128 s[12:15], s[0:1], 0xdc
	s_load_b64 s[8:9], s[0:1], 0xec
	s_wait_xcnt 0x0
	s_add_nc_u64 s[0:1], s[0:1], 24
	s_delay_alu instid0(VALU_DEP_1) | instskip(NEXT) | instid1(VALU_DEP_1)
	v_dual_add_nc_u32 v6, v5, v6 :: v_dual_sub_nc_u32 v7, v4, v7
	v_lshrrev_b32_e32 v4, s7, v6
	s_wait_kmcnt 0x0
	s_delay_alu instid0(VALU_DEP_2) | instskip(NEXT) | instid1(VALU_DEP_2)
	v_mad_u32 v8, v7, s12, v62
	v_mul_lo_u32 v6, v4, s11
	v_mad_u32 v0, v7, s14, v0
	v_mad_u32 v2, v7, s13, v2
	s_delay_alu instid0(VALU_DEP_3) | instskip(NEXT) | instid1(VALU_DEP_1)
	v_sub_nc_u32_e32 v5, v5, v6
	v_mad_u32 v62, v5, s15, v8
	s_delay_alu instid0(VALU_DEP_4) | instskip(NEXT) | instid1(VALU_DEP_4)
	v_mad_u32 v0, v5, s9, v0
	v_mad_u32 v2, v5, s8, v2
	s_cbranch_scc1 .LBB51_1616
; %bb.1617:
	s_bitcmp1_b32 s3, 0
	s_cselect_b32 s3, -1, 0
	s_delay_alu instid0(SALU_CYCLE_1)
	s_and_b32 vcc_lo, exec_lo, s3
	s_cbranch_vccnz .LBB51_1620
; %bb.1618:
	s_clause 0x1
	s_load_b96 s[4:6], s[0:1], 0x1c
	s_load_b96 s[8:10], s[0:1], 0xdc
	s_wait_kmcnt 0x0
	v_mul_hi_u32 v5, s5, v4
	s_delay_alu instid0(VALU_DEP_1) | instskip(NEXT) | instid1(VALU_DEP_1)
	v_add_nc_u32_e32 v5, v4, v5
	v_lshrrev_b32_e32 v5, s6, v5
	s_delay_alu instid0(VALU_DEP_1) | instskip(NEXT) | instid1(VALU_DEP_1)
	v_mul_lo_u32 v5, v5, s4
	v_sub_nc_u32_e32 v4, v4, v5
	s_delay_alu instid0(VALU_DEP_1)
	v_mad_u32 v62, v4, s8, v62
	v_mad_u32 v2, v4, s9, v2
	;; [unrolled: 1-line block ×3, first 2 shown]
	s_and_not1_b32 vcc_lo, exec_lo, s2
	s_cbranch_vccz .LBB51_1621
	s_branch .LBB51_1624
.LBB51_1619:
	s_mov_b32 s2, -1
                                        ; implicit-def: $vgpr0
                                        ; implicit-def: $vgpr2
                                        ; implicit-def: $vgpr62
.LBB51_1620:
	s_delay_alu instid0(SALU_CYCLE_1)
	s_and_not1_b32 vcc_lo, exec_lo, s2
	s_cbranch_vccnz .LBB51_1624
.LBB51_1621:
	s_clause 0x1
	s_load_b96 s[0:2], s[34:35], 0x4
	s_load_b96 s[4:6], s[34:35], 0xc4
	s_cmp_lt_u32 s64, 2
	s_wait_kmcnt 0x0
	v_mul_hi_u32 v0, s1, v44
	s_delay_alu instid0(VALU_DEP_1) | instskip(NEXT) | instid1(VALU_DEP_1)
	v_add_nc_u32_e32 v0, v44, v0
	v_lshrrev_b32_e32 v4, s2, v0
	s_delay_alu instid0(VALU_DEP_1) | instskip(NEXT) | instid1(VALU_DEP_1)
	v_mul_lo_u32 v0, v4, s0
	v_sub_nc_u32_e32 v2, v44, v0
	s_delay_alu instid0(VALU_DEP_1)
	v_mul_lo_u32 v62, v2, s4
	v_mul_lo_u32 v0, v2, s6
	;; [unrolled: 1-line block ×3, first 2 shown]
	s_cbranch_scc1 .LBB51_1624
; %bb.1622:
	s_clause 0x1
	s_load_b96 s[0:2], s[34:35], 0x10
	s_load_b96 s[4:6], s[34:35], 0xd0
	s_wait_kmcnt 0x0
	v_mul_hi_u32 v5, s1, v4
	s_delay_alu instid0(VALU_DEP_1) | instskip(NEXT) | instid1(VALU_DEP_1)
	v_add_nc_u32_e32 v5, v4, v5
	v_lshrrev_b32_e32 v5, s2, v5
	s_delay_alu instid0(VALU_DEP_1) | instskip(NEXT) | instid1(VALU_DEP_1)
	v_mul_lo_u32 v5, v5, s0
	v_sub_nc_u32_e32 v4, v4, v5
	s_delay_alu instid0(VALU_DEP_1)
	v_mad_u32 v62, v4, s4, v62
	v_mad_u32 v2, v4, s5, v2
	;; [unrolled: 1-line block ×3, first 2 shown]
	s_branch .LBB51_1624
.LBB51_1623:
	v_dual_mov_b32 v0, 0 :: v_dual_mov_b32 v2, 0
	v_mov_b32_e32 v62, 0
	s_and_not1_b32 vcc_lo, exec_lo, s2
	s_cbranch_vccz .LBB51_1621
.LBB51_1624:
	v_cmp_ne_u32_e32 vcc_lo, 1, v3
	v_add_nc_u32_e32 v4, 0x80, v44
	s_cbranch_vccnz .LBB51_1630
; %bb.1625:
	s_cmp_lg_u32 s64, 0
	s_mov_b32 s2, 0
	s_cbranch_scc0 .LBB51_1634
; %bb.1626:
	s_min_u32 s3, s65, 15
	v_dual_mov_b32 v60, 0 :: v_dual_mov_b32 v5, v4
	v_dual_mov_b32 v84, 0 :: v_dual_mov_b32 v78, 0
	s_add_co_i32 s4, s3, 1
	s_mov_b64 s[0:1], 0xffffffffffffffe8
	s_and_b32 s4, s4, 30
	s_add_nc_u64 s[0:1], s[34:35], s[0:1]
.LBB51_1627:                            ; =>This Inner Loop Header: Depth=1
	s_clause 0x1
	s_load_b128 s[8:11], s[0:1], 0x1c
	s_load_b64 s[6:7], s[0:1], 0x2c
	s_add_co_i32 s4, s4, -2
	s_delay_alu instid0(SALU_CYCLE_1) | instskip(SKIP_2) | instid1(VALU_DEP_1)
	s_cmp_lg_u32 s4, 0
	s_wait_kmcnt 0x0
	v_mul_hi_u32 v6, s9, v5
	v_add_nc_u32_e32 v6, v5, v6
	s_delay_alu instid0(VALU_DEP_1) | instskip(NEXT) | instid1(VALU_DEP_1)
	v_lshrrev_b32_e32 v6, s10, v6
	v_mul_hi_u32 v7, s6, v6
	v_mul_lo_u32 v8, v6, s8
	s_clause 0x1
	s_load_b128 s[12:15], s[0:1], 0xdc
	s_load_b64 s[8:9], s[0:1], 0xec
	s_wait_xcnt 0x0
	s_add_nc_u64 s[0:1], s[0:1], 24
	s_delay_alu instid0(VALU_DEP_1) | instskip(NEXT) | instid1(VALU_DEP_1)
	v_dual_add_nc_u32 v7, v6, v7 :: v_dual_sub_nc_u32 v8, v5, v8
	v_lshrrev_b32_e32 v5, s7, v7
	s_wait_kmcnt 0x0
	s_delay_alu instid0(VALU_DEP_2) | instskip(NEXT) | instid1(VALU_DEP_2)
	v_mad_u32 v9, v8, s12, v60
	v_mul_lo_u32 v7, v5, s11
	v_mad_u32 v10, v8, s14, v78
	v_mad_u32 v8, v8, s13, v84
	s_delay_alu instid0(VALU_DEP_3) | instskip(NEXT) | instid1(VALU_DEP_1)
	v_sub_nc_u32_e32 v6, v6, v7
	v_mad_u32 v60, v6, s15, v9
	s_delay_alu instid0(VALU_DEP_4) | instskip(NEXT) | instid1(VALU_DEP_4)
	v_mad_u32 v78, v6, s9, v10
	v_mad_u32 v84, v6, s8, v8
	s_cbranch_scc1 .LBB51_1627
; %bb.1628:
	s_bitcmp1_b32 s3, 0
	s_cselect_b32 s3, -1, 0
	s_delay_alu instid0(SALU_CYCLE_1)
	s_and_b32 vcc_lo, exec_lo, s3
	s_cbranch_vccnz .LBB51_1631
; %bb.1629:
	s_clause 0x1
	s_load_b96 s[4:6], s[0:1], 0x1c
	s_load_b96 s[8:10], s[0:1], 0xdc
	s_wait_kmcnt 0x0
	v_mul_hi_u32 v6, s5, v5
	s_delay_alu instid0(VALU_DEP_1) | instskip(NEXT) | instid1(VALU_DEP_1)
	v_add_nc_u32_e32 v6, v5, v6
	v_lshrrev_b32_e32 v6, s6, v6
	s_delay_alu instid0(VALU_DEP_1) | instskip(NEXT) | instid1(VALU_DEP_1)
	v_mul_lo_u32 v6, v6, s4
	v_sub_nc_u32_e32 v5, v5, v6
	s_delay_alu instid0(VALU_DEP_1)
	v_mad_u32 v60, v5, s8, v60
	v_mad_u32 v84, v5, s9, v84
	;; [unrolled: 1-line block ×3, first 2 shown]
	s_and_not1_b32 vcc_lo, exec_lo, s2
	s_cbranch_vccz .LBB51_1632
	s_branch .LBB51_1635
.LBB51_1630:
	s_mov_b32 s2, -1
                                        ; implicit-def: $vgpr78
                                        ; implicit-def: $vgpr84
                                        ; implicit-def: $vgpr60
.LBB51_1631:
	s_delay_alu instid0(SALU_CYCLE_1)
	s_and_not1_b32 vcc_lo, exec_lo, s2
	s_cbranch_vccnz .LBB51_1635
.LBB51_1632:
	s_clause 0x1
	s_load_b96 s[0:2], s[34:35], 0x4
	s_load_b96 s[4:6], s[34:35], 0xc4
	s_cmp_lt_u32 s64, 2
	s_wait_kmcnt 0x0
	v_mul_hi_u32 v5, s1, v4
	s_delay_alu instid0(VALU_DEP_1) | instskip(NEXT) | instid1(VALU_DEP_1)
	v_add_nc_u32_e32 v5, v4, v5
	v_lshrrev_b32_e32 v5, s2, v5
	s_delay_alu instid0(VALU_DEP_1) | instskip(NEXT) | instid1(VALU_DEP_1)
	v_mul_lo_u32 v6, v5, s0
	v_sub_nc_u32_e32 v4, v4, v6
	s_delay_alu instid0(VALU_DEP_1)
	v_mul_lo_u32 v60, v4, s4
	v_mul_lo_u32 v78, v4, s6
	;; [unrolled: 1-line block ×3, first 2 shown]
	s_cbranch_scc1 .LBB51_1635
; %bb.1633:
	s_clause 0x1
	s_load_b96 s[0:2], s[34:35], 0x10
	s_load_b96 s[4:6], s[34:35], 0xd0
	s_wait_kmcnt 0x0
	v_mul_hi_u32 v4, s1, v5
	s_delay_alu instid0(VALU_DEP_1) | instskip(NEXT) | instid1(VALU_DEP_1)
	v_add_nc_u32_e32 v4, v5, v4
	v_lshrrev_b32_e32 v4, s2, v4
	s_delay_alu instid0(VALU_DEP_1) | instskip(NEXT) | instid1(VALU_DEP_1)
	v_mul_lo_u32 v4, v4, s0
	v_sub_nc_u32_e32 v4, v5, v4
	s_delay_alu instid0(VALU_DEP_1)
	v_mad_u32 v60, v4, s4, v60
	v_mad_u32 v84, v4, s5, v84
	;; [unrolled: 1-line block ×3, first 2 shown]
	s_branch .LBB51_1635
.LBB51_1634:
	v_dual_mov_b32 v78, 0 :: v_dual_mov_b32 v84, 0
	v_mov_b32_e32 v60, 0
	s_and_not1_b32 vcc_lo, exec_lo, s2
	s_cbranch_vccz .LBB51_1632
.LBB51_1635:
	v_cmp_ne_u32_e32 vcc_lo, 1, v3
	v_add_nc_u32_e32 v4, 0x100, v44
	s_cbranch_vccnz .LBB51_1641
; %bb.1636:
	s_cmp_lg_u32 s64, 0
	s_mov_b32 s2, 0
	s_cbranch_scc0 .LBB51_1645
; %bb.1637:
	s_min_u32 s3, s65, 15
	v_dual_mov_b32 v58, 0 :: v_dual_mov_b32 v5, v4
	v_dual_mov_b32 v76, 0 :: v_dual_mov_b32 v46, 0
	s_add_co_i32 s4, s3, 1
	s_mov_b64 s[0:1], 0xffffffffffffffe8
	s_and_b32 s4, s4, 30
	s_add_nc_u64 s[0:1], s[34:35], s[0:1]
.LBB51_1638:                            ; =>This Inner Loop Header: Depth=1
	s_clause 0x1
	s_load_b128 s[8:11], s[0:1], 0x1c
	s_load_b64 s[6:7], s[0:1], 0x2c
	s_add_co_i32 s4, s4, -2
	s_delay_alu instid0(SALU_CYCLE_1) | instskip(SKIP_2) | instid1(VALU_DEP_1)
	s_cmp_lg_u32 s4, 0
	s_wait_kmcnt 0x0
	v_mul_hi_u32 v6, s9, v5
	v_add_nc_u32_e32 v6, v5, v6
	s_delay_alu instid0(VALU_DEP_1) | instskip(NEXT) | instid1(VALU_DEP_1)
	v_lshrrev_b32_e32 v6, s10, v6
	v_mul_hi_u32 v7, s6, v6
	v_mul_lo_u32 v8, v6, s8
	s_clause 0x1
	s_load_b128 s[12:15], s[0:1], 0xdc
	s_load_b64 s[8:9], s[0:1], 0xec
	s_wait_xcnt 0x0
	s_add_nc_u64 s[0:1], s[0:1], 24
	s_delay_alu instid0(VALU_DEP_1) | instskip(NEXT) | instid1(VALU_DEP_1)
	v_dual_add_nc_u32 v7, v6, v7 :: v_dual_sub_nc_u32 v8, v5, v8
	v_lshrrev_b32_e32 v5, s7, v7
	s_wait_kmcnt 0x0
	s_delay_alu instid0(VALU_DEP_2) | instskip(NEXT) | instid1(VALU_DEP_2)
	v_mad_u32 v9, v8, s12, v58
	v_mul_lo_u32 v7, v5, s11
	v_mad_u32 v10, v8, s14, v46
	v_mad_u32 v8, v8, s13, v76
	s_delay_alu instid0(VALU_DEP_3) | instskip(NEXT) | instid1(VALU_DEP_1)
	v_sub_nc_u32_e32 v6, v6, v7
	v_mad_u32 v58, v6, s15, v9
	s_delay_alu instid0(VALU_DEP_4) | instskip(NEXT) | instid1(VALU_DEP_4)
	v_mad_u32 v46, v6, s9, v10
	v_mad_u32 v76, v6, s8, v8
	s_cbranch_scc1 .LBB51_1638
; %bb.1639:
	s_bitcmp1_b32 s3, 0
	s_cselect_b32 s3, -1, 0
	s_delay_alu instid0(SALU_CYCLE_1)
	s_and_b32 vcc_lo, exec_lo, s3
	s_cbranch_vccnz .LBB51_1642
; %bb.1640:
	s_clause 0x1
	s_load_b96 s[4:6], s[0:1], 0x1c
	s_load_b96 s[8:10], s[0:1], 0xdc
	s_wait_kmcnt 0x0
	v_mul_hi_u32 v6, s5, v5
	s_delay_alu instid0(VALU_DEP_1) | instskip(NEXT) | instid1(VALU_DEP_1)
	v_add_nc_u32_e32 v6, v5, v6
	v_lshrrev_b32_e32 v6, s6, v6
	s_delay_alu instid0(VALU_DEP_1) | instskip(NEXT) | instid1(VALU_DEP_1)
	v_mul_lo_u32 v6, v6, s4
	v_sub_nc_u32_e32 v5, v5, v6
	s_delay_alu instid0(VALU_DEP_1)
	v_mad_u32 v58, v5, s8, v58
	v_mad_u32 v76, v5, s9, v76
	;; [unrolled: 1-line block ×3, first 2 shown]
	s_and_not1_b32 vcc_lo, exec_lo, s2
	s_cbranch_vccz .LBB51_1643
	s_branch .LBB51_1646
.LBB51_1641:
	s_mov_b32 s2, -1
                                        ; implicit-def: $vgpr46
                                        ; implicit-def: $vgpr76
                                        ; implicit-def: $vgpr58
.LBB51_1642:
	s_delay_alu instid0(SALU_CYCLE_1)
	s_and_not1_b32 vcc_lo, exec_lo, s2
	s_cbranch_vccnz .LBB51_1646
.LBB51_1643:
	s_clause 0x1
	s_load_b96 s[0:2], s[34:35], 0x4
	s_load_b96 s[4:6], s[34:35], 0xc4
	s_cmp_lt_u32 s64, 2
	s_wait_kmcnt 0x0
	v_mul_hi_u32 v5, s1, v4
	s_delay_alu instid0(VALU_DEP_1) | instskip(NEXT) | instid1(VALU_DEP_1)
	v_add_nc_u32_e32 v5, v4, v5
	v_lshrrev_b32_e32 v5, s2, v5
	s_delay_alu instid0(VALU_DEP_1) | instskip(NEXT) | instid1(VALU_DEP_1)
	v_mul_lo_u32 v6, v5, s0
	v_sub_nc_u32_e32 v4, v4, v6
	s_delay_alu instid0(VALU_DEP_1)
	v_mul_lo_u32 v58, v4, s4
	v_mul_lo_u32 v46, v4, s6
	;; [unrolled: 1-line block ×3, first 2 shown]
	s_cbranch_scc1 .LBB51_1646
; %bb.1644:
	s_clause 0x1
	s_load_b96 s[0:2], s[34:35], 0x10
	s_load_b96 s[4:6], s[34:35], 0xd0
	s_wait_kmcnt 0x0
	v_mul_hi_u32 v4, s1, v5
	s_delay_alu instid0(VALU_DEP_1) | instskip(NEXT) | instid1(VALU_DEP_1)
	v_add_nc_u32_e32 v4, v5, v4
	v_lshrrev_b32_e32 v4, s2, v4
	s_delay_alu instid0(VALU_DEP_1) | instskip(NEXT) | instid1(VALU_DEP_1)
	v_mul_lo_u32 v4, v4, s0
	v_sub_nc_u32_e32 v4, v5, v4
	s_delay_alu instid0(VALU_DEP_1)
	v_mad_u32 v58, v4, s4, v58
	v_mad_u32 v76, v4, s5, v76
	;; [unrolled: 1-line block ×3, first 2 shown]
	s_branch .LBB51_1646
.LBB51_1645:
	v_dual_mov_b32 v46, 0 :: v_dual_mov_b32 v76, 0
	v_mov_b32_e32 v58, 0
	s_and_not1_b32 vcc_lo, exec_lo, s2
	s_cbranch_vccz .LBB51_1643
.LBB51_1646:
	v_cmp_ne_u32_e32 vcc_lo, 1, v3
	s_cbranch_vccnz .LBB51_1652
; %bb.1647:
	s_cmp_lg_u32 s64, 0
	s_mov_b32 s2, 0
	s_cbranch_scc0 .LBB51_1656
; %bb.1648:
	s_min_u32 s3, s65, 15
	v_dual_mov_b32 v56, 0 :: v_dual_mov_b32 v3, v1
	v_dual_mov_b32 v74, 0 :: v_dual_mov_b32 v72, 0
	s_add_co_i32 s4, s3, 1
	s_mov_b64 s[0:1], 0xffffffffffffffe8
	s_and_b32 s4, s4, 30
	s_add_nc_u64 s[0:1], s[34:35], s[0:1]
.LBB51_1649:                            ; =>This Inner Loop Header: Depth=1
	s_clause 0x1
	s_load_b128 s[8:11], s[0:1], 0x1c
	s_load_b64 s[6:7], s[0:1], 0x2c
	s_add_co_i32 s4, s4, -2
	s_delay_alu instid0(SALU_CYCLE_1) | instskip(SKIP_2) | instid1(VALU_DEP_1)
	s_cmp_lg_u32 s4, 0
	s_wait_kmcnt 0x0
	v_mul_hi_u32 v4, s9, v3
	v_add_nc_u32_e32 v4, v3, v4
	s_delay_alu instid0(VALU_DEP_1) | instskip(NEXT) | instid1(VALU_DEP_1)
	v_lshrrev_b32_e32 v4, s10, v4
	v_mul_hi_u32 v5, s6, v4
	v_mul_lo_u32 v6, v4, s8
	s_clause 0x1
	s_load_b128 s[12:15], s[0:1], 0xdc
	s_load_b64 s[8:9], s[0:1], 0xec
	s_wait_xcnt 0x0
	s_add_nc_u64 s[0:1], s[0:1], 24
	s_delay_alu instid0(VALU_DEP_1) | instskip(NEXT) | instid1(VALU_DEP_1)
	v_dual_add_nc_u32 v5, v4, v5 :: v_dual_sub_nc_u32 v6, v3, v6
	v_lshrrev_b32_e32 v3, s7, v5
	s_wait_kmcnt 0x0
	s_delay_alu instid0(VALU_DEP_2) | instskip(NEXT) | instid1(VALU_DEP_2)
	v_mad_u32 v7, v6, s12, v56
	v_mul_lo_u32 v5, v3, s11
	v_mad_u32 v8, v6, s14, v72
	v_mad_u32 v6, v6, s13, v74
	s_delay_alu instid0(VALU_DEP_3) | instskip(NEXT) | instid1(VALU_DEP_1)
	v_sub_nc_u32_e32 v4, v4, v5
	v_mad_u32 v56, v4, s15, v7
	s_delay_alu instid0(VALU_DEP_4) | instskip(NEXT) | instid1(VALU_DEP_4)
	v_mad_u32 v72, v4, s9, v8
	v_mad_u32 v74, v4, s8, v6
	s_cbranch_scc1 .LBB51_1649
; %bb.1650:
	s_bitcmp1_b32 s3, 0
	s_cselect_b32 s3, -1, 0
	s_delay_alu instid0(SALU_CYCLE_1)
	s_and_b32 vcc_lo, exec_lo, s3
	s_cbranch_vccnz .LBB51_1653
; %bb.1651:
	s_clause 0x1
	s_load_b96 s[4:6], s[0:1], 0x1c
	s_load_b96 s[8:10], s[0:1], 0xdc
	s_wait_kmcnt 0x0
	v_mul_hi_u32 v4, s5, v3
	s_delay_alu instid0(VALU_DEP_1) | instskip(NEXT) | instid1(VALU_DEP_1)
	v_add_nc_u32_e32 v4, v3, v4
	v_lshrrev_b32_e32 v4, s6, v4
	s_delay_alu instid0(VALU_DEP_1) | instskip(NEXT) | instid1(VALU_DEP_1)
	v_mul_lo_u32 v4, v4, s4
	v_sub_nc_u32_e32 v3, v3, v4
	s_delay_alu instid0(VALU_DEP_1)
	v_mad_u32 v56, v3, s8, v56
	v_mad_u32 v74, v3, s9, v74
	;; [unrolled: 1-line block ×3, first 2 shown]
	s_and_not1_b32 vcc_lo, exec_lo, s2
	s_cbranch_vccz .LBB51_1654
	s_branch .LBB51_1657
.LBB51_1652:
	s_mov_b32 s2, -1
                                        ; implicit-def: $vgpr72
                                        ; implicit-def: $vgpr74
                                        ; implicit-def: $vgpr56
.LBB51_1653:
	s_delay_alu instid0(SALU_CYCLE_1)
	s_and_not1_b32 vcc_lo, exec_lo, s2
	s_cbranch_vccnz .LBB51_1657
.LBB51_1654:
	s_clause 0x1
	s_load_b96 s[0:2], s[34:35], 0x4
	s_load_b96 s[4:6], s[34:35], 0xc4
	s_cmp_lt_u32 s64, 2
	s_wait_kmcnt 0x0
	v_mul_hi_u32 v3, s1, v1
	s_delay_alu instid0(VALU_DEP_1) | instskip(NEXT) | instid1(VALU_DEP_1)
	v_add_nc_u32_e32 v3, v1, v3
	v_lshrrev_b32_e32 v3, s2, v3
	s_delay_alu instid0(VALU_DEP_1) | instskip(NEXT) | instid1(VALU_DEP_1)
	v_mul_lo_u32 v4, v3, s0
	v_sub_nc_u32_e32 v1, v1, v4
	s_delay_alu instid0(VALU_DEP_1)
	v_mul_lo_u32 v56, v1, s4
	v_mul_lo_u32 v72, v1, s6
	;; [unrolled: 1-line block ×3, first 2 shown]
	s_cbranch_scc1 .LBB51_1657
; %bb.1655:
	s_clause 0x1
	s_load_b96 s[0:2], s[34:35], 0x10
	s_load_b96 s[4:6], s[34:35], 0xd0
	s_wait_kmcnt 0x0
	v_mul_hi_u32 v1, s1, v3
	s_delay_alu instid0(VALU_DEP_1) | instskip(NEXT) | instid1(VALU_DEP_1)
	v_add_nc_u32_e32 v1, v3, v1
	v_lshrrev_b32_e32 v1, s2, v1
	s_delay_alu instid0(VALU_DEP_1) | instskip(NEXT) | instid1(VALU_DEP_1)
	v_mul_lo_u32 v1, v1, s0
	v_sub_nc_u32_e32 v1, v3, v1
	s_delay_alu instid0(VALU_DEP_1)
	v_mad_u32 v56, v1, s4, v56
	v_mad_u32 v74, v1, s5, v74
	;; [unrolled: 1-line block ×3, first 2 shown]
	s_branch .LBB51_1657
.LBB51_1656:
	v_dual_mov_b32 v72, 0 :: v_dual_mov_b32 v74, 0
	v_mov_b32_e32 v56, 0
	s_and_not1_b32 vcc_lo, exec_lo, s2
	s_cbranch_vccz .LBB51_1654
.LBB51_1657:
	v_mov_b32_e32 v3, 0
	s_load_b128 s[36:39], s[34:35], 0x188
	global_load_u8 v1, v3, s[34:35] offset:418
	s_wait_kmcnt 0x0
	v_add_nc_u64_e32 v[2:3], s[38:39], v[2:3]
	s_wait_loadcnt 0x0
	v_and_b32_e32 v4, 0xffff, v1
	v_readfirstlane_b32 s52, v1
	s_delay_alu instid0(VALU_DEP_2)
	v_cmp_gt_i32_e32 vcc_lo, 11, v4
	s_cbranch_vccnz .LBB51_1664
; %bb.1658:
	s_and_b32 s0, 0xffff, s52
	s_mov_b32 s2, 0
	s_cmp_gt_i32 s0, 25
	s_cbranch_scc0 .LBB51_1666
; %bb.1659:
	s_cmp_gt_i32 s0, 28
	s_cbranch_scc0 .LBB51_1667
; %bb.1660:
	;; [unrolled: 3-line block ×4, first 2 shown]
	s_cmp_eq_u32 s0, 46
	s_mov_b32 s4, 0
	s_cbranch_scc0 .LBB51_1672
; %bb.1663:
	global_load_b32 v1, v[2:3], off
	s_mov_b32 s1, 0
	s_mov_b32 s3, -1
	s_wait_loadcnt 0x0
	v_lshlrev_b32_e32 v40, 16, v1
	s_branch .LBB51_1674
.LBB51_1664:
	s_mov_b32 s3, 0
	s_mov_b32 s50, s48
                                        ; implicit-def: $vgpr40
	s_cbranch_execnz .LBB51_1737
.LBB51_1665:
	s_and_not1_b32 vcc_lo, exec_lo, s3
	s_cbranch_vccz .LBB51_1782
	s_branch .LBB51_2715
.LBB51_1666:
	s_mov_b32 s3, 0
	s_mov_b32 s1, 0
                                        ; implicit-def: $vgpr40
	s_cbranch_execnz .LBB51_1702
	s_branch .LBB51_1733
.LBB51_1667:
	s_mov_b32 s4, -1
	s_mov_b32 s3, 0
	s_mov_b32 s1, 0
                                        ; implicit-def: $vgpr40
	s_branch .LBB51_1683
.LBB51_1668:
	s_mov_b32 s3, 0
	s_mov_b32 s1, 0
                                        ; implicit-def: $vgpr40
	s_cbranch_execnz .LBB51_1679
	s_branch .LBB51_1682
.LBB51_1669:
	s_mov_b32 s4, -1
	s_mov_b32 s3, 0
	s_mov_b32 s1, 0
	s_branch .LBB51_1673
.LBB51_1670:
	s_and_not1_saveexec_b32 s5, s5
	s_cbranch_execz .LBB51_1525
.LBB51_1671:
	v_add_f32_e64 v1, 0x46000000, |v0|
	s_and_not1_b32 s4, s4, exec_lo
	s_delay_alu instid0(VALU_DEP_1) | instskip(NEXT) | instid1(VALU_DEP_1)
	v_and_b32_e32 v1, 0xff, v1
	v_cmp_ne_u32_e32 vcc_lo, 0, v1
	s_and_b32 s6, vcc_lo, exec_lo
	s_delay_alu instid0(SALU_CYCLE_1)
	s_or_b32 s4, s4, s6
	s_or_b32 exec_lo, exec_lo, s5
	v_mov_b32_e32 v4, 0
	s_and_saveexec_b32 s5, s4
	s_cbranch_execnz .LBB51_1526
	s_branch .LBB51_1527
.LBB51_1672:
	s_mov_b32 s1, -1
	s_mov_b32 s3, 0
.LBB51_1673:
                                        ; implicit-def: $vgpr40
.LBB51_1674:
	s_and_b32 vcc_lo, exec_lo, s4
	s_cbranch_vccz .LBB51_1677
; %bb.1675:
	s_cmp_eq_u32 s0, 44
	s_cbranch_scc0 .LBB51_1678
; %bb.1676:
	global_load_u8 v1, v[2:3], off
	s_mov_b32 s1, 0
	s_mov_b32 s3, -1
	s_wait_loadcnt 0x0
	v_lshlrev_b32_e32 v4, 23, v1
	v_cmp_ne_u32_e32 vcc_lo, 0xff, v1
	s_delay_alu instid0(VALU_DEP_2) | instskip(SKIP_1) | instid1(VALU_DEP_2)
	v_cndmask_b32_e32 v4, 0x7f800001, v4, vcc_lo
	v_cmp_ne_u32_e32 vcc_lo, 0, v1
	v_cndmask_b32_e32 v40, 0x400000, v4, vcc_lo
.LBB51_1677:
	s_branch .LBB51_1682
.LBB51_1678:
	s_mov_b32 s1, -1
                                        ; implicit-def: $vgpr40
	s_branch .LBB51_1682
.LBB51_1679:
	s_cmp_eq_u32 s0, 29
	s_cbranch_scc0 .LBB51_1681
; %bb.1680:
	global_load_b64 v[4:5], v[2:3], off
	s_mov_b32 s1, 0
	s_mov_b32 s3, -1
	s_mov_b32 s4, 0
	s_wait_loadcnt 0x0
	v_clz_i32_u32_e32 v1, v5
	s_delay_alu instid0(VALU_DEP_1) | instskip(NEXT) | instid1(VALU_DEP_1)
	v_min_u32_e32 v1, 32, v1
	v_lshlrev_b64_e32 v[4:5], v1, v[4:5]
	v_sub_nc_u32_e32 v1, 32, v1
	s_delay_alu instid0(VALU_DEP_2) | instskip(NEXT) | instid1(VALU_DEP_1)
	v_min_u32_e32 v4, 1, v4
	v_or_b32_e32 v4, v5, v4
	s_delay_alu instid0(VALU_DEP_1) | instskip(NEXT) | instid1(VALU_DEP_1)
	v_cvt_f32_u32_e32 v4, v4
	v_ldexp_f32 v40, v4, v1
	s_branch .LBB51_1683
.LBB51_1681:
	s_mov_b32 s1, -1
                                        ; implicit-def: $vgpr40
.LBB51_1682:
	s_mov_b32 s4, 0
.LBB51_1683:
	s_delay_alu instid0(SALU_CYCLE_1)
	s_and_b32 vcc_lo, exec_lo, s4
	s_cbranch_vccz .LBB51_1701
; %bb.1684:
	s_cmp_lt_i32 s0, 27
	s_cbranch_scc1 .LBB51_1687
; %bb.1685:
	s_cmp_gt_i32 s0, 27
	s_cbranch_scc0 .LBB51_1688
; %bb.1686:
	global_load_b32 v1, v[2:3], off
	s_mov_b32 s3, 0
	s_wait_loadcnt 0x0
	v_cvt_f32_u32_e32 v40, v1
	s_branch .LBB51_1689
.LBB51_1687:
	s_mov_b32 s3, -1
                                        ; implicit-def: $vgpr40
	s_branch .LBB51_1692
.LBB51_1688:
	s_mov_b32 s3, -1
                                        ; implicit-def: $vgpr40
.LBB51_1689:
	s_delay_alu instid0(SALU_CYCLE_1)
	s_and_not1_b32 vcc_lo, exec_lo, s3
	s_cbranch_vccnz .LBB51_1691
; %bb.1690:
	global_load_u16 v1, v[2:3], off
	s_wait_loadcnt 0x0
	v_cvt_f32_u32_e32 v40, v1
.LBB51_1691:
	s_mov_b32 s3, 0
.LBB51_1692:
	s_delay_alu instid0(SALU_CYCLE_1)
	s_and_not1_b32 vcc_lo, exec_lo, s3
	s_cbranch_vccnz .LBB51_1700
; %bb.1693:
	global_load_u8 v1, v[2:3], off
	s_mov_b32 s3, 0
	s_mov_b32 s4, exec_lo
	s_wait_loadcnt 0x0
	v_cmpx_lt_i16_e32 0x7f, v1
	s_xor_b32 s4, exec_lo, s4
	s_cbranch_execz .LBB51_1713
; %bb.1694:
	s_mov_b32 s3, -1
	s_mov_b32 s5, exec_lo
	v_cmpx_eq_u16_e32 0x80, v1
; %bb.1695:
	s_xor_b32 s3, exec_lo, -1
; %bb.1696:
	s_or_b32 exec_lo, exec_lo, s5
	s_delay_alu instid0(SALU_CYCLE_1)
	s_and_b32 s3, s3, exec_lo
	s_or_saveexec_b32 s4, s4
	v_mov_b32_e32 v40, 0x7f800001
	s_xor_b32 exec_lo, exec_lo, s4
	s_cbranch_execnz .LBB51_1714
.LBB51_1697:
	s_or_b32 exec_lo, exec_lo, s4
	s_and_saveexec_b32 s4, s3
	s_cbranch_execz .LBB51_1699
.LBB51_1698:
	v_and_b32_e32 v4, 0xffff, v1
	s_delay_alu instid0(VALU_DEP_1) | instskip(SKIP_1) | instid1(VALU_DEP_2)
	v_and_b32_e32 v5, 7, v4
	v_bfe_u32 v8, v4, 3, 4
	v_clz_i32_u32_e32 v6, v5
	s_delay_alu instid0(VALU_DEP_2) | instskip(NEXT) | instid1(VALU_DEP_2)
	v_cmp_eq_u32_e32 vcc_lo, 0, v8
	v_min_u32_e32 v6, 32, v6
	s_delay_alu instid0(VALU_DEP_1) | instskip(NEXT) | instid1(VALU_DEP_1)
	v_subrev_nc_u32_e32 v7, 28, v6
	v_dual_lshlrev_b32 v4, v7, v4 :: v_dual_sub_nc_u32 v6, 29, v6
	s_delay_alu instid0(VALU_DEP_1) | instskip(NEXT) | instid1(VALU_DEP_1)
	v_dual_lshlrev_b32 v1, 24, v1 :: v_dual_bitop2_b32 v4, 7, v4 bitop3:0x40
	v_dual_cndmask_b32 v6, v8, v6, vcc_lo :: v_dual_cndmask_b32 v4, v5, v4, vcc_lo
	s_delay_alu instid0(VALU_DEP_2) | instskip(NEXT) | instid1(VALU_DEP_2)
	v_and_b32_e32 v1, 0x80000000, v1
	v_lshl_add_u32 v5, v6, 23, 0x3b800000
	s_delay_alu instid0(VALU_DEP_3) | instskip(NEXT) | instid1(VALU_DEP_1)
	v_lshlrev_b32_e32 v4, 20, v4
	v_or3_b32 v40, v1, v5, v4
.LBB51_1699:
	s_or_b32 exec_lo, exec_lo, s4
.LBB51_1700:
	s_mov_b32 s3, -1
.LBB51_1701:
	s_branch .LBB51_1733
.LBB51_1702:
	s_cmp_gt_i32 s0, 22
	s_cbranch_scc0 .LBB51_1712
; %bb.1703:
	s_cmp_lt_i32 s0, 24
	s_cbranch_scc1 .LBB51_1715
; %bb.1704:
	s_cmp_gt_i32 s0, 24
	s_cbranch_scc0 .LBB51_1716
; %bb.1705:
	global_load_u8 v1, v[2:3], off
	s_mov_b32 s3, exec_lo
	s_wait_loadcnt 0x0
	v_cmpx_lt_i16_e32 0x7f, v1
	s_xor_b32 s3, exec_lo, s3
	s_cbranch_execz .LBB51_1727
; %bb.1706:
	s_mov_b32 s2, -1
	s_mov_b32 s4, exec_lo
	v_cmpx_eq_u16_e32 0x80, v1
; %bb.1707:
	s_xor_b32 s2, exec_lo, -1
; %bb.1708:
	s_or_b32 exec_lo, exec_lo, s4
	s_delay_alu instid0(SALU_CYCLE_1)
	s_and_b32 s2, s2, exec_lo
	s_or_saveexec_b32 s3, s3
	v_mov_b32_e32 v40, 0x7f800001
	s_xor_b32 exec_lo, exec_lo, s3
	s_cbranch_execnz .LBB51_1728
.LBB51_1709:
	s_or_b32 exec_lo, exec_lo, s3
	s_and_saveexec_b32 s3, s2
	s_cbranch_execz .LBB51_1711
.LBB51_1710:
	v_and_b32_e32 v4, 0xffff, v1
	s_delay_alu instid0(VALU_DEP_1) | instskip(SKIP_1) | instid1(VALU_DEP_2)
	v_and_b32_e32 v5, 3, v4
	v_bfe_u32 v8, v4, 2, 5
	v_clz_i32_u32_e32 v6, v5
	s_delay_alu instid0(VALU_DEP_2) | instskip(NEXT) | instid1(VALU_DEP_2)
	v_cmp_eq_u32_e32 vcc_lo, 0, v8
	v_min_u32_e32 v6, 32, v6
	s_delay_alu instid0(VALU_DEP_1) | instskip(NEXT) | instid1(VALU_DEP_1)
	v_subrev_nc_u32_e32 v7, 29, v6
	v_dual_lshlrev_b32 v4, v7, v4 :: v_dual_sub_nc_u32 v6, 30, v6
	s_delay_alu instid0(VALU_DEP_1) | instskip(NEXT) | instid1(VALU_DEP_1)
	v_dual_lshlrev_b32 v1, 24, v1 :: v_dual_bitop2_b32 v4, 3, v4 bitop3:0x40
	v_dual_cndmask_b32 v6, v8, v6, vcc_lo :: v_dual_cndmask_b32 v4, v5, v4, vcc_lo
	s_delay_alu instid0(VALU_DEP_2) | instskip(NEXT) | instid1(VALU_DEP_2)
	v_and_b32_e32 v1, 0x80000000, v1
	v_lshl_add_u32 v5, v6, 23, 0x37800000
	s_delay_alu instid0(VALU_DEP_3) | instskip(NEXT) | instid1(VALU_DEP_1)
	v_lshlrev_b32_e32 v4, 21, v4
	v_or3_b32 v40, v1, v5, v4
.LBB51_1711:
	s_or_b32 exec_lo, exec_lo, s3
	s_mov_b32 s2, 0
	s_branch .LBB51_1717
.LBB51_1712:
                                        ; implicit-def: $vgpr40
	s_mov_b32 s2, 0
	s_branch .LBB51_1723
.LBB51_1713:
	s_or_saveexec_b32 s4, s4
	v_mov_b32_e32 v40, 0x7f800001
	s_xor_b32 exec_lo, exec_lo, s4
	s_cbranch_execz .LBB51_1697
.LBB51_1714:
	v_cmp_ne_u16_e32 vcc_lo, 0, v1
	v_mov_b32_e32 v40, 0
	s_and_not1_b32 s3, s3, exec_lo
	s_and_b32 s5, vcc_lo, exec_lo
	s_delay_alu instid0(SALU_CYCLE_1)
	s_or_b32 s3, s3, s5
	s_or_b32 exec_lo, exec_lo, s4
	s_and_saveexec_b32 s4, s3
	s_cbranch_execnz .LBB51_1698
	s_branch .LBB51_1699
.LBB51_1715:
	s_mov_b32 s2, -1
                                        ; implicit-def: $vgpr40
	s_branch .LBB51_1720
.LBB51_1716:
	s_mov_b32 s2, -1
                                        ; implicit-def: $vgpr40
.LBB51_1717:
	s_delay_alu instid0(SALU_CYCLE_1)
	s_and_b32 vcc_lo, exec_lo, s2
	s_cbranch_vccz .LBB51_1719
; %bb.1718:
	global_load_u8 v1, v[2:3], off
	s_wait_loadcnt 0x0
	v_lshlrev_b32_e32 v1, 24, v1
	s_delay_alu instid0(VALU_DEP_1) | instskip(NEXT) | instid1(VALU_DEP_1)
	v_and_b32_e32 v4, 0x7f000000, v1
	v_clz_i32_u32_e32 v5, v4
	v_cmp_ne_u32_e32 vcc_lo, 0, v4
	v_add_nc_u32_e32 v7, 0x1000000, v4
	s_delay_alu instid0(VALU_DEP_3) | instskip(NEXT) | instid1(VALU_DEP_1)
	v_min_u32_e32 v5, 32, v5
	v_sub_nc_u32_e64 v5, v5, 4 clamp
	s_delay_alu instid0(VALU_DEP_1) | instskip(NEXT) | instid1(VALU_DEP_1)
	v_dual_lshlrev_b32 v6, v5, v4 :: v_dual_lshlrev_b32 v5, 23, v5
	v_lshrrev_b32_e32 v6, 4, v6
	s_delay_alu instid0(VALU_DEP_1) | instskip(NEXT) | instid1(VALU_DEP_1)
	v_dual_sub_nc_u32 v5, v6, v5 :: v_dual_ashrrev_i32 v6, 8, v7
	v_add_nc_u32_e32 v5, 0x3c000000, v5
	s_delay_alu instid0(VALU_DEP_1) | instskip(NEXT) | instid1(VALU_DEP_1)
	v_and_or_b32 v5, 0x7f800000, v6, v5
	v_cndmask_b32_e32 v4, 0, v5, vcc_lo
	s_delay_alu instid0(VALU_DEP_1)
	v_and_or_b32 v40, 0x80000000, v1, v4
.LBB51_1719:
	s_mov_b32 s2, 0
.LBB51_1720:
	s_delay_alu instid0(SALU_CYCLE_1)
	s_and_not1_b32 vcc_lo, exec_lo, s2
	s_cbranch_vccnz .LBB51_1722
; %bb.1721:
	global_load_u8 v1, v[2:3], off
	s_wait_loadcnt 0x0
	v_lshlrev_b32_e32 v4, 25, v1
	v_lshlrev_b16 v1, 8, v1
	s_delay_alu instid0(VALU_DEP_1) | instskip(SKIP_1) | instid1(VALU_DEP_2)
	v_and_or_b32 v6, 0x7f00, v1, 0.5
	v_bfe_i32 v1, v1, 0, 16
	v_dual_add_f32 v6, -0.5, v6 :: v_dual_lshrrev_b32 v5, 4, v4
	v_cmp_gt_u32_e32 vcc_lo, 0x8000000, v4
	s_delay_alu instid0(VALU_DEP_2) | instskip(NEXT) | instid1(VALU_DEP_1)
	v_or_b32_e32 v5, 0x70000000, v5
	v_mul_f32_e32 v5, 0x7800000, v5
	s_delay_alu instid0(VALU_DEP_1) | instskip(NEXT) | instid1(VALU_DEP_1)
	v_cndmask_b32_e32 v4, v5, v6, vcc_lo
	v_and_or_b32 v40, 0x80000000, v1, v4
.LBB51_1722:
	s_mov_b32 s3, -1
	s_mov_b32 s2, 0
	s_cbranch_execnz .LBB51_1733
.LBB51_1723:
	s_cmp_gt_i32 s0, 14
	s_cbranch_scc0 .LBB51_1726
; %bb.1724:
	s_cmp_eq_u32 s0, 15
	s_cbranch_scc0 .LBB51_1729
; %bb.1725:
	global_load_u16 v1, v[2:3], off
	s_mov_b32 s1, 0
	s_mov_b32 s3, -1
	s_wait_loadcnt 0x0
	v_lshlrev_b32_e32 v40, 16, v1
	s_branch .LBB51_1731
.LBB51_1726:
	s_mov_b32 s2, -1
	s_branch .LBB51_1730
.LBB51_1727:
	s_or_saveexec_b32 s3, s3
	v_mov_b32_e32 v40, 0x7f800001
	s_xor_b32 exec_lo, exec_lo, s3
	s_cbranch_execz .LBB51_1709
.LBB51_1728:
	v_cmp_ne_u16_e32 vcc_lo, 0, v1
	v_mov_b32_e32 v40, 0
	s_and_not1_b32 s2, s2, exec_lo
	s_and_b32 s4, vcc_lo, exec_lo
	s_delay_alu instid0(SALU_CYCLE_1)
	s_or_b32 s2, s2, s4
	s_or_b32 exec_lo, exec_lo, s3
	s_and_saveexec_b32 s3, s2
	s_cbranch_execnz .LBB51_1710
	s_branch .LBB51_1711
.LBB51_1729:
	s_mov_b32 s1, -1
.LBB51_1730:
                                        ; implicit-def: $vgpr40
.LBB51_1731:
	s_and_b32 vcc_lo, exec_lo, s2
	s_mov_b32 s2, 0
	s_cbranch_vccz .LBB51_1733
; %bb.1732:
	s_cmp_lg_u32 s0, 11
	s_mov_b32 s2, -1
	s_cselect_b32 s1, -1, 0
.LBB51_1733:
	s_delay_alu instid0(SALU_CYCLE_1)
	s_and_b32 vcc_lo, exec_lo, s1
	s_mov_b32 s50, s48
	s_cbranch_vccnz .LBB51_1794
; %bb.1734:
	s_and_not1_b32 vcc_lo, exec_lo, s2
	s_cbranch_vccnz .LBB51_1736
.LBB51_1735:
	global_load_u8 v1, v[2:3], off
	s_mov_b32 s3, -1
	s_wait_loadcnt 0x0
	v_cmp_ne_u16_e32 vcc_lo, 0, v1
	v_cndmask_b32_e64 v40, 0, 1.0, vcc_lo
.LBB51_1736:
	s_branch .LBB51_1665
.LBB51_1737:
	s_and_b32 s0, 0xffff, s52
	s_delay_alu instid0(SALU_CYCLE_1)
	s_cmp_lt_i32 s0, 5
	s_cbranch_scc1 .LBB51_1742
; %bb.1738:
	s_cmp_lt_i32 s0, 8
	s_cbranch_scc1 .LBB51_1743
; %bb.1739:
	;; [unrolled: 3-line block ×3, first 2 shown]
	s_cmp_gt_i32 s0, 9
	s_cbranch_scc0 .LBB51_1745
; %bb.1741:
	global_load_b64 v[4:5], v[2:3], off
	s_mov_b32 s1, 0
	s_wait_loadcnt 0x0
	v_cvt_f32_f64_e32 v40, v[4:5]
	s_branch .LBB51_1746
.LBB51_1742:
                                        ; implicit-def: $vgpr40
	s_branch .LBB51_1763
.LBB51_1743:
                                        ; implicit-def: $vgpr40
	s_branch .LBB51_1752
.LBB51_1744:
	s_mov_b32 s1, -1
                                        ; implicit-def: $vgpr40
	s_branch .LBB51_1749
.LBB51_1745:
	s_mov_b32 s1, -1
                                        ; implicit-def: $vgpr40
.LBB51_1746:
	s_delay_alu instid0(SALU_CYCLE_1)
	s_and_not1_b32 vcc_lo, exec_lo, s1
	s_cbranch_vccnz .LBB51_1748
; %bb.1747:
	global_load_b32 v40, v[2:3], off
.LBB51_1748:
	s_mov_b32 s1, 0
.LBB51_1749:
	s_delay_alu instid0(SALU_CYCLE_1)
	s_and_not1_b32 vcc_lo, exec_lo, s1
	s_cbranch_vccnz .LBB51_1751
; %bb.1750:
	global_load_b32 v1, v[2:3], off
	s_wait_loadcnt 0x0
	v_cvt_f32_f16_e32 v40, v1
.LBB51_1751:
	s_cbranch_execnz .LBB51_1762
.LBB51_1752:
	s_cmp_lt_i32 s0, 6
	s_cbranch_scc1 .LBB51_1755
; %bb.1753:
	s_cmp_gt_i32 s0, 6
	s_cbranch_scc0 .LBB51_1756
; %bb.1754:
	global_load_b64 v[4:5], v[2:3], off
	s_mov_b32 s1, 0
	s_wait_loadcnt 0x0
	v_cvt_f32_f64_e32 v40, v[4:5]
	s_branch .LBB51_1757
.LBB51_1755:
	s_mov_b32 s1, -1
                                        ; implicit-def: $vgpr40
	s_branch .LBB51_1760
.LBB51_1756:
	s_mov_b32 s1, -1
                                        ; implicit-def: $vgpr40
.LBB51_1757:
	s_delay_alu instid0(SALU_CYCLE_1)
	s_and_not1_b32 vcc_lo, exec_lo, s1
	s_cbranch_vccnz .LBB51_1759
; %bb.1758:
	s_wait_loadcnt 0x0
	global_load_b32 v40, v[2:3], off
.LBB51_1759:
	s_mov_b32 s1, 0
.LBB51_1760:
	s_delay_alu instid0(SALU_CYCLE_1)
	s_and_not1_b32 vcc_lo, exec_lo, s1
	s_cbranch_vccnz .LBB51_1762
; %bb.1761:
	global_load_u16 v1, v[2:3], off
	s_wait_loadcnt 0x0
	v_cvt_f32_f16_e32 v40, v1
.LBB51_1762:
	s_cbranch_execnz .LBB51_1781
.LBB51_1763:
	s_cmp_lt_i32 s0, 2
	s_cbranch_scc1 .LBB51_1767
; %bb.1764:
	s_cmp_lt_i32 s0, 3
	s_cbranch_scc1 .LBB51_1768
; %bb.1765:
	s_cmp_gt_i32 s0, 3
	s_cbranch_scc0 .LBB51_1769
; %bb.1766:
	global_load_b64 v[4:5], v[2:3], off
	s_mov_b32 s1, 0
	s_wait_loadcnt 0x0
	v_xor_b32_e32 v1, v4, v5
	v_cls_i32_e32 v6, v5
	s_delay_alu instid0(VALU_DEP_2) | instskip(NEXT) | instid1(VALU_DEP_1)
	v_ashrrev_i32_e32 v1, 31, v1
	v_add_nc_u32_e32 v1, 32, v1
	s_delay_alu instid0(VALU_DEP_1) | instskip(NEXT) | instid1(VALU_DEP_1)
	v_add_min_u32_e64 v1, v6, -1, v1
	v_lshlrev_b64_e32 v[4:5], v1, v[4:5]
	v_sub_nc_u32_e32 v1, 32, v1
	s_delay_alu instid0(VALU_DEP_2) | instskip(NEXT) | instid1(VALU_DEP_1)
	v_min_u32_e32 v4, 1, v4
	v_or_b32_e32 v4, v5, v4
	s_delay_alu instid0(VALU_DEP_1) | instskip(NEXT) | instid1(VALU_DEP_1)
	v_cvt_f32_i32_e32 v4, v4
	v_ldexp_f32 v40, v4, v1
	s_branch .LBB51_1770
.LBB51_1767:
                                        ; implicit-def: $vgpr40
	s_branch .LBB51_1776
.LBB51_1768:
	s_mov_b32 s1, -1
                                        ; implicit-def: $vgpr40
	s_branch .LBB51_1773
.LBB51_1769:
	s_mov_b32 s1, -1
                                        ; implicit-def: $vgpr40
.LBB51_1770:
	s_delay_alu instid0(SALU_CYCLE_1)
	s_and_not1_b32 vcc_lo, exec_lo, s1
	s_cbranch_vccnz .LBB51_1772
; %bb.1771:
	global_load_b32 v1, v[2:3], off
	s_wait_loadcnt 0x0
	v_cvt_f32_i32_e32 v40, v1
.LBB51_1772:
	s_mov_b32 s1, 0
.LBB51_1773:
	s_delay_alu instid0(SALU_CYCLE_1)
	s_and_not1_b32 vcc_lo, exec_lo, s1
	s_cbranch_vccnz .LBB51_1775
; %bb.1774:
	global_load_i16 v1, v[2:3], off
	s_wait_loadcnt 0x0
	v_cvt_f32_i32_e32 v40, v1
.LBB51_1775:
	s_cbranch_execnz .LBB51_1781
.LBB51_1776:
	s_cmp_gt_i32 s0, 0
	s_mov_b32 s0, 0
	s_cbranch_scc0 .LBB51_1778
; %bb.1777:
	global_load_i8 v1, v[2:3], off
	s_wait_loadcnt 0x0
	v_cvt_f32_i32_e32 v40, v1
	s_branch .LBB51_1779
.LBB51_1778:
	s_mov_b32 s0, -1
                                        ; implicit-def: $vgpr40
.LBB51_1779:
	s_delay_alu instid0(SALU_CYCLE_1)
	s_and_not1_b32 vcc_lo, exec_lo, s0
	s_cbranch_vccnz .LBB51_1781
; %bb.1780:
	global_load_u8 v1, v[2:3], off
	s_wait_loadcnt 0x0
	v_cvt_f32_ubyte0_e32 v40, v1
.LBB51_1781:
.LBB51_1782:
	v_mov_b32_e32 v1, 0
	s_load_b64 s[46:47], s[34:35], 0x198
	global_load_u8 v2, v1, s[34:35] offset:419
	s_wait_kmcnt 0x0
	v_add_nc_u64_e32 v[0:1], s[46:47], v[0:1]
	s_wait_loadcnt 0x0
	v_and_b32_e32 v3, 0xffff, v2
	v_readfirstlane_b32 s53, v2
	s_delay_alu instid0(VALU_DEP_2)
	v_cmp_gt_i32_e32 vcc_lo, 11, v3
	s_cbranch_vccnz .LBB51_1789
; %bb.1783:
	s_and_b32 s0, 0xffff, s53
	s_mov_b32 s2, 0
	s_cmp_gt_i32 s0, 25
	s_cbranch_scc0 .LBB51_1791
; %bb.1784:
	s_cmp_gt_i32 s0, 28
	s_cbranch_scc0 .LBB51_1792
; %bb.1785:
	s_cmp_gt_i32 s0, 43
	s_cbranch_scc0 .LBB51_1793
; %bb.1786:
	s_cmp_gt_i32 s0, 45
	s_cbranch_scc0 .LBB51_1795
; %bb.1787:
	s_cmp_eq_u32 s0, 46
	s_mov_b32 s4, 0
	s_cbranch_scc0 .LBB51_1798
; %bb.1788:
	global_load_b32 v2, v[0:1], off
	s_mov_b32 s1, 0
	s_mov_b32 s3, -1
	s_wait_loadcnt 0x0
	v_lshlrev_b32_e32 v43, 16, v2
	s_branch .LBB51_1800
.LBB51_1789:
	s_mov_b32 s3, 0
                                        ; implicit-def: $vgpr43
	s_cbranch_execnz .LBB51_1865
.LBB51_1790:
	s_and_not1_b32 vcc_lo, exec_lo, s3
	s_cbranch_vccnz .LBB51_2715
	s_branch .LBB51_1912
.LBB51_1791:
	s_mov_b32 s3, 0
	s_mov_b32 s1, 0
                                        ; implicit-def: $vgpr43
	s_cbranch_execnz .LBB51_1829
	s_branch .LBB51_1861
.LBB51_1792:
	s_mov_b32 s4, -1
	s_mov_b32 s3, 0
	s_mov_b32 s1, 0
                                        ; implicit-def: $vgpr43
	s_branch .LBB51_1810
.LBB51_1793:
	s_mov_b32 s4, -1
	s_mov_b32 s3, 0
	s_mov_b32 s1, 0
                                        ; implicit-def: $vgpr43
	s_branch .LBB51_1805
.LBB51_1794:
	s_or_b32 s50, s48, exec_lo
	s_trap 2
	s_cbranch_execz .LBB51_1735
	s_branch .LBB51_1736
.LBB51_1795:
	s_mov_b32 s4, -1
	s_mov_b32 s3, 0
	s_mov_b32 s1, 0
	s_branch .LBB51_1799
.LBB51_1796:
	s_and_not1_saveexec_b32 s6, s6
	s_cbranch_execz .LBB51_1537
.LBB51_1797:
	v_add_f32_e64 v1, 0x42800000, |v0|
	s_and_not1_b32 s5, s5, exec_lo
	s_delay_alu instid0(VALU_DEP_1) | instskip(NEXT) | instid1(VALU_DEP_1)
	v_and_b32_e32 v1, 0xff, v1
	v_cmp_ne_u32_e32 vcc_lo, 0, v1
	s_and_b32 s7, vcc_lo, exec_lo
	s_delay_alu instid0(SALU_CYCLE_1)
	s_or_b32 s5, s5, s7
	s_or_b32 exec_lo, exec_lo, s6
	v_mov_b32_e32 v4, 0
	s_and_saveexec_b32 s6, s5
	s_cbranch_execnz .LBB51_1538
	s_branch .LBB51_1539
.LBB51_1798:
	s_mov_b32 s1, -1
	s_mov_b32 s3, 0
.LBB51_1799:
                                        ; implicit-def: $vgpr43
.LBB51_1800:
	s_and_b32 vcc_lo, exec_lo, s4
	s_cbranch_vccz .LBB51_1804
; %bb.1801:
	s_cmp_eq_u32 s0, 44
	s_cbranch_scc0 .LBB51_1803
; %bb.1802:
	global_load_u8 v2, v[0:1], off
	s_mov_b32 s1, 0
	s_mov_b32 s3, -1
	s_wait_loadcnt 0x0
	v_lshlrev_b32_e32 v3, 23, v2
	v_cmp_ne_u32_e32 vcc_lo, 0xff, v2
	s_delay_alu instid0(VALU_DEP_2) | instskip(SKIP_1) | instid1(VALU_DEP_2)
	v_cndmask_b32_e32 v3, 0x7f800001, v3, vcc_lo
	v_cmp_ne_u32_e32 vcc_lo, 0, v2
	v_cndmask_b32_e32 v43, 0x400000, v3, vcc_lo
	s_branch .LBB51_1804
.LBB51_1803:
	s_mov_b32 s1, -1
                                        ; implicit-def: $vgpr43
.LBB51_1804:
	s_mov_b32 s4, 0
.LBB51_1805:
	s_delay_alu instid0(SALU_CYCLE_1)
	s_and_b32 vcc_lo, exec_lo, s4
	s_cbranch_vccz .LBB51_1809
; %bb.1806:
	s_cmp_eq_u32 s0, 29
	s_cbranch_scc0 .LBB51_1808
; %bb.1807:
	global_load_b64 v[2:3], v[0:1], off
	s_mov_b32 s1, 0
	s_mov_b32 s3, -1
	s_mov_b32 s4, 0
	s_wait_loadcnt 0x0
	v_clz_i32_u32_e32 v4, v3
	s_delay_alu instid0(VALU_DEP_1) | instskip(NEXT) | instid1(VALU_DEP_1)
	v_min_u32_e32 v4, 32, v4
	v_lshlrev_b64_e32 v[2:3], v4, v[2:3]
	s_delay_alu instid0(VALU_DEP_1) | instskip(NEXT) | instid1(VALU_DEP_1)
	v_min_u32_e32 v2, 1, v2
	v_dual_sub_nc_u32 v3, 32, v4 :: v_dual_bitop2_b32 v2, v3, v2 bitop3:0x54
	s_delay_alu instid0(VALU_DEP_1) | instskip(NEXT) | instid1(VALU_DEP_1)
	v_cvt_f32_u32_e32 v2, v2
	v_ldexp_f32 v43, v2, v3
	s_branch .LBB51_1810
.LBB51_1808:
	s_mov_b32 s1, -1
                                        ; implicit-def: $vgpr43
.LBB51_1809:
	s_mov_b32 s4, 0
.LBB51_1810:
	s_delay_alu instid0(SALU_CYCLE_1)
	s_and_b32 vcc_lo, exec_lo, s4
	s_cbranch_vccz .LBB51_1828
; %bb.1811:
	s_cmp_lt_i32 s0, 27
	s_cbranch_scc1 .LBB51_1814
; %bb.1812:
	s_cmp_gt_i32 s0, 27
	s_cbranch_scc0 .LBB51_1815
; %bb.1813:
	global_load_b32 v2, v[0:1], off
	s_mov_b32 s3, 0
	s_wait_loadcnt 0x0
	v_cvt_f32_u32_e32 v43, v2
	s_branch .LBB51_1816
.LBB51_1814:
	s_mov_b32 s3, -1
                                        ; implicit-def: $vgpr43
	s_branch .LBB51_1819
.LBB51_1815:
	s_mov_b32 s3, -1
                                        ; implicit-def: $vgpr43
.LBB51_1816:
	s_delay_alu instid0(SALU_CYCLE_1)
	s_and_not1_b32 vcc_lo, exec_lo, s3
	s_cbranch_vccnz .LBB51_1818
; %bb.1817:
	global_load_u16 v2, v[0:1], off
	s_wait_loadcnt 0x0
	v_cvt_f32_u32_e32 v43, v2
.LBB51_1818:
	s_mov_b32 s3, 0
.LBB51_1819:
	s_delay_alu instid0(SALU_CYCLE_1)
	s_and_not1_b32 vcc_lo, exec_lo, s3
	s_cbranch_vccnz .LBB51_1827
; %bb.1820:
	global_load_u8 v2, v[0:1], off
	s_mov_b32 s3, 0
	s_mov_b32 s4, exec_lo
	s_wait_loadcnt 0x0
	v_cmpx_lt_i16_e32 0x7f, v2
	s_xor_b32 s4, exec_lo, s4
	s_cbranch_execz .LBB51_1840
; %bb.1821:
	s_mov_b32 s3, -1
	s_mov_b32 s5, exec_lo
	v_cmpx_eq_u16_e32 0x80, v2
; %bb.1822:
	s_xor_b32 s3, exec_lo, -1
; %bb.1823:
	s_or_b32 exec_lo, exec_lo, s5
	s_delay_alu instid0(SALU_CYCLE_1)
	s_and_b32 s3, s3, exec_lo
	s_or_saveexec_b32 s4, s4
	v_mov_b32_e32 v43, 0x7f800001
	s_xor_b32 exec_lo, exec_lo, s4
	s_cbranch_execnz .LBB51_1841
.LBB51_1824:
	s_or_b32 exec_lo, exec_lo, s4
	s_and_saveexec_b32 s4, s3
	s_cbranch_execz .LBB51_1826
.LBB51_1825:
	v_and_b32_e32 v3, 0xffff, v2
	s_delay_alu instid0(VALU_DEP_1) | instskip(SKIP_1) | instid1(VALU_DEP_2)
	v_and_b32_e32 v4, 7, v3
	v_bfe_u32 v7, v3, 3, 4
	v_clz_i32_u32_e32 v5, v4
	s_delay_alu instid0(VALU_DEP_2) | instskip(NEXT) | instid1(VALU_DEP_2)
	v_cmp_eq_u32_e32 vcc_lo, 0, v7
	v_min_u32_e32 v5, 32, v5
	s_delay_alu instid0(VALU_DEP_1) | instskip(NEXT) | instid1(VALU_DEP_1)
	v_subrev_nc_u32_e32 v6, 28, v5
	v_dual_lshlrev_b32 v3, v6, v3 :: v_dual_sub_nc_u32 v5, 29, v5
	s_delay_alu instid0(VALU_DEP_1) | instskip(NEXT) | instid1(VALU_DEP_1)
	v_dual_lshlrev_b32 v2, 24, v2 :: v_dual_bitop2_b32 v3, 7, v3 bitop3:0x40
	v_dual_cndmask_b32 v5, v7, v5, vcc_lo :: v_dual_cndmask_b32 v3, v4, v3, vcc_lo
	s_delay_alu instid0(VALU_DEP_2) | instskip(NEXT) | instid1(VALU_DEP_2)
	v_and_b32_e32 v2, 0x80000000, v2
	v_lshl_add_u32 v4, v5, 23, 0x3b800000
	s_delay_alu instid0(VALU_DEP_3) | instskip(NEXT) | instid1(VALU_DEP_1)
	v_lshlrev_b32_e32 v3, 20, v3
	v_or3_b32 v43, v2, v4, v3
.LBB51_1826:
	s_or_b32 exec_lo, exec_lo, s4
.LBB51_1827:
	s_mov_b32 s3, -1
.LBB51_1828:
	s_branch .LBB51_1861
.LBB51_1829:
	s_cmp_gt_i32 s0, 22
	s_cbranch_scc0 .LBB51_1839
; %bb.1830:
	s_cmp_lt_i32 s0, 24
	s_cbranch_scc1 .LBB51_1842
; %bb.1831:
	s_cmp_gt_i32 s0, 24
	s_cbranch_scc0 .LBB51_1843
; %bb.1832:
	global_load_u8 v2, v[0:1], off
	s_mov_b32 s3, exec_lo
	s_wait_loadcnt 0x0
	v_cmpx_lt_i16_e32 0x7f, v2
	s_xor_b32 s3, exec_lo, s3
	s_cbranch_execz .LBB51_1855
; %bb.1833:
	s_mov_b32 s2, -1
	s_mov_b32 s4, exec_lo
	v_cmpx_eq_u16_e32 0x80, v2
; %bb.1834:
	s_xor_b32 s2, exec_lo, -1
; %bb.1835:
	s_or_b32 exec_lo, exec_lo, s4
	s_delay_alu instid0(SALU_CYCLE_1)
	s_and_b32 s2, s2, exec_lo
	s_or_saveexec_b32 s3, s3
	v_mov_b32_e32 v43, 0x7f800001
	s_xor_b32 exec_lo, exec_lo, s3
	s_cbranch_execnz .LBB51_1856
.LBB51_1836:
	s_or_b32 exec_lo, exec_lo, s3
	s_and_saveexec_b32 s3, s2
	s_cbranch_execz .LBB51_1838
.LBB51_1837:
	v_and_b32_e32 v3, 0xffff, v2
	s_delay_alu instid0(VALU_DEP_1) | instskip(SKIP_1) | instid1(VALU_DEP_2)
	v_and_b32_e32 v4, 3, v3
	v_bfe_u32 v7, v3, 2, 5
	v_clz_i32_u32_e32 v5, v4
	s_delay_alu instid0(VALU_DEP_2) | instskip(NEXT) | instid1(VALU_DEP_2)
	v_cmp_eq_u32_e32 vcc_lo, 0, v7
	v_min_u32_e32 v5, 32, v5
	s_delay_alu instid0(VALU_DEP_1) | instskip(NEXT) | instid1(VALU_DEP_1)
	v_subrev_nc_u32_e32 v6, 29, v5
	v_dual_lshlrev_b32 v3, v6, v3 :: v_dual_sub_nc_u32 v5, 30, v5
	s_delay_alu instid0(VALU_DEP_1) | instskip(NEXT) | instid1(VALU_DEP_1)
	v_dual_lshlrev_b32 v2, 24, v2 :: v_dual_bitop2_b32 v3, 3, v3 bitop3:0x40
	v_dual_cndmask_b32 v5, v7, v5, vcc_lo :: v_dual_cndmask_b32 v3, v4, v3, vcc_lo
	s_delay_alu instid0(VALU_DEP_2) | instskip(NEXT) | instid1(VALU_DEP_2)
	v_and_b32_e32 v2, 0x80000000, v2
	v_lshl_add_u32 v4, v5, 23, 0x37800000
	s_delay_alu instid0(VALU_DEP_3) | instskip(NEXT) | instid1(VALU_DEP_1)
	v_lshlrev_b32_e32 v3, 21, v3
	v_or3_b32 v43, v2, v4, v3
.LBB51_1838:
	s_or_b32 exec_lo, exec_lo, s3
	s_mov_b32 s2, 0
	s_branch .LBB51_1844
.LBB51_1839:
	s_mov_b32 s2, -1
                                        ; implicit-def: $vgpr43
	s_branch .LBB51_1850
.LBB51_1840:
	s_or_saveexec_b32 s4, s4
	v_mov_b32_e32 v43, 0x7f800001
	s_xor_b32 exec_lo, exec_lo, s4
	s_cbranch_execz .LBB51_1824
.LBB51_1841:
	v_cmp_ne_u16_e32 vcc_lo, 0, v2
	v_mov_b32_e32 v43, 0
	s_and_not1_b32 s3, s3, exec_lo
	s_and_b32 s5, vcc_lo, exec_lo
	s_delay_alu instid0(SALU_CYCLE_1)
	s_or_b32 s3, s3, s5
	s_or_b32 exec_lo, exec_lo, s4
	s_and_saveexec_b32 s4, s3
	s_cbranch_execnz .LBB51_1825
	s_branch .LBB51_1826
.LBB51_1842:
	s_mov_b32 s2, -1
                                        ; implicit-def: $vgpr43
	s_branch .LBB51_1847
.LBB51_1843:
	s_mov_b32 s2, -1
                                        ; implicit-def: $vgpr43
.LBB51_1844:
	s_delay_alu instid0(SALU_CYCLE_1)
	s_and_b32 vcc_lo, exec_lo, s2
	s_cbranch_vccz .LBB51_1846
; %bb.1845:
	global_load_u8 v2, v[0:1], off
	s_wait_loadcnt 0x0
	v_lshlrev_b32_e32 v2, 24, v2
	s_delay_alu instid0(VALU_DEP_1) | instskip(NEXT) | instid1(VALU_DEP_1)
	v_and_b32_e32 v3, 0x7f000000, v2
	v_clz_i32_u32_e32 v4, v3
	v_cmp_ne_u32_e32 vcc_lo, 0, v3
	v_add_nc_u32_e32 v6, 0x1000000, v3
	s_delay_alu instid0(VALU_DEP_3) | instskip(NEXT) | instid1(VALU_DEP_1)
	v_min_u32_e32 v4, 32, v4
	v_sub_nc_u32_e64 v4, v4, 4 clamp
	s_delay_alu instid0(VALU_DEP_1) | instskip(NEXT) | instid1(VALU_DEP_1)
	v_dual_lshlrev_b32 v5, v4, v3 :: v_dual_lshlrev_b32 v4, 23, v4
	v_lshrrev_b32_e32 v5, 4, v5
	s_delay_alu instid0(VALU_DEP_1) | instskip(NEXT) | instid1(VALU_DEP_1)
	v_dual_sub_nc_u32 v4, v5, v4 :: v_dual_ashrrev_i32 v5, 8, v6
	v_add_nc_u32_e32 v4, 0x3c000000, v4
	s_delay_alu instid0(VALU_DEP_1) | instskip(NEXT) | instid1(VALU_DEP_1)
	v_and_or_b32 v4, 0x7f800000, v5, v4
	v_cndmask_b32_e32 v3, 0, v4, vcc_lo
	s_delay_alu instid0(VALU_DEP_1)
	v_and_or_b32 v43, 0x80000000, v2, v3
.LBB51_1846:
	s_mov_b32 s2, 0
.LBB51_1847:
	s_delay_alu instid0(SALU_CYCLE_1)
	s_and_not1_b32 vcc_lo, exec_lo, s2
	s_cbranch_vccnz .LBB51_1849
; %bb.1848:
	global_load_u8 v2, v[0:1], off
	s_wait_loadcnt 0x0
	v_lshlrev_b32_e32 v3, 25, v2
	v_lshlrev_b16 v2, 8, v2
	s_delay_alu instid0(VALU_DEP_1) | instskip(SKIP_1) | instid1(VALU_DEP_2)
	v_and_or_b32 v5, 0x7f00, v2, 0.5
	v_bfe_i32 v2, v2, 0, 16
	v_dual_add_f32 v5, -0.5, v5 :: v_dual_lshrrev_b32 v4, 4, v3
	v_cmp_gt_u32_e32 vcc_lo, 0x8000000, v3
	s_delay_alu instid0(VALU_DEP_2) | instskip(NEXT) | instid1(VALU_DEP_1)
	v_or_b32_e32 v4, 0x70000000, v4
	v_mul_f32_e32 v4, 0x7800000, v4
	s_delay_alu instid0(VALU_DEP_1) | instskip(NEXT) | instid1(VALU_DEP_1)
	v_cndmask_b32_e32 v3, v4, v5, vcc_lo
	v_and_or_b32 v43, 0x80000000, v2, v3
.LBB51_1849:
	s_mov_b32 s2, 0
	s_mov_b32 s3, -1
.LBB51_1850:
	s_and_not1_b32 vcc_lo, exec_lo, s2
	s_mov_b32 s2, 0
	s_cbranch_vccnz .LBB51_1861
; %bb.1851:
	s_cmp_gt_i32 s0, 14
	s_cbranch_scc0 .LBB51_1854
; %bb.1852:
	s_cmp_eq_u32 s0, 15
	s_cbranch_scc0 .LBB51_1857
; %bb.1853:
	global_load_u16 v2, v[0:1], off
	s_mov_b32 s1, 0
	s_mov_b32 s3, -1
	s_wait_loadcnt 0x0
	v_lshlrev_b32_e32 v43, 16, v2
	s_branch .LBB51_1859
.LBB51_1854:
	s_mov_b32 s2, -1
	s_branch .LBB51_1858
.LBB51_1855:
	s_or_saveexec_b32 s3, s3
	v_mov_b32_e32 v43, 0x7f800001
	s_xor_b32 exec_lo, exec_lo, s3
	s_cbranch_execz .LBB51_1836
.LBB51_1856:
	v_cmp_ne_u16_e32 vcc_lo, 0, v2
	v_mov_b32_e32 v43, 0
	s_and_not1_b32 s2, s2, exec_lo
	s_and_b32 s4, vcc_lo, exec_lo
	s_delay_alu instid0(SALU_CYCLE_1)
	s_or_b32 s2, s2, s4
	s_or_b32 exec_lo, exec_lo, s3
	s_and_saveexec_b32 s3, s2
	s_cbranch_execnz .LBB51_1837
	s_branch .LBB51_1838
.LBB51_1857:
	s_mov_b32 s1, -1
.LBB51_1858:
                                        ; implicit-def: $vgpr43
.LBB51_1859:
	s_and_b32 vcc_lo, exec_lo, s2
	s_mov_b32 s2, 0
	s_cbranch_vccz .LBB51_1861
; %bb.1860:
	s_cmp_lg_u32 s0, 11
	s_mov_b32 s2, -1
	s_cselect_b32 s1, -1, 0
.LBB51_1861:
	s_delay_alu instid0(SALU_CYCLE_1)
	s_and_b32 vcc_lo, exec_lo, s1
	s_cbranch_vccnz .LBB51_1928
; %bb.1862:
	s_and_not1_b32 vcc_lo, exec_lo, s2
	s_cbranch_vccnz .LBB51_1864
.LBB51_1863:
	global_load_u8 v2, v[0:1], off
	s_mov_b32 s3, -1
	s_wait_loadcnt 0x0
	v_cmp_ne_u16_e32 vcc_lo, 0, v2
	v_cndmask_b32_e64 v43, 0, 1.0, vcc_lo
.LBB51_1864:
	s_branch .LBB51_1790
.LBB51_1865:
	s_and_b32 s0, 0xffff, s53
	s_delay_alu instid0(SALU_CYCLE_1)
	s_cmp_lt_i32 s0, 5
	s_cbranch_scc1 .LBB51_1870
; %bb.1866:
	s_cmp_lt_i32 s0, 8
	s_cbranch_scc1 .LBB51_1871
; %bb.1867:
	;; [unrolled: 3-line block ×3, first 2 shown]
	s_cmp_gt_i32 s0, 9
	s_cbranch_scc0 .LBB51_1873
; %bb.1869:
	global_load_b64 v[2:3], v[0:1], off
	s_mov_b32 s1, 0
	s_wait_loadcnt 0x0
	v_cvt_f32_f64_e32 v43, v[2:3]
	s_branch .LBB51_1874
.LBB51_1870:
                                        ; implicit-def: $vgpr43
	s_branch .LBB51_1892
.LBB51_1871:
	s_mov_b32 s1, -1
                                        ; implicit-def: $vgpr43
	s_branch .LBB51_1880
.LBB51_1872:
	s_mov_b32 s1, -1
                                        ; implicit-def: $vgpr43
	s_branch .LBB51_1877
.LBB51_1873:
	s_mov_b32 s1, -1
                                        ; implicit-def: $vgpr43
.LBB51_1874:
	s_delay_alu instid0(SALU_CYCLE_1)
	s_and_not1_b32 vcc_lo, exec_lo, s1
	s_cbranch_vccnz .LBB51_1876
; %bb.1875:
	global_load_b32 v43, v[0:1], off
.LBB51_1876:
	s_mov_b32 s1, 0
.LBB51_1877:
	s_delay_alu instid0(SALU_CYCLE_1)
	s_and_not1_b32 vcc_lo, exec_lo, s1
	s_cbranch_vccnz .LBB51_1879
; %bb.1878:
	global_load_b32 v2, v[0:1], off
	s_wait_loadcnt 0x0
	v_cvt_f32_f16_e32 v43, v2
.LBB51_1879:
	s_mov_b32 s1, 0
.LBB51_1880:
	s_delay_alu instid0(SALU_CYCLE_1)
	s_and_not1_b32 vcc_lo, exec_lo, s1
	s_cbranch_vccnz .LBB51_1891
; %bb.1881:
	s_cmp_lt_i32 s0, 6
	s_cbranch_scc1 .LBB51_1884
; %bb.1882:
	s_cmp_gt_i32 s0, 6
	s_cbranch_scc0 .LBB51_1885
; %bb.1883:
	global_load_b64 v[2:3], v[0:1], off
	s_mov_b32 s1, 0
	s_wait_loadcnt 0x0
	v_cvt_f32_f64_e32 v43, v[2:3]
	s_branch .LBB51_1886
.LBB51_1884:
	s_mov_b32 s1, -1
                                        ; implicit-def: $vgpr43
	s_branch .LBB51_1889
.LBB51_1885:
	s_mov_b32 s1, -1
                                        ; implicit-def: $vgpr43
.LBB51_1886:
	s_delay_alu instid0(SALU_CYCLE_1)
	s_and_not1_b32 vcc_lo, exec_lo, s1
	s_cbranch_vccnz .LBB51_1888
; %bb.1887:
	s_wait_loadcnt 0x0
	global_load_b32 v43, v[0:1], off
.LBB51_1888:
	s_mov_b32 s1, 0
.LBB51_1889:
	s_delay_alu instid0(SALU_CYCLE_1)
	s_and_not1_b32 vcc_lo, exec_lo, s1
	s_cbranch_vccnz .LBB51_1891
; %bb.1890:
	global_load_u16 v2, v[0:1], off
	s_wait_loadcnt 0x0
	v_cvt_f32_f16_e32 v43, v2
.LBB51_1891:
	s_cbranch_execnz .LBB51_1911
.LBB51_1892:
	s_cmp_lt_i32 s0, 2
	s_cbranch_scc1 .LBB51_1896
; %bb.1893:
	s_cmp_lt_i32 s0, 3
	s_cbranch_scc1 .LBB51_1897
; %bb.1894:
	s_cmp_gt_i32 s0, 3
	s_cbranch_scc0 .LBB51_1898
; %bb.1895:
	global_load_b64 v[2:3], v[0:1], off
	s_mov_b32 s1, 0
	s_wait_loadcnt 0x0
	v_xor_b32_e32 v4, v2, v3
	v_cls_i32_e32 v5, v3
	s_delay_alu instid0(VALU_DEP_2) | instskip(NEXT) | instid1(VALU_DEP_1)
	v_ashrrev_i32_e32 v4, 31, v4
	v_add_nc_u32_e32 v4, 32, v4
	s_delay_alu instid0(VALU_DEP_1) | instskip(NEXT) | instid1(VALU_DEP_1)
	v_add_min_u32_e64 v4, v5, -1, v4
	v_lshlrev_b64_e32 v[2:3], v4, v[2:3]
	s_delay_alu instid0(VALU_DEP_1) | instskip(NEXT) | instid1(VALU_DEP_1)
	v_min_u32_e32 v2, 1, v2
	v_dual_sub_nc_u32 v3, 32, v4 :: v_dual_bitop2_b32 v2, v3, v2 bitop3:0x54
	s_delay_alu instid0(VALU_DEP_1) | instskip(NEXT) | instid1(VALU_DEP_1)
	v_cvt_f32_i32_e32 v2, v2
	v_ldexp_f32 v43, v2, v3
	s_branch .LBB51_1899
.LBB51_1896:
	s_mov_b32 s1, -1
                                        ; implicit-def: $vgpr43
	s_branch .LBB51_1905
.LBB51_1897:
	s_mov_b32 s1, -1
                                        ; implicit-def: $vgpr43
	s_branch .LBB51_1902
.LBB51_1898:
	s_mov_b32 s1, -1
                                        ; implicit-def: $vgpr43
.LBB51_1899:
	s_delay_alu instid0(SALU_CYCLE_1)
	s_and_not1_b32 vcc_lo, exec_lo, s1
	s_cbranch_vccnz .LBB51_1901
; %bb.1900:
	global_load_b32 v2, v[0:1], off
	s_wait_loadcnt 0x0
	v_cvt_f32_i32_e32 v43, v2
.LBB51_1901:
	s_mov_b32 s1, 0
.LBB51_1902:
	s_delay_alu instid0(SALU_CYCLE_1)
	s_and_not1_b32 vcc_lo, exec_lo, s1
	s_cbranch_vccnz .LBB51_1904
; %bb.1903:
	global_load_i16 v2, v[0:1], off
	s_wait_loadcnt 0x0
	v_cvt_f32_i32_e32 v43, v2
.LBB51_1904:
	s_mov_b32 s1, 0
.LBB51_1905:
	s_delay_alu instid0(SALU_CYCLE_1)
	s_and_not1_b32 vcc_lo, exec_lo, s1
	s_cbranch_vccnz .LBB51_1911
; %bb.1906:
	s_cmp_gt_i32 s0, 0
	s_mov_b32 s0, 0
	s_cbranch_scc0 .LBB51_1908
; %bb.1907:
	global_load_i8 v2, v[0:1], off
	s_wait_loadcnt 0x0
	v_cvt_f32_i32_e32 v43, v2
	s_branch .LBB51_1909
.LBB51_1908:
	s_mov_b32 s0, -1
                                        ; implicit-def: $vgpr43
.LBB51_1909:
	s_delay_alu instid0(SALU_CYCLE_1)
	s_and_not1_b32 vcc_lo, exec_lo, s0
	s_cbranch_vccnz .LBB51_1911
; %bb.1910:
	global_load_u8 v0, v[0:1], off
	s_wait_loadcnt 0x0
	v_cvt_f32_ubyte0_e32 v43, v0
.LBB51_1911:
.LBB51_1912:
	s_load_b32 s0, s[34:35], 0x1a0
                                        ; implicit-def: $vgpr42
	s_wait_kmcnt 0x0
	s_bitcmp1_b32 s0, 0
	s_cselect_b32 s0, -1, 0
	s_delay_alu instid0(SALU_CYCLE_1)
	s_xor_b32 s51, s0, -1
	s_mov_b32 s0, -1
	s_and_b32 vcc_lo, exec_lo, s51
	s_cbranch_vccz .LBB51_1914
; %bb.1913:
	s_wait_loadcnt 0x0
	s_delay_alu instid0(VALU_DEP_1) | instskip(SKIP_2) | instid1(SALU_CYCLE_1)
	v_dual_mov_b32 v0, v40 :: v_dual_mov_b32 v1, v43
	s_get_pc_i64 s[0:1]
	s_add_nc_u64 s[0:1], s[0:1], _ZN12_GLOBAL__N_111calc_igammaIfEET_S1_S1_@rel64+4
	s_swap_pc_i64 s[30:31], s[0:1]
	s_delay_alu instid0(VALU_DEP_1)
	v_mov_b32_e32 v42, v0
	s_mov_b32 s0, 0
.LBB51_1914:
	s_delay_alu instid0(SALU_CYCLE_1)
	s_and_not1_b32 vcc_lo, exec_lo, s0
	s_cbranch_vccnz .LBB51_1916
; %bb.1915:
	s_wait_loadcnt 0x0
	s_delay_alu instid0(VALU_DEP_1) | instskip(SKIP_2) | instid1(SALU_CYCLE_1)
	v_dual_mov_b32 v0, v40 :: v_dual_mov_b32 v1, v43
	s_get_pc_i64 s[0:1]
	s_add_nc_u64 s[0:1], s[0:1], _ZN12_GLOBAL__N_112calc_igammacIfEET_S1_S1_@rel64+4
	s_swap_pc_i64 s[30:31], s[0:1]
	s_delay_alu instid0(VALU_DEP_1)
	v_mov_b32_e32 v42, v0
.LBB51_1916:
	v_mov_b32_e32 v85, 0
	s_and_b32 s52, 0xffff, s52
	s_delay_alu instid0(SALU_CYCLE_1) | instskip(NEXT) | instid1(VALU_DEP_1)
	s_cmp_lt_i32 s52, 11
	v_add_nc_u64_e32 v[0:1], s[38:39], v[84:85]
	s_cbranch_scc1 .LBB51_1923
; %bb.1917:
	s_cmp_gt_i32 s52, 25
	s_mov_b32 s1, 0
	s_cbranch_scc0 .LBB51_1925
; %bb.1918:
	s_cmp_gt_i32 s52, 28
	s_cbranch_scc0 .LBB51_1926
; %bb.1919:
	s_cmp_gt_i32 s52, 43
	;; [unrolled: 3-line block ×3, first 2 shown]
	s_cbranch_scc0 .LBB51_1929
; %bb.1921:
	s_cmp_eq_u32 s52, 46
	s_mov_b32 s3, 0
	s_cbranch_scc0 .LBB51_1930
; %bb.1922:
	global_load_b32 v2, v[0:1], off
	s_mov_b32 s0, 0
	s_mov_b32 s2, -1
	s_wait_loadcnt 0x0
	v_lshlrev_b32_e32 v40, 16, v2
	s_branch .LBB51_1932
.LBB51_1923:
	s_mov_b32 s2, 0
                                        ; implicit-def: $vgpr40
	s_cbranch_execnz .LBB51_1998
.LBB51_1924:
	s_and_not1_b32 vcc_lo, exec_lo, s2
	s_cbranch_vccnz .LBB51_2715
	s_branch .LBB51_2046
.LBB51_1925:
	s_mov_b32 s3, -1
	s_mov_b32 s2, 0
	s_mov_b32 s0, 0
                                        ; implicit-def: $vgpr40
	s_branch .LBB51_1961
.LBB51_1926:
	s_mov_b32 s3, -1
	s_mov_b32 s2, 0
	s_mov_b32 s0, 0
                                        ; implicit-def: $vgpr40
	s_branch .LBB51_1942
.LBB51_1927:
	s_mov_b32 s3, -1
	s_mov_b32 s2, 0
	s_mov_b32 s0, 0
                                        ; implicit-def: $vgpr40
	s_branch .LBB51_1937
.LBB51_1928:
	s_or_b32 s50, s50, exec_lo
	s_trap 2
	s_cbranch_execz .LBB51_1863
	s_branch .LBB51_1864
.LBB51_1929:
	s_mov_b32 s3, -1
	s_mov_b32 s2, 0
	s_mov_b32 s0, 0
	s_branch .LBB51_1931
.LBB51_1930:
	s_mov_b32 s0, -1
	s_mov_b32 s2, 0
.LBB51_1931:
                                        ; implicit-def: $vgpr40
.LBB51_1932:
	s_and_b32 vcc_lo, exec_lo, s3
	s_cbranch_vccz .LBB51_1936
; %bb.1933:
	s_cmp_eq_u32 s52, 44
	s_cbranch_scc0 .LBB51_1935
; %bb.1934:
	global_load_u8 v2, v[0:1], off
	s_mov_b32 s0, 0
	s_mov_b32 s2, -1
	s_wait_loadcnt 0x0
	v_lshlrev_b32_e32 v3, 23, v2
	v_cmp_ne_u32_e32 vcc_lo, 0xff, v2
	s_delay_alu instid0(VALU_DEP_2) | instskip(SKIP_1) | instid1(VALU_DEP_2)
	v_cndmask_b32_e32 v3, 0x7f800001, v3, vcc_lo
	v_cmp_ne_u32_e32 vcc_lo, 0, v2
	v_cndmask_b32_e32 v40, 0x400000, v3, vcc_lo
	s_branch .LBB51_1936
.LBB51_1935:
	s_mov_b32 s0, -1
                                        ; implicit-def: $vgpr40
.LBB51_1936:
	s_mov_b32 s3, 0
.LBB51_1937:
	s_delay_alu instid0(SALU_CYCLE_1)
	s_and_b32 vcc_lo, exec_lo, s3
	s_cbranch_vccz .LBB51_1941
; %bb.1938:
	s_cmp_eq_u32 s52, 29
	s_cbranch_scc0 .LBB51_1940
; %bb.1939:
	global_load_b64 v[2:3], v[0:1], off
	s_mov_b32 s0, 0
	s_mov_b32 s2, -1
	s_mov_b32 s3, 0
	s_wait_loadcnt 0x0
	v_clz_i32_u32_e32 v4, v3
	s_delay_alu instid0(VALU_DEP_1) | instskip(NEXT) | instid1(VALU_DEP_1)
	v_min_u32_e32 v4, 32, v4
	v_lshlrev_b64_e32 v[2:3], v4, v[2:3]
	s_delay_alu instid0(VALU_DEP_1) | instskip(NEXT) | instid1(VALU_DEP_1)
	v_min_u32_e32 v2, 1, v2
	v_dual_sub_nc_u32 v3, 32, v4 :: v_dual_bitop2_b32 v2, v3, v2 bitop3:0x54
	s_delay_alu instid0(VALU_DEP_1) | instskip(NEXT) | instid1(VALU_DEP_1)
	v_cvt_f32_u32_e32 v2, v2
	v_ldexp_f32 v40, v2, v3
	s_branch .LBB51_1942
.LBB51_1940:
	s_mov_b32 s0, -1
                                        ; implicit-def: $vgpr40
.LBB51_1941:
	s_mov_b32 s3, 0
.LBB51_1942:
	s_delay_alu instid0(SALU_CYCLE_1)
	s_and_b32 vcc_lo, exec_lo, s3
	s_cbranch_vccz .LBB51_1960
; %bb.1943:
	s_cmp_lt_i32 s52, 27
	s_cbranch_scc1 .LBB51_1946
; %bb.1944:
	s_cmp_gt_i32 s52, 27
	s_cbranch_scc0 .LBB51_1947
; %bb.1945:
	global_load_b32 v2, v[0:1], off
	s_mov_b32 s2, 0
	s_wait_loadcnt 0x0
	v_cvt_f32_u32_e32 v40, v2
	s_branch .LBB51_1948
.LBB51_1946:
	s_mov_b32 s2, -1
                                        ; implicit-def: $vgpr40
	s_branch .LBB51_1951
.LBB51_1947:
	s_mov_b32 s2, -1
                                        ; implicit-def: $vgpr40
.LBB51_1948:
	s_delay_alu instid0(SALU_CYCLE_1)
	s_and_not1_b32 vcc_lo, exec_lo, s2
	s_cbranch_vccnz .LBB51_1950
; %bb.1949:
	global_load_u16 v2, v[0:1], off
	s_wait_loadcnt 0x0
	v_cvt_f32_u32_e32 v40, v2
.LBB51_1950:
	s_mov_b32 s2, 0
.LBB51_1951:
	s_delay_alu instid0(SALU_CYCLE_1)
	s_and_not1_b32 vcc_lo, exec_lo, s2
	s_cbranch_vccnz .LBB51_1959
; %bb.1952:
	global_load_u8 v2, v[0:1], off
	s_mov_b32 s2, 0
	s_mov_b32 s3, exec_lo
	s_wait_loadcnt 0x0
	v_cmpx_lt_i16_e32 0x7f, v2
	s_xor_b32 s3, exec_lo, s3
	s_cbranch_execz .LBB51_1973
; %bb.1953:
	s_mov_b32 s2, -1
	s_mov_b32 s4, exec_lo
	v_cmpx_eq_u16_e32 0x80, v2
; %bb.1954:
	s_xor_b32 s2, exec_lo, -1
; %bb.1955:
	s_or_b32 exec_lo, exec_lo, s4
	s_delay_alu instid0(SALU_CYCLE_1)
	s_and_b32 s2, s2, exec_lo
	s_or_saveexec_b32 s3, s3
	v_mov_b32_e32 v40, 0x7f800001
	s_xor_b32 exec_lo, exec_lo, s3
	s_cbranch_execnz .LBB51_1974
.LBB51_1956:
	s_or_b32 exec_lo, exec_lo, s3
	s_and_saveexec_b32 s3, s2
	s_cbranch_execz .LBB51_1958
.LBB51_1957:
	v_and_b32_e32 v3, 0xffff, v2
	s_delay_alu instid0(VALU_DEP_1) | instskip(SKIP_1) | instid1(VALU_DEP_2)
	v_and_b32_e32 v4, 7, v3
	v_bfe_u32 v7, v3, 3, 4
	v_clz_i32_u32_e32 v5, v4
	s_delay_alu instid0(VALU_DEP_2) | instskip(NEXT) | instid1(VALU_DEP_2)
	v_cmp_eq_u32_e32 vcc_lo, 0, v7
	v_min_u32_e32 v5, 32, v5
	s_delay_alu instid0(VALU_DEP_1) | instskip(NEXT) | instid1(VALU_DEP_1)
	v_subrev_nc_u32_e32 v6, 28, v5
	v_dual_lshlrev_b32 v3, v6, v3 :: v_dual_sub_nc_u32 v5, 29, v5
	s_delay_alu instid0(VALU_DEP_1) | instskip(NEXT) | instid1(VALU_DEP_1)
	v_dual_lshlrev_b32 v2, 24, v2 :: v_dual_bitop2_b32 v3, 7, v3 bitop3:0x40
	v_dual_cndmask_b32 v5, v7, v5, vcc_lo :: v_dual_cndmask_b32 v3, v4, v3, vcc_lo
	s_delay_alu instid0(VALU_DEP_2) | instskip(NEXT) | instid1(VALU_DEP_2)
	v_and_b32_e32 v2, 0x80000000, v2
	v_lshl_add_u32 v4, v5, 23, 0x3b800000
	s_delay_alu instid0(VALU_DEP_3) | instskip(NEXT) | instid1(VALU_DEP_1)
	v_lshlrev_b32_e32 v3, 20, v3
	v_or3_b32 v40, v2, v4, v3
.LBB51_1958:
	s_or_b32 exec_lo, exec_lo, s3
.LBB51_1959:
	s_mov_b32 s2, -1
.LBB51_1960:
	s_mov_b32 s3, 0
.LBB51_1961:
	s_delay_alu instid0(SALU_CYCLE_1)
	s_and_b32 vcc_lo, exec_lo, s3
	s_cbranch_vccz .LBB51_1994
; %bb.1962:
	s_cmp_gt_i32 s52, 22
	s_cbranch_scc0 .LBB51_1972
; %bb.1963:
	s_cmp_lt_i32 s52, 24
	s_cbranch_scc1 .LBB51_1975
; %bb.1964:
	s_cmp_gt_i32 s52, 24
	s_cbranch_scc0 .LBB51_1976
; %bb.1965:
	global_load_u8 v2, v[0:1], off
	s_mov_b32 s2, exec_lo
	s_wait_loadcnt 0x0
	v_cmpx_lt_i16_e32 0x7f, v2
	s_xor_b32 s2, exec_lo, s2
	s_cbranch_execz .LBB51_1988
; %bb.1966:
	s_mov_b32 s1, -1
	s_mov_b32 s3, exec_lo
	v_cmpx_eq_u16_e32 0x80, v2
; %bb.1967:
	s_xor_b32 s1, exec_lo, -1
; %bb.1968:
	s_or_b32 exec_lo, exec_lo, s3
	s_delay_alu instid0(SALU_CYCLE_1)
	s_and_b32 s1, s1, exec_lo
	s_or_saveexec_b32 s2, s2
	v_mov_b32_e32 v40, 0x7f800001
	s_xor_b32 exec_lo, exec_lo, s2
	s_cbranch_execnz .LBB51_1989
.LBB51_1969:
	s_or_b32 exec_lo, exec_lo, s2
	s_and_saveexec_b32 s2, s1
	s_cbranch_execz .LBB51_1971
.LBB51_1970:
	v_and_b32_e32 v3, 0xffff, v2
	s_delay_alu instid0(VALU_DEP_1) | instskip(SKIP_1) | instid1(VALU_DEP_2)
	v_and_b32_e32 v4, 3, v3
	v_bfe_u32 v7, v3, 2, 5
	v_clz_i32_u32_e32 v5, v4
	s_delay_alu instid0(VALU_DEP_2) | instskip(NEXT) | instid1(VALU_DEP_2)
	v_cmp_eq_u32_e32 vcc_lo, 0, v7
	v_min_u32_e32 v5, 32, v5
	s_delay_alu instid0(VALU_DEP_1) | instskip(NEXT) | instid1(VALU_DEP_1)
	v_subrev_nc_u32_e32 v6, 29, v5
	v_dual_lshlrev_b32 v3, v6, v3 :: v_dual_sub_nc_u32 v5, 30, v5
	s_delay_alu instid0(VALU_DEP_1) | instskip(NEXT) | instid1(VALU_DEP_1)
	v_dual_lshlrev_b32 v2, 24, v2 :: v_dual_bitop2_b32 v3, 3, v3 bitop3:0x40
	v_dual_cndmask_b32 v5, v7, v5, vcc_lo :: v_dual_cndmask_b32 v3, v4, v3, vcc_lo
	s_delay_alu instid0(VALU_DEP_2) | instskip(NEXT) | instid1(VALU_DEP_2)
	v_and_b32_e32 v2, 0x80000000, v2
	v_lshl_add_u32 v4, v5, 23, 0x37800000
	s_delay_alu instid0(VALU_DEP_3) | instskip(NEXT) | instid1(VALU_DEP_1)
	v_lshlrev_b32_e32 v3, 21, v3
	v_or3_b32 v40, v2, v4, v3
.LBB51_1971:
	s_or_b32 exec_lo, exec_lo, s2
	s_mov_b32 s1, 0
	s_branch .LBB51_1977
.LBB51_1972:
	s_mov_b32 s1, -1
                                        ; implicit-def: $vgpr40
	s_branch .LBB51_1983
.LBB51_1973:
	s_or_saveexec_b32 s3, s3
	v_mov_b32_e32 v40, 0x7f800001
	s_xor_b32 exec_lo, exec_lo, s3
	s_cbranch_execz .LBB51_1956
.LBB51_1974:
	v_cmp_ne_u16_e32 vcc_lo, 0, v2
	v_mov_b32_e32 v40, 0
	s_and_not1_b32 s2, s2, exec_lo
	s_and_b32 s4, vcc_lo, exec_lo
	s_delay_alu instid0(SALU_CYCLE_1)
	s_or_b32 s2, s2, s4
	s_or_b32 exec_lo, exec_lo, s3
	s_and_saveexec_b32 s3, s2
	s_cbranch_execnz .LBB51_1957
	s_branch .LBB51_1958
.LBB51_1975:
	s_mov_b32 s1, -1
                                        ; implicit-def: $vgpr40
	s_branch .LBB51_1980
.LBB51_1976:
	s_mov_b32 s1, -1
                                        ; implicit-def: $vgpr40
.LBB51_1977:
	s_delay_alu instid0(SALU_CYCLE_1)
	s_and_b32 vcc_lo, exec_lo, s1
	s_cbranch_vccz .LBB51_1979
; %bb.1978:
	global_load_u8 v2, v[0:1], off
	s_wait_loadcnt 0x0
	v_lshlrev_b32_e32 v2, 24, v2
	s_delay_alu instid0(VALU_DEP_1) | instskip(NEXT) | instid1(VALU_DEP_1)
	v_and_b32_e32 v3, 0x7f000000, v2
	v_clz_i32_u32_e32 v4, v3
	v_cmp_ne_u32_e32 vcc_lo, 0, v3
	v_add_nc_u32_e32 v6, 0x1000000, v3
	s_delay_alu instid0(VALU_DEP_3) | instskip(NEXT) | instid1(VALU_DEP_1)
	v_min_u32_e32 v4, 32, v4
	v_sub_nc_u32_e64 v4, v4, 4 clamp
	s_delay_alu instid0(VALU_DEP_1) | instskip(NEXT) | instid1(VALU_DEP_1)
	v_dual_lshlrev_b32 v5, v4, v3 :: v_dual_lshlrev_b32 v4, 23, v4
	v_lshrrev_b32_e32 v5, 4, v5
	s_delay_alu instid0(VALU_DEP_1) | instskip(NEXT) | instid1(VALU_DEP_1)
	v_dual_sub_nc_u32 v4, v5, v4 :: v_dual_ashrrev_i32 v5, 8, v6
	v_add_nc_u32_e32 v4, 0x3c000000, v4
	s_delay_alu instid0(VALU_DEP_1) | instskip(NEXT) | instid1(VALU_DEP_1)
	v_and_or_b32 v4, 0x7f800000, v5, v4
	v_cndmask_b32_e32 v3, 0, v4, vcc_lo
	s_delay_alu instid0(VALU_DEP_1)
	v_and_or_b32 v40, 0x80000000, v2, v3
.LBB51_1979:
	s_mov_b32 s1, 0
.LBB51_1980:
	s_delay_alu instid0(SALU_CYCLE_1)
	s_and_not1_b32 vcc_lo, exec_lo, s1
	s_cbranch_vccnz .LBB51_1982
; %bb.1981:
	global_load_u8 v2, v[0:1], off
	s_wait_loadcnt 0x0
	v_lshlrev_b32_e32 v3, 25, v2
	v_lshlrev_b16 v2, 8, v2
	s_delay_alu instid0(VALU_DEP_1) | instskip(SKIP_1) | instid1(VALU_DEP_2)
	v_and_or_b32 v5, 0x7f00, v2, 0.5
	v_bfe_i32 v2, v2, 0, 16
	v_dual_add_f32 v5, -0.5, v5 :: v_dual_lshrrev_b32 v4, 4, v3
	v_cmp_gt_u32_e32 vcc_lo, 0x8000000, v3
	s_delay_alu instid0(VALU_DEP_2) | instskip(NEXT) | instid1(VALU_DEP_1)
	v_or_b32_e32 v4, 0x70000000, v4
	v_mul_f32_e32 v4, 0x7800000, v4
	s_delay_alu instid0(VALU_DEP_1) | instskip(NEXT) | instid1(VALU_DEP_1)
	v_cndmask_b32_e32 v3, v4, v5, vcc_lo
	v_and_or_b32 v40, 0x80000000, v2, v3
.LBB51_1982:
	s_mov_b32 s1, 0
	s_mov_b32 s2, -1
.LBB51_1983:
	s_and_not1_b32 vcc_lo, exec_lo, s1
	s_mov_b32 s1, 0
	s_cbranch_vccnz .LBB51_1994
; %bb.1984:
	s_cmp_gt_i32 s52, 14
	s_cbranch_scc0 .LBB51_1987
; %bb.1985:
	s_cmp_eq_u32 s52, 15
	s_cbranch_scc0 .LBB51_1990
; %bb.1986:
	global_load_u16 v2, v[0:1], off
	s_mov_b32 s0, 0
	s_mov_b32 s2, -1
	s_wait_loadcnt 0x0
	v_lshlrev_b32_e32 v40, 16, v2
	s_branch .LBB51_1992
.LBB51_1987:
	s_mov_b32 s1, -1
	s_branch .LBB51_1991
.LBB51_1988:
	s_or_saveexec_b32 s2, s2
	v_mov_b32_e32 v40, 0x7f800001
	s_xor_b32 exec_lo, exec_lo, s2
	s_cbranch_execz .LBB51_1969
.LBB51_1989:
	v_cmp_ne_u16_e32 vcc_lo, 0, v2
	v_mov_b32_e32 v40, 0
	s_and_not1_b32 s1, s1, exec_lo
	s_and_b32 s3, vcc_lo, exec_lo
	s_delay_alu instid0(SALU_CYCLE_1)
	s_or_b32 s1, s1, s3
	s_or_b32 exec_lo, exec_lo, s2
	s_and_saveexec_b32 s2, s1
	s_cbranch_execnz .LBB51_1970
	s_branch .LBB51_1971
.LBB51_1990:
	s_mov_b32 s0, -1
.LBB51_1991:
                                        ; implicit-def: $vgpr40
.LBB51_1992:
	s_and_b32 vcc_lo, exec_lo, s1
	s_mov_b32 s1, 0
	s_cbranch_vccz .LBB51_1994
; %bb.1993:
	s_cmp_lg_u32 s52, 11
	s_mov_b32 s1, -1
	s_cselect_b32 s0, -1, 0
.LBB51_1994:
	s_delay_alu instid0(SALU_CYCLE_1)
	s_and_b32 vcc_lo, exec_lo, s0
	s_cbranch_vccnz .LBB51_2057
; %bb.1995:
	s_and_not1_b32 vcc_lo, exec_lo, s1
	s_cbranch_vccnz .LBB51_1997
.LBB51_1996:
	global_load_u8 v2, v[0:1], off
	s_mov_b32 s2, -1
	s_wait_loadcnt 0x0
	v_cmp_ne_u16_e32 vcc_lo, 0, v2
	v_cndmask_b32_e64 v40, 0, 1.0, vcc_lo
.LBB51_1997:
	s_branch .LBB51_1924
.LBB51_1998:
	s_cmp_lt_i32 s52, 5
	s_cbranch_scc1 .LBB51_2003
; %bb.1999:
	s_cmp_lt_i32 s52, 8
	s_cbranch_scc1 .LBB51_2004
; %bb.2000:
	s_cmp_lt_i32 s52, 9
	s_cbranch_scc1 .LBB51_2005
; %bb.2001:
	s_cmp_gt_i32 s52, 9
	s_cbranch_scc0 .LBB51_2006
; %bb.2002:
	global_load_b64 v[2:3], v[0:1], off
	s_mov_b32 s0, 0
	s_wait_loadcnt 0x0
	v_cvt_f32_f64_e32 v40, v[2:3]
	s_branch .LBB51_2007
.LBB51_2003:
	s_mov_b32 s0, -1
                                        ; implicit-def: $vgpr40
	s_branch .LBB51_2025
.LBB51_2004:
	s_mov_b32 s0, -1
                                        ; implicit-def: $vgpr40
	s_branch .LBB51_2013
.LBB51_2005:
	s_mov_b32 s0, -1
                                        ; implicit-def: $vgpr40
	s_branch .LBB51_2010
.LBB51_2006:
	s_mov_b32 s0, -1
                                        ; implicit-def: $vgpr40
.LBB51_2007:
	s_delay_alu instid0(SALU_CYCLE_1)
	s_and_not1_b32 vcc_lo, exec_lo, s0
	s_cbranch_vccnz .LBB51_2009
; %bb.2008:
	global_load_b32 v40, v[0:1], off
.LBB51_2009:
	s_mov_b32 s0, 0
.LBB51_2010:
	s_delay_alu instid0(SALU_CYCLE_1)
	s_and_not1_b32 vcc_lo, exec_lo, s0
	s_cbranch_vccnz .LBB51_2012
; %bb.2011:
	global_load_b32 v2, v[0:1], off
	s_wait_loadcnt 0x0
	v_cvt_f32_f16_e32 v40, v2
.LBB51_2012:
	s_mov_b32 s0, 0
.LBB51_2013:
	s_delay_alu instid0(SALU_CYCLE_1)
	s_and_not1_b32 vcc_lo, exec_lo, s0
	s_cbranch_vccnz .LBB51_2024
; %bb.2014:
	s_cmp_lt_i32 s52, 6
	s_cbranch_scc1 .LBB51_2017
; %bb.2015:
	s_cmp_gt_i32 s52, 6
	s_cbranch_scc0 .LBB51_2018
; %bb.2016:
	global_load_b64 v[2:3], v[0:1], off
	s_mov_b32 s0, 0
	s_wait_loadcnt 0x0
	v_cvt_f32_f64_e32 v40, v[2:3]
	s_branch .LBB51_2019
.LBB51_2017:
	s_mov_b32 s0, -1
                                        ; implicit-def: $vgpr40
	s_branch .LBB51_2022
.LBB51_2018:
	s_mov_b32 s0, -1
                                        ; implicit-def: $vgpr40
.LBB51_2019:
	s_delay_alu instid0(SALU_CYCLE_1)
	s_and_not1_b32 vcc_lo, exec_lo, s0
	s_cbranch_vccnz .LBB51_2021
; %bb.2020:
	s_wait_loadcnt 0x0
	global_load_b32 v40, v[0:1], off
.LBB51_2021:
	s_mov_b32 s0, 0
.LBB51_2022:
	s_delay_alu instid0(SALU_CYCLE_1)
	s_and_not1_b32 vcc_lo, exec_lo, s0
	s_cbranch_vccnz .LBB51_2024
; %bb.2023:
	global_load_u16 v2, v[0:1], off
	s_wait_loadcnt 0x0
	v_cvt_f32_f16_e32 v40, v2
.LBB51_2024:
	s_mov_b32 s0, 0
.LBB51_2025:
	s_delay_alu instid0(SALU_CYCLE_1)
	s_and_not1_b32 vcc_lo, exec_lo, s0
	s_cbranch_vccnz .LBB51_2045
; %bb.2026:
	s_cmp_lt_i32 s52, 2
	s_cbranch_scc1 .LBB51_2030
; %bb.2027:
	s_cmp_lt_i32 s52, 3
	s_cbranch_scc1 .LBB51_2031
; %bb.2028:
	s_cmp_gt_i32 s52, 3
	s_cbranch_scc0 .LBB51_2032
; %bb.2029:
	global_load_b64 v[2:3], v[0:1], off
	s_mov_b32 s0, 0
	s_wait_loadcnt 0x0
	v_xor_b32_e32 v4, v2, v3
	v_cls_i32_e32 v5, v3
	s_delay_alu instid0(VALU_DEP_2) | instskip(NEXT) | instid1(VALU_DEP_1)
	v_ashrrev_i32_e32 v4, 31, v4
	v_add_nc_u32_e32 v4, 32, v4
	s_delay_alu instid0(VALU_DEP_1) | instskip(NEXT) | instid1(VALU_DEP_1)
	v_add_min_u32_e64 v4, v5, -1, v4
	v_lshlrev_b64_e32 v[2:3], v4, v[2:3]
	s_delay_alu instid0(VALU_DEP_1) | instskip(NEXT) | instid1(VALU_DEP_1)
	v_min_u32_e32 v2, 1, v2
	v_dual_sub_nc_u32 v3, 32, v4 :: v_dual_bitop2_b32 v2, v3, v2 bitop3:0x54
	s_delay_alu instid0(VALU_DEP_1) | instskip(NEXT) | instid1(VALU_DEP_1)
	v_cvt_f32_i32_e32 v2, v2
	v_ldexp_f32 v40, v2, v3
	s_branch .LBB51_2033
.LBB51_2030:
	s_mov_b32 s0, -1
                                        ; implicit-def: $vgpr40
	s_branch .LBB51_2039
.LBB51_2031:
	s_mov_b32 s0, -1
                                        ; implicit-def: $vgpr40
	s_branch .LBB51_2036
.LBB51_2032:
	s_mov_b32 s0, -1
                                        ; implicit-def: $vgpr40
.LBB51_2033:
	s_delay_alu instid0(SALU_CYCLE_1)
	s_and_not1_b32 vcc_lo, exec_lo, s0
	s_cbranch_vccnz .LBB51_2035
; %bb.2034:
	global_load_b32 v2, v[0:1], off
	s_wait_loadcnt 0x0
	v_cvt_f32_i32_e32 v40, v2
.LBB51_2035:
	s_mov_b32 s0, 0
.LBB51_2036:
	s_delay_alu instid0(SALU_CYCLE_1)
	s_and_not1_b32 vcc_lo, exec_lo, s0
	s_cbranch_vccnz .LBB51_2038
; %bb.2037:
	global_load_i16 v2, v[0:1], off
	s_wait_loadcnt 0x0
	v_cvt_f32_i32_e32 v40, v2
.LBB51_2038:
	s_mov_b32 s0, 0
.LBB51_2039:
	s_delay_alu instid0(SALU_CYCLE_1)
	s_and_not1_b32 vcc_lo, exec_lo, s0
	s_cbranch_vccnz .LBB51_2045
; %bb.2040:
	s_cmp_gt_i32 s52, 0
	s_mov_b32 s0, 0
	s_cbranch_scc0 .LBB51_2042
; %bb.2041:
	global_load_i8 v2, v[0:1], off
	s_wait_loadcnt 0x0
	v_cvt_f32_i32_e32 v40, v2
	s_branch .LBB51_2043
.LBB51_2042:
	s_mov_b32 s0, -1
                                        ; implicit-def: $vgpr40
.LBB51_2043:
	s_delay_alu instid0(SALU_CYCLE_1)
	s_and_not1_b32 vcc_lo, exec_lo, s0
	s_cbranch_vccnz .LBB51_2045
; %bb.2044:
	global_load_u8 v0, v[0:1], off
	s_wait_loadcnt 0x0
	v_cvt_f32_ubyte0_e32 v40, v0
.LBB51_2045:
.LBB51_2046:
	v_mov_b32_e32 v79, 0
	s_and_b32 s53, 0xffff, s53
	s_delay_alu instid0(SALU_CYCLE_1) | instskip(SKIP_1) | instid1(VALU_DEP_1)
	s_cmp_lt_i32 s53, 11
	s_wait_xcnt 0x0
	v_add_nc_u64_e32 v[0:1], s[46:47], v[78:79]
	s_cbranch_scc1 .LBB51_2053
; %bb.2047:
	s_cmp_gt_i32 s53, 25
	s_mov_b32 s1, 0
	s_cbranch_scc0 .LBB51_2054
; %bb.2048:
	s_cmp_gt_i32 s53, 28
	s_cbranch_scc0 .LBB51_2055
; %bb.2049:
	s_cmp_gt_i32 s53, 43
	;; [unrolled: 3-line block ×3, first 2 shown]
	s_cbranch_scc0 .LBB51_2058
; %bb.2051:
	s_cmp_eq_u32 s53, 46
	s_mov_b32 s3, 0
	s_cbranch_scc0 .LBB51_2059
; %bb.2052:
	global_load_b32 v2, v[0:1], off
	s_mov_b32 s0, 0
	s_mov_b32 s2, -1
	s_wait_loadcnt 0x0
	v_lshlrev_b32_e32 v43, 16, v2
	s_branch .LBB51_2061
.LBB51_2053:
	s_mov_b32 s0, -1
	s_mov_b32 s2, 0
                                        ; implicit-def: $vgpr43
	s_branch .LBB51_2127
.LBB51_2054:
	s_mov_b32 s3, -1
	s_mov_b32 s2, 0
	s_mov_b32 s0, 0
                                        ; implicit-def: $vgpr43
	s_branch .LBB51_2090
.LBB51_2055:
	s_mov_b32 s3, -1
	s_mov_b32 s2, 0
	s_mov_b32 s0, 0
                                        ; implicit-def: $vgpr43
	s_branch .LBB51_2071
.LBB51_2056:
	s_mov_b32 s3, -1
	s_mov_b32 s2, 0
	s_mov_b32 s0, 0
                                        ; implicit-def: $vgpr43
	s_branch .LBB51_2066
.LBB51_2057:
	s_or_b32 s50, s50, exec_lo
	s_trap 2
	s_cbranch_execz .LBB51_1996
	s_branch .LBB51_1997
.LBB51_2058:
	s_mov_b32 s3, -1
	s_mov_b32 s2, 0
	s_mov_b32 s0, 0
	s_branch .LBB51_2060
.LBB51_2059:
	s_mov_b32 s0, -1
	s_mov_b32 s2, 0
.LBB51_2060:
                                        ; implicit-def: $vgpr43
.LBB51_2061:
	s_and_b32 vcc_lo, exec_lo, s3
	s_cbranch_vccz .LBB51_2065
; %bb.2062:
	s_cmp_eq_u32 s53, 44
	s_cbranch_scc0 .LBB51_2064
; %bb.2063:
	global_load_u8 v2, v[0:1], off
	s_mov_b32 s0, 0
	s_mov_b32 s2, -1
	s_wait_loadcnt 0x0
	v_lshlrev_b32_e32 v3, 23, v2
	v_cmp_ne_u32_e32 vcc_lo, 0xff, v2
	s_delay_alu instid0(VALU_DEP_2) | instskip(SKIP_1) | instid1(VALU_DEP_2)
	v_cndmask_b32_e32 v3, 0x7f800001, v3, vcc_lo
	v_cmp_ne_u32_e32 vcc_lo, 0, v2
	v_cndmask_b32_e32 v43, 0x400000, v3, vcc_lo
	s_branch .LBB51_2065
.LBB51_2064:
	s_mov_b32 s0, -1
                                        ; implicit-def: $vgpr43
.LBB51_2065:
	s_mov_b32 s3, 0
.LBB51_2066:
	s_delay_alu instid0(SALU_CYCLE_1)
	s_and_b32 vcc_lo, exec_lo, s3
	s_cbranch_vccz .LBB51_2070
; %bb.2067:
	s_cmp_eq_u32 s53, 29
	s_cbranch_scc0 .LBB51_2069
; %bb.2068:
	global_load_b64 v[2:3], v[0:1], off
	s_mov_b32 s0, 0
	s_mov_b32 s2, -1
	s_mov_b32 s3, 0
	s_wait_loadcnt 0x0
	v_clz_i32_u32_e32 v4, v3
	s_delay_alu instid0(VALU_DEP_1) | instskip(NEXT) | instid1(VALU_DEP_1)
	v_min_u32_e32 v4, 32, v4
	v_lshlrev_b64_e32 v[2:3], v4, v[2:3]
	s_delay_alu instid0(VALU_DEP_1) | instskip(NEXT) | instid1(VALU_DEP_1)
	v_min_u32_e32 v2, 1, v2
	v_dual_sub_nc_u32 v3, 32, v4 :: v_dual_bitop2_b32 v2, v3, v2 bitop3:0x54
	s_delay_alu instid0(VALU_DEP_1) | instskip(NEXT) | instid1(VALU_DEP_1)
	v_cvt_f32_u32_e32 v2, v2
	v_ldexp_f32 v43, v2, v3
	s_branch .LBB51_2071
.LBB51_2069:
	s_mov_b32 s0, -1
                                        ; implicit-def: $vgpr43
.LBB51_2070:
	s_mov_b32 s3, 0
.LBB51_2071:
	s_delay_alu instid0(SALU_CYCLE_1)
	s_and_b32 vcc_lo, exec_lo, s3
	s_cbranch_vccz .LBB51_2089
; %bb.2072:
	s_cmp_lt_i32 s53, 27
	s_cbranch_scc1 .LBB51_2075
; %bb.2073:
	s_cmp_gt_i32 s53, 27
	s_cbranch_scc0 .LBB51_2076
; %bb.2074:
	global_load_b32 v2, v[0:1], off
	s_mov_b32 s2, 0
	s_wait_loadcnt 0x0
	v_cvt_f32_u32_e32 v43, v2
	s_branch .LBB51_2077
.LBB51_2075:
	s_mov_b32 s2, -1
                                        ; implicit-def: $vgpr43
	s_branch .LBB51_2080
.LBB51_2076:
	s_mov_b32 s2, -1
                                        ; implicit-def: $vgpr43
.LBB51_2077:
	s_delay_alu instid0(SALU_CYCLE_1)
	s_and_not1_b32 vcc_lo, exec_lo, s2
	s_cbranch_vccnz .LBB51_2079
; %bb.2078:
	global_load_u16 v2, v[0:1], off
	s_wait_loadcnt 0x0
	v_cvt_f32_u32_e32 v43, v2
.LBB51_2079:
	s_mov_b32 s2, 0
.LBB51_2080:
	s_delay_alu instid0(SALU_CYCLE_1)
	s_and_not1_b32 vcc_lo, exec_lo, s2
	s_cbranch_vccnz .LBB51_2088
; %bb.2081:
	global_load_u8 v2, v[0:1], off
	s_mov_b32 s2, 0
	s_mov_b32 s3, exec_lo
	s_wait_loadcnt 0x0
	v_cmpx_lt_i16_e32 0x7f, v2
	s_xor_b32 s3, exec_lo, s3
	s_cbranch_execz .LBB51_2102
; %bb.2082:
	s_mov_b32 s2, -1
	s_mov_b32 s4, exec_lo
	v_cmpx_eq_u16_e32 0x80, v2
; %bb.2083:
	s_xor_b32 s2, exec_lo, -1
; %bb.2084:
	s_or_b32 exec_lo, exec_lo, s4
	s_delay_alu instid0(SALU_CYCLE_1)
	s_and_b32 s2, s2, exec_lo
	s_or_saveexec_b32 s3, s3
	v_mov_b32_e32 v43, 0x7f800001
	s_xor_b32 exec_lo, exec_lo, s3
	s_cbranch_execnz .LBB51_2103
.LBB51_2085:
	s_or_b32 exec_lo, exec_lo, s3
	s_and_saveexec_b32 s3, s2
	s_cbranch_execz .LBB51_2087
.LBB51_2086:
	v_and_b32_e32 v3, 0xffff, v2
	s_delay_alu instid0(VALU_DEP_1) | instskip(SKIP_1) | instid1(VALU_DEP_2)
	v_and_b32_e32 v4, 7, v3
	v_bfe_u32 v7, v3, 3, 4
	v_clz_i32_u32_e32 v5, v4
	s_delay_alu instid0(VALU_DEP_2) | instskip(NEXT) | instid1(VALU_DEP_2)
	v_cmp_eq_u32_e32 vcc_lo, 0, v7
	v_min_u32_e32 v5, 32, v5
	s_delay_alu instid0(VALU_DEP_1) | instskip(NEXT) | instid1(VALU_DEP_1)
	v_subrev_nc_u32_e32 v6, 28, v5
	v_dual_lshlrev_b32 v3, v6, v3 :: v_dual_sub_nc_u32 v5, 29, v5
	s_delay_alu instid0(VALU_DEP_1) | instskip(NEXT) | instid1(VALU_DEP_1)
	v_dual_lshlrev_b32 v2, 24, v2 :: v_dual_bitop2_b32 v3, 7, v3 bitop3:0x40
	v_dual_cndmask_b32 v5, v7, v5, vcc_lo :: v_dual_cndmask_b32 v3, v4, v3, vcc_lo
	s_delay_alu instid0(VALU_DEP_2) | instskip(NEXT) | instid1(VALU_DEP_2)
	v_and_b32_e32 v2, 0x80000000, v2
	v_lshl_add_u32 v4, v5, 23, 0x3b800000
	s_delay_alu instid0(VALU_DEP_3) | instskip(NEXT) | instid1(VALU_DEP_1)
	v_lshlrev_b32_e32 v3, 20, v3
	v_or3_b32 v43, v2, v4, v3
.LBB51_2087:
	s_or_b32 exec_lo, exec_lo, s3
.LBB51_2088:
	s_mov_b32 s2, -1
.LBB51_2089:
	s_mov_b32 s3, 0
.LBB51_2090:
	s_delay_alu instid0(SALU_CYCLE_1)
	s_and_b32 vcc_lo, exec_lo, s3
	s_cbranch_vccz .LBB51_2123
; %bb.2091:
	s_cmp_gt_i32 s53, 22
	s_cbranch_scc0 .LBB51_2101
; %bb.2092:
	s_cmp_lt_i32 s53, 24
	s_cbranch_scc1 .LBB51_2104
; %bb.2093:
	s_cmp_gt_i32 s53, 24
	s_cbranch_scc0 .LBB51_2105
; %bb.2094:
	global_load_u8 v2, v[0:1], off
	s_mov_b32 s2, exec_lo
	s_wait_loadcnt 0x0
	v_cmpx_lt_i16_e32 0x7f, v2
	s_xor_b32 s2, exec_lo, s2
	s_cbranch_execz .LBB51_2117
; %bb.2095:
	s_mov_b32 s1, -1
	s_mov_b32 s3, exec_lo
	v_cmpx_eq_u16_e32 0x80, v2
; %bb.2096:
	s_xor_b32 s1, exec_lo, -1
; %bb.2097:
	s_or_b32 exec_lo, exec_lo, s3
	s_delay_alu instid0(SALU_CYCLE_1)
	s_and_b32 s1, s1, exec_lo
	s_or_saveexec_b32 s2, s2
	v_mov_b32_e32 v43, 0x7f800001
	s_xor_b32 exec_lo, exec_lo, s2
	s_cbranch_execnz .LBB51_2118
.LBB51_2098:
	s_or_b32 exec_lo, exec_lo, s2
	s_and_saveexec_b32 s2, s1
	s_cbranch_execz .LBB51_2100
.LBB51_2099:
	v_and_b32_e32 v3, 0xffff, v2
	s_delay_alu instid0(VALU_DEP_1) | instskip(SKIP_1) | instid1(VALU_DEP_2)
	v_and_b32_e32 v4, 3, v3
	v_bfe_u32 v7, v3, 2, 5
	v_clz_i32_u32_e32 v5, v4
	s_delay_alu instid0(VALU_DEP_2) | instskip(NEXT) | instid1(VALU_DEP_2)
	v_cmp_eq_u32_e32 vcc_lo, 0, v7
	v_min_u32_e32 v5, 32, v5
	s_delay_alu instid0(VALU_DEP_1) | instskip(NEXT) | instid1(VALU_DEP_1)
	v_subrev_nc_u32_e32 v6, 29, v5
	v_dual_lshlrev_b32 v3, v6, v3 :: v_dual_sub_nc_u32 v5, 30, v5
	s_delay_alu instid0(VALU_DEP_1) | instskip(NEXT) | instid1(VALU_DEP_1)
	v_dual_lshlrev_b32 v2, 24, v2 :: v_dual_bitop2_b32 v3, 3, v3 bitop3:0x40
	v_dual_cndmask_b32 v5, v7, v5, vcc_lo :: v_dual_cndmask_b32 v3, v4, v3, vcc_lo
	s_delay_alu instid0(VALU_DEP_2) | instskip(NEXT) | instid1(VALU_DEP_2)
	v_and_b32_e32 v2, 0x80000000, v2
	v_lshl_add_u32 v4, v5, 23, 0x37800000
	s_delay_alu instid0(VALU_DEP_3) | instskip(NEXT) | instid1(VALU_DEP_1)
	v_lshlrev_b32_e32 v3, 21, v3
	v_or3_b32 v43, v2, v4, v3
.LBB51_2100:
	s_or_b32 exec_lo, exec_lo, s2
	s_mov_b32 s1, 0
	s_branch .LBB51_2106
.LBB51_2101:
	s_mov_b32 s1, -1
                                        ; implicit-def: $vgpr43
	s_branch .LBB51_2112
.LBB51_2102:
	s_or_saveexec_b32 s3, s3
	v_mov_b32_e32 v43, 0x7f800001
	s_xor_b32 exec_lo, exec_lo, s3
	s_cbranch_execz .LBB51_2085
.LBB51_2103:
	v_cmp_ne_u16_e32 vcc_lo, 0, v2
	v_mov_b32_e32 v43, 0
	s_and_not1_b32 s2, s2, exec_lo
	s_and_b32 s4, vcc_lo, exec_lo
	s_delay_alu instid0(SALU_CYCLE_1)
	s_or_b32 s2, s2, s4
	s_or_b32 exec_lo, exec_lo, s3
	s_and_saveexec_b32 s3, s2
	s_cbranch_execnz .LBB51_2086
	s_branch .LBB51_2087
.LBB51_2104:
	s_mov_b32 s1, -1
                                        ; implicit-def: $vgpr43
	s_branch .LBB51_2109
.LBB51_2105:
	s_mov_b32 s1, -1
                                        ; implicit-def: $vgpr43
.LBB51_2106:
	s_delay_alu instid0(SALU_CYCLE_1)
	s_and_b32 vcc_lo, exec_lo, s1
	s_cbranch_vccz .LBB51_2108
; %bb.2107:
	global_load_u8 v2, v[0:1], off
	s_wait_loadcnt 0x0
	v_lshlrev_b32_e32 v2, 24, v2
	s_delay_alu instid0(VALU_DEP_1) | instskip(NEXT) | instid1(VALU_DEP_1)
	v_and_b32_e32 v3, 0x7f000000, v2
	v_clz_i32_u32_e32 v4, v3
	v_cmp_ne_u32_e32 vcc_lo, 0, v3
	v_add_nc_u32_e32 v6, 0x1000000, v3
	s_delay_alu instid0(VALU_DEP_3) | instskip(NEXT) | instid1(VALU_DEP_1)
	v_min_u32_e32 v4, 32, v4
	v_sub_nc_u32_e64 v4, v4, 4 clamp
	s_delay_alu instid0(VALU_DEP_1) | instskip(NEXT) | instid1(VALU_DEP_1)
	v_dual_lshlrev_b32 v5, v4, v3 :: v_dual_lshlrev_b32 v4, 23, v4
	v_lshrrev_b32_e32 v5, 4, v5
	s_delay_alu instid0(VALU_DEP_1) | instskip(NEXT) | instid1(VALU_DEP_1)
	v_dual_sub_nc_u32 v4, v5, v4 :: v_dual_ashrrev_i32 v5, 8, v6
	v_add_nc_u32_e32 v4, 0x3c000000, v4
	s_delay_alu instid0(VALU_DEP_1) | instskip(NEXT) | instid1(VALU_DEP_1)
	v_and_or_b32 v4, 0x7f800000, v5, v4
	v_cndmask_b32_e32 v3, 0, v4, vcc_lo
	s_delay_alu instid0(VALU_DEP_1)
	v_and_or_b32 v43, 0x80000000, v2, v3
.LBB51_2108:
	s_mov_b32 s1, 0
.LBB51_2109:
	s_delay_alu instid0(SALU_CYCLE_1)
	s_and_not1_b32 vcc_lo, exec_lo, s1
	s_cbranch_vccnz .LBB51_2111
; %bb.2110:
	global_load_u8 v2, v[0:1], off
	s_wait_loadcnt 0x0
	v_lshlrev_b32_e32 v3, 25, v2
	v_lshlrev_b16 v2, 8, v2
	s_delay_alu instid0(VALU_DEP_1) | instskip(SKIP_1) | instid1(VALU_DEP_2)
	v_and_or_b32 v5, 0x7f00, v2, 0.5
	v_bfe_i32 v2, v2, 0, 16
	v_dual_add_f32 v5, -0.5, v5 :: v_dual_lshrrev_b32 v4, 4, v3
	v_cmp_gt_u32_e32 vcc_lo, 0x8000000, v3
	s_delay_alu instid0(VALU_DEP_2) | instskip(NEXT) | instid1(VALU_DEP_1)
	v_or_b32_e32 v4, 0x70000000, v4
	v_mul_f32_e32 v4, 0x7800000, v4
	s_delay_alu instid0(VALU_DEP_1) | instskip(NEXT) | instid1(VALU_DEP_1)
	v_cndmask_b32_e32 v3, v4, v5, vcc_lo
	v_and_or_b32 v43, 0x80000000, v2, v3
.LBB51_2111:
	s_mov_b32 s1, 0
	s_mov_b32 s2, -1
.LBB51_2112:
	s_and_not1_b32 vcc_lo, exec_lo, s1
	s_mov_b32 s1, 0
	s_cbranch_vccnz .LBB51_2123
; %bb.2113:
	s_cmp_gt_i32 s53, 14
	s_cbranch_scc0 .LBB51_2116
; %bb.2114:
	s_cmp_eq_u32 s53, 15
	s_cbranch_scc0 .LBB51_2119
; %bb.2115:
	global_load_u16 v2, v[0:1], off
	s_mov_b32 s0, 0
	s_mov_b32 s2, -1
	s_wait_loadcnt 0x0
	v_lshlrev_b32_e32 v43, 16, v2
	s_branch .LBB51_2121
.LBB51_2116:
	s_mov_b32 s1, -1
	s_branch .LBB51_2120
.LBB51_2117:
	s_or_saveexec_b32 s2, s2
	v_mov_b32_e32 v43, 0x7f800001
	s_xor_b32 exec_lo, exec_lo, s2
	s_cbranch_execz .LBB51_2098
.LBB51_2118:
	v_cmp_ne_u16_e32 vcc_lo, 0, v2
	v_mov_b32_e32 v43, 0
	s_and_not1_b32 s1, s1, exec_lo
	s_and_b32 s3, vcc_lo, exec_lo
	s_delay_alu instid0(SALU_CYCLE_1)
	s_or_b32 s1, s1, s3
	s_or_b32 exec_lo, exec_lo, s2
	s_and_saveexec_b32 s2, s1
	s_cbranch_execnz .LBB51_2099
	s_branch .LBB51_2100
.LBB51_2119:
	s_mov_b32 s0, -1
.LBB51_2120:
                                        ; implicit-def: $vgpr43
.LBB51_2121:
	s_and_b32 vcc_lo, exec_lo, s1
	s_mov_b32 s1, 0
	s_cbranch_vccz .LBB51_2123
; %bb.2122:
	s_cmp_lg_u32 s53, 11
	s_mov_b32 s1, -1
	s_cselect_b32 s0, -1, 0
.LBB51_2123:
	s_delay_alu instid0(SALU_CYCLE_1)
	s_and_b32 vcc_lo, exec_lo, s0
	s_cbranch_vccnz .LBB51_2193
; %bb.2124:
	s_and_not1_b32 vcc_lo, exec_lo, s1
	s_cbranch_vccnz .LBB51_2126
.LBB51_2125:
	global_load_u8 v2, v[0:1], off
	s_mov_b32 s2, -1
	s_wait_loadcnt 0x0
	v_cmp_ne_u16_e32 vcc_lo, 0, v2
	v_cndmask_b32_e64 v43, 0, 1.0, vcc_lo
.LBB51_2126:
	s_mov_b32 s0, 0
.LBB51_2127:
	s_delay_alu instid0(SALU_CYCLE_1)
	s_and_b32 vcc_lo, exec_lo, s0
	s_cbranch_vccz .LBB51_2176
; %bb.2128:
	s_cmp_lt_i32 s53, 5
	s_cbranch_scc1 .LBB51_2133
; %bb.2129:
	s_cmp_lt_i32 s53, 8
	s_cbranch_scc1 .LBB51_2134
	;; [unrolled: 3-line block ×3, first 2 shown]
; %bb.2131:
	s_cmp_gt_i32 s53, 9
	s_cbranch_scc0 .LBB51_2136
; %bb.2132:
	global_load_b64 v[2:3], v[0:1], off
	s_mov_b32 s0, 0
	s_wait_loadcnt 0x0
	v_cvt_f32_f64_e32 v43, v[2:3]
	s_branch .LBB51_2137
.LBB51_2133:
	s_mov_b32 s0, -1
                                        ; implicit-def: $vgpr43
	s_branch .LBB51_2155
.LBB51_2134:
	s_mov_b32 s0, -1
                                        ; implicit-def: $vgpr43
	s_branch .LBB51_2143
.LBB51_2135:
	s_mov_b32 s0, -1
                                        ; implicit-def: $vgpr43
	s_branch .LBB51_2140
.LBB51_2136:
	s_mov_b32 s0, -1
                                        ; implicit-def: $vgpr43
.LBB51_2137:
	s_delay_alu instid0(SALU_CYCLE_1)
	s_and_not1_b32 vcc_lo, exec_lo, s0
	s_cbranch_vccnz .LBB51_2139
; %bb.2138:
	s_wait_loadcnt 0x0
	global_load_b32 v43, v[0:1], off
.LBB51_2139:
	s_mov_b32 s0, 0
.LBB51_2140:
	s_delay_alu instid0(SALU_CYCLE_1)
	s_and_not1_b32 vcc_lo, exec_lo, s0
	s_cbranch_vccnz .LBB51_2142
; %bb.2141:
	global_load_b32 v2, v[0:1], off
	s_wait_loadcnt 0x0
	v_cvt_f32_f16_e32 v43, v2
.LBB51_2142:
	s_mov_b32 s0, 0
.LBB51_2143:
	s_delay_alu instid0(SALU_CYCLE_1)
	s_and_not1_b32 vcc_lo, exec_lo, s0
	s_cbranch_vccnz .LBB51_2154
; %bb.2144:
	s_cmp_lt_i32 s53, 6
	s_cbranch_scc1 .LBB51_2147
; %bb.2145:
	s_cmp_gt_i32 s53, 6
	s_cbranch_scc0 .LBB51_2148
; %bb.2146:
	global_load_b64 v[2:3], v[0:1], off
	s_mov_b32 s0, 0
	s_wait_loadcnt 0x0
	v_cvt_f32_f64_e32 v43, v[2:3]
	s_branch .LBB51_2149
.LBB51_2147:
	s_mov_b32 s0, -1
                                        ; implicit-def: $vgpr43
	s_branch .LBB51_2152
.LBB51_2148:
	s_mov_b32 s0, -1
                                        ; implicit-def: $vgpr43
.LBB51_2149:
	s_delay_alu instid0(SALU_CYCLE_1)
	s_and_not1_b32 vcc_lo, exec_lo, s0
	s_cbranch_vccnz .LBB51_2151
; %bb.2150:
	s_wait_loadcnt 0x0
	global_load_b32 v43, v[0:1], off
.LBB51_2151:
	s_mov_b32 s0, 0
.LBB51_2152:
	s_delay_alu instid0(SALU_CYCLE_1)
	s_and_not1_b32 vcc_lo, exec_lo, s0
	s_cbranch_vccnz .LBB51_2154
; %bb.2153:
	global_load_u16 v2, v[0:1], off
	s_wait_loadcnt 0x0
	v_cvt_f32_f16_e32 v43, v2
.LBB51_2154:
	s_mov_b32 s0, 0
.LBB51_2155:
	s_delay_alu instid0(SALU_CYCLE_1)
	s_and_not1_b32 vcc_lo, exec_lo, s0
	s_cbranch_vccnz .LBB51_2175
; %bb.2156:
	s_cmp_lt_i32 s53, 2
	s_cbranch_scc1 .LBB51_2160
; %bb.2157:
	s_cmp_lt_i32 s53, 3
	s_cbranch_scc1 .LBB51_2161
; %bb.2158:
	s_cmp_gt_i32 s53, 3
	s_cbranch_scc0 .LBB51_2162
; %bb.2159:
	global_load_b64 v[2:3], v[0:1], off
	s_mov_b32 s0, 0
	s_wait_loadcnt 0x0
	v_xor_b32_e32 v4, v2, v3
	v_cls_i32_e32 v5, v3
	s_delay_alu instid0(VALU_DEP_2) | instskip(NEXT) | instid1(VALU_DEP_1)
	v_ashrrev_i32_e32 v4, 31, v4
	v_add_nc_u32_e32 v4, 32, v4
	s_delay_alu instid0(VALU_DEP_1) | instskip(NEXT) | instid1(VALU_DEP_1)
	v_add_min_u32_e64 v4, v5, -1, v4
	v_lshlrev_b64_e32 v[2:3], v4, v[2:3]
	s_delay_alu instid0(VALU_DEP_1) | instskip(NEXT) | instid1(VALU_DEP_1)
	v_min_u32_e32 v2, 1, v2
	v_dual_sub_nc_u32 v3, 32, v4 :: v_dual_bitop2_b32 v2, v3, v2 bitop3:0x54
	s_delay_alu instid0(VALU_DEP_1) | instskip(NEXT) | instid1(VALU_DEP_1)
	v_cvt_f32_i32_e32 v2, v2
	v_ldexp_f32 v43, v2, v3
	s_branch .LBB51_2163
.LBB51_2160:
	s_mov_b32 s0, -1
                                        ; implicit-def: $vgpr43
	s_branch .LBB51_2169
.LBB51_2161:
	s_mov_b32 s0, -1
                                        ; implicit-def: $vgpr43
	s_branch .LBB51_2166
.LBB51_2162:
	s_mov_b32 s0, -1
                                        ; implicit-def: $vgpr43
.LBB51_2163:
	s_delay_alu instid0(SALU_CYCLE_1)
	s_and_not1_b32 vcc_lo, exec_lo, s0
	s_cbranch_vccnz .LBB51_2165
; %bb.2164:
	global_load_b32 v2, v[0:1], off
	s_wait_loadcnt 0x0
	v_cvt_f32_i32_e32 v43, v2
.LBB51_2165:
	s_mov_b32 s0, 0
.LBB51_2166:
	s_delay_alu instid0(SALU_CYCLE_1)
	s_and_not1_b32 vcc_lo, exec_lo, s0
	s_cbranch_vccnz .LBB51_2168
; %bb.2167:
	global_load_i16 v2, v[0:1], off
	s_wait_loadcnt 0x0
	v_cvt_f32_i32_e32 v43, v2
.LBB51_2168:
	s_mov_b32 s0, 0
.LBB51_2169:
	s_delay_alu instid0(SALU_CYCLE_1)
	s_and_not1_b32 vcc_lo, exec_lo, s0
	s_cbranch_vccnz .LBB51_2175
; %bb.2170:
	s_cmp_gt_i32 s53, 0
	s_mov_b32 s0, 0
	s_cbranch_scc0 .LBB51_2172
; %bb.2171:
	global_load_i8 v2, v[0:1], off
	s_wait_loadcnt 0x0
	v_cvt_f32_i32_e32 v43, v2
	s_branch .LBB51_2173
.LBB51_2172:
	s_mov_b32 s0, -1
                                        ; implicit-def: $vgpr43
.LBB51_2173:
	s_delay_alu instid0(SALU_CYCLE_1)
	s_and_not1_b32 vcc_lo, exec_lo, s0
	s_cbranch_vccnz .LBB51_2175
; %bb.2174:
	global_load_u8 v0, v[0:1], off
	s_wait_loadcnt 0x0
	v_cvt_f32_ubyte0_e32 v43, v0
.LBB51_2175:
	s_mov_b32 s2, -1
.LBB51_2176:
	s_delay_alu instid0(SALU_CYCLE_1)
	s_and_not1_b32 vcc_lo, exec_lo, s2
	s_cbranch_vccnz .LBB51_2715
; %bb.2177:
	s_and_b32 vcc_lo, exec_lo, s51
	s_cbranch_vccz .LBB51_2179
; %bb.2178:
	s_wait_loadcnt 0x0
	s_delay_alu instid0(VALU_DEP_1) | instskip(SKIP_2) | instid1(SALU_CYCLE_1)
	v_dual_mov_b32 v0, v40 :: v_dual_mov_b32 v1, v43
	s_get_pc_i64 s[0:1]
	s_add_nc_u64 s[0:1], s[0:1], _ZN12_GLOBAL__N_111calc_igammaIfEET_S1_S1_@rel64+4
	s_swap_pc_i64 s[30:31], s[0:1]
	s_delay_alu instid0(VALU_DEP_1)
	v_mov_b32_e32 v44, v0
	s_mov_b32 s0, 0
	s_branch .LBB51_2180
.LBB51_2179:
	s_mov_b32 s0, -1
                                        ; implicit-def: $vgpr44
.LBB51_2180:
	s_delay_alu instid0(SALU_CYCLE_1)
	s_and_not1_b32 vcc_lo, exec_lo, s0
	s_cbranch_vccnz .LBB51_2182
; %bb.2181:
	s_wait_loadcnt 0x0
	s_delay_alu instid0(VALU_DEP_1) | instskip(SKIP_2) | instid1(SALU_CYCLE_1)
	v_dual_mov_b32 v0, v40 :: v_dual_mov_b32 v1, v43
	s_get_pc_i64 s[0:1]
	s_add_nc_u64 s[0:1], s[0:1], _ZN12_GLOBAL__N_112calc_igammacIfEET_S1_S1_@rel64+4
	s_swap_pc_i64 s[30:31], s[0:1]
	s_delay_alu instid0(VALU_DEP_1)
	v_mov_b32_e32 v44, v0
.LBB51_2182:
	v_mov_b32_e32 v77, 0
	s_cmp_lt_i32 s52, 11
	s_wait_xcnt 0x0
	s_delay_alu instid0(VALU_DEP_1)
	v_add_nc_u64_e32 v[0:1], s[38:39], v[76:77]
	s_cbranch_scc1 .LBB51_2189
; %bb.2183:
	s_cmp_gt_i32 s52, 25
	s_mov_b32 s1, 0
	s_cbranch_scc0 .LBB51_2190
; %bb.2184:
	s_cmp_gt_i32 s52, 28
	s_cbranch_scc0 .LBB51_2191
; %bb.2185:
	s_cmp_gt_i32 s52, 43
	;; [unrolled: 3-line block ×3, first 2 shown]
	s_cbranch_scc0 .LBB51_2194
; %bb.2187:
	s_cmp_eq_u32 s52, 46
	s_mov_b32 s3, 0
	s_cbranch_scc0 .LBB51_2195
; %bb.2188:
	global_load_b32 v2, v[0:1], off
	s_mov_b32 s0, 0
	s_mov_b32 s2, -1
	s_wait_loadcnt 0x0
	v_lshlrev_b32_e32 v40, 16, v2
	s_branch .LBB51_2197
.LBB51_2189:
	s_mov_b32 s0, -1
	s_mov_b32 s2, 0
                                        ; implicit-def: $vgpr40
	s_branch .LBB51_2263
.LBB51_2190:
	s_mov_b32 s3, -1
	s_mov_b32 s2, 0
	s_mov_b32 s0, 0
                                        ; implicit-def: $vgpr40
	s_branch .LBB51_2226
.LBB51_2191:
	s_mov_b32 s3, -1
	s_mov_b32 s2, 0
	s_mov_b32 s0, 0
                                        ; implicit-def: $vgpr40
	s_branch .LBB51_2207
.LBB51_2192:
	s_mov_b32 s3, -1
	s_mov_b32 s2, 0
	s_mov_b32 s0, 0
                                        ; implicit-def: $vgpr40
	s_branch .LBB51_2202
.LBB51_2193:
	s_or_b32 s50, s50, exec_lo
	s_trap 2
	s_cbranch_execz .LBB51_2125
	s_branch .LBB51_2126
.LBB51_2194:
	s_mov_b32 s3, -1
	s_mov_b32 s2, 0
	s_mov_b32 s0, 0
	s_branch .LBB51_2196
.LBB51_2195:
	s_mov_b32 s0, -1
	s_mov_b32 s2, 0
.LBB51_2196:
                                        ; implicit-def: $vgpr40
.LBB51_2197:
	s_and_b32 vcc_lo, exec_lo, s3
	s_cbranch_vccz .LBB51_2201
; %bb.2198:
	s_cmp_eq_u32 s52, 44
	s_cbranch_scc0 .LBB51_2200
; %bb.2199:
	global_load_u8 v2, v[0:1], off
	s_mov_b32 s0, 0
	s_mov_b32 s2, -1
	s_wait_loadcnt 0x0
	v_lshlrev_b32_e32 v3, 23, v2
	v_cmp_ne_u32_e32 vcc_lo, 0xff, v2
	s_delay_alu instid0(VALU_DEP_2) | instskip(SKIP_1) | instid1(VALU_DEP_2)
	v_cndmask_b32_e32 v3, 0x7f800001, v3, vcc_lo
	v_cmp_ne_u32_e32 vcc_lo, 0, v2
	v_cndmask_b32_e32 v40, 0x400000, v3, vcc_lo
	s_branch .LBB51_2201
.LBB51_2200:
	s_mov_b32 s0, -1
                                        ; implicit-def: $vgpr40
.LBB51_2201:
	s_mov_b32 s3, 0
.LBB51_2202:
	s_delay_alu instid0(SALU_CYCLE_1)
	s_and_b32 vcc_lo, exec_lo, s3
	s_cbranch_vccz .LBB51_2206
; %bb.2203:
	s_cmp_eq_u32 s52, 29
	s_cbranch_scc0 .LBB51_2205
; %bb.2204:
	global_load_b64 v[2:3], v[0:1], off
	s_mov_b32 s0, 0
	s_mov_b32 s2, -1
	s_mov_b32 s3, 0
	s_wait_loadcnt 0x0
	v_clz_i32_u32_e32 v4, v3
	s_delay_alu instid0(VALU_DEP_1) | instskip(NEXT) | instid1(VALU_DEP_1)
	v_min_u32_e32 v4, 32, v4
	v_lshlrev_b64_e32 v[2:3], v4, v[2:3]
	s_delay_alu instid0(VALU_DEP_1) | instskip(NEXT) | instid1(VALU_DEP_1)
	v_min_u32_e32 v2, 1, v2
	v_dual_sub_nc_u32 v3, 32, v4 :: v_dual_bitop2_b32 v2, v3, v2 bitop3:0x54
	s_delay_alu instid0(VALU_DEP_1) | instskip(NEXT) | instid1(VALU_DEP_1)
	v_cvt_f32_u32_e32 v2, v2
	v_ldexp_f32 v40, v2, v3
	s_branch .LBB51_2207
.LBB51_2205:
	s_mov_b32 s0, -1
                                        ; implicit-def: $vgpr40
.LBB51_2206:
	s_mov_b32 s3, 0
.LBB51_2207:
	s_delay_alu instid0(SALU_CYCLE_1)
	s_and_b32 vcc_lo, exec_lo, s3
	s_cbranch_vccz .LBB51_2225
; %bb.2208:
	s_cmp_lt_i32 s52, 27
	s_cbranch_scc1 .LBB51_2211
; %bb.2209:
	s_cmp_gt_i32 s52, 27
	s_cbranch_scc0 .LBB51_2212
; %bb.2210:
	global_load_b32 v2, v[0:1], off
	s_mov_b32 s2, 0
	s_wait_loadcnt 0x0
	v_cvt_f32_u32_e32 v40, v2
	s_branch .LBB51_2213
.LBB51_2211:
	s_mov_b32 s2, -1
                                        ; implicit-def: $vgpr40
	s_branch .LBB51_2216
.LBB51_2212:
	s_mov_b32 s2, -1
                                        ; implicit-def: $vgpr40
.LBB51_2213:
	s_delay_alu instid0(SALU_CYCLE_1)
	s_and_not1_b32 vcc_lo, exec_lo, s2
	s_cbranch_vccnz .LBB51_2215
; %bb.2214:
	global_load_u16 v2, v[0:1], off
	s_wait_loadcnt 0x0
	v_cvt_f32_u32_e32 v40, v2
.LBB51_2215:
	s_mov_b32 s2, 0
.LBB51_2216:
	s_delay_alu instid0(SALU_CYCLE_1)
	s_and_not1_b32 vcc_lo, exec_lo, s2
	s_cbranch_vccnz .LBB51_2224
; %bb.2217:
	global_load_u8 v2, v[0:1], off
	s_mov_b32 s2, 0
	s_mov_b32 s3, exec_lo
	s_wait_loadcnt 0x0
	v_cmpx_lt_i16_e32 0x7f, v2
	s_xor_b32 s3, exec_lo, s3
	s_cbranch_execz .LBB51_2238
; %bb.2218:
	s_mov_b32 s2, -1
	s_mov_b32 s4, exec_lo
	v_cmpx_eq_u16_e32 0x80, v2
; %bb.2219:
	s_xor_b32 s2, exec_lo, -1
; %bb.2220:
	s_or_b32 exec_lo, exec_lo, s4
	s_delay_alu instid0(SALU_CYCLE_1)
	s_and_b32 s2, s2, exec_lo
	s_or_saveexec_b32 s3, s3
	v_mov_b32_e32 v40, 0x7f800001
	s_xor_b32 exec_lo, exec_lo, s3
	s_cbranch_execnz .LBB51_2239
.LBB51_2221:
	s_or_b32 exec_lo, exec_lo, s3
	s_and_saveexec_b32 s3, s2
	s_cbranch_execz .LBB51_2223
.LBB51_2222:
	v_and_b32_e32 v3, 0xffff, v2
	s_delay_alu instid0(VALU_DEP_1) | instskip(SKIP_1) | instid1(VALU_DEP_2)
	v_and_b32_e32 v4, 7, v3
	v_bfe_u32 v7, v3, 3, 4
	v_clz_i32_u32_e32 v5, v4
	s_delay_alu instid0(VALU_DEP_2) | instskip(NEXT) | instid1(VALU_DEP_2)
	v_cmp_eq_u32_e32 vcc_lo, 0, v7
	v_min_u32_e32 v5, 32, v5
	s_delay_alu instid0(VALU_DEP_1) | instskip(NEXT) | instid1(VALU_DEP_1)
	v_subrev_nc_u32_e32 v6, 28, v5
	v_dual_lshlrev_b32 v3, v6, v3 :: v_dual_sub_nc_u32 v5, 29, v5
	s_delay_alu instid0(VALU_DEP_1) | instskip(NEXT) | instid1(VALU_DEP_1)
	v_dual_lshlrev_b32 v2, 24, v2 :: v_dual_bitop2_b32 v3, 7, v3 bitop3:0x40
	v_dual_cndmask_b32 v5, v7, v5, vcc_lo :: v_dual_cndmask_b32 v3, v4, v3, vcc_lo
	s_delay_alu instid0(VALU_DEP_2) | instskip(NEXT) | instid1(VALU_DEP_2)
	v_and_b32_e32 v2, 0x80000000, v2
	v_lshl_add_u32 v4, v5, 23, 0x3b800000
	s_delay_alu instid0(VALU_DEP_3) | instskip(NEXT) | instid1(VALU_DEP_1)
	v_lshlrev_b32_e32 v3, 20, v3
	v_or3_b32 v40, v2, v4, v3
.LBB51_2223:
	s_or_b32 exec_lo, exec_lo, s3
.LBB51_2224:
	s_mov_b32 s2, -1
.LBB51_2225:
	s_mov_b32 s3, 0
.LBB51_2226:
	s_delay_alu instid0(SALU_CYCLE_1)
	s_and_b32 vcc_lo, exec_lo, s3
	s_cbranch_vccz .LBB51_2259
; %bb.2227:
	s_cmp_gt_i32 s52, 22
	s_cbranch_scc0 .LBB51_2237
; %bb.2228:
	s_cmp_lt_i32 s52, 24
	s_cbranch_scc1 .LBB51_2240
; %bb.2229:
	s_cmp_gt_i32 s52, 24
	s_cbranch_scc0 .LBB51_2241
; %bb.2230:
	global_load_u8 v2, v[0:1], off
	s_mov_b32 s2, exec_lo
	s_wait_loadcnt 0x0
	v_cmpx_lt_i16_e32 0x7f, v2
	s_xor_b32 s2, exec_lo, s2
	s_cbranch_execz .LBB51_2253
; %bb.2231:
	s_mov_b32 s1, -1
	s_mov_b32 s3, exec_lo
	v_cmpx_eq_u16_e32 0x80, v2
; %bb.2232:
	s_xor_b32 s1, exec_lo, -1
; %bb.2233:
	s_or_b32 exec_lo, exec_lo, s3
	s_delay_alu instid0(SALU_CYCLE_1)
	s_and_b32 s1, s1, exec_lo
	s_or_saveexec_b32 s2, s2
	v_mov_b32_e32 v40, 0x7f800001
	s_xor_b32 exec_lo, exec_lo, s2
	s_cbranch_execnz .LBB51_2254
.LBB51_2234:
	s_or_b32 exec_lo, exec_lo, s2
	s_and_saveexec_b32 s2, s1
	s_cbranch_execz .LBB51_2236
.LBB51_2235:
	v_and_b32_e32 v3, 0xffff, v2
	s_delay_alu instid0(VALU_DEP_1) | instskip(SKIP_1) | instid1(VALU_DEP_2)
	v_and_b32_e32 v4, 3, v3
	v_bfe_u32 v7, v3, 2, 5
	v_clz_i32_u32_e32 v5, v4
	s_delay_alu instid0(VALU_DEP_2) | instskip(NEXT) | instid1(VALU_DEP_2)
	v_cmp_eq_u32_e32 vcc_lo, 0, v7
	v_min_u32_e32 v5, 32, v5
	s_delay_alu instid0(VALU_DEP_1) | instskip(NEXT) | instid1(VALU_DEP_1)
	v_subrev_nc_u32_e32 v6, 29, v5
	v_dual_lshlrev_b32 v3, v6, v3 :: v_dual_sub_nc_u32 v5, 30, v5
	s_delay_alu instid0(VALU_DEP_1) | instskip(NEXT) | instid1(VALU_DEP_1)
	v_dual_lshlrev_b32 v2, 24, v2 :: v_dual_bitop2_b32 v3, 3, v3 bitop3:0x40
	v_dual_cndmask_b32 v5, v7, v5, vcc_lo :: v_dual_cndmask_b32 v3, v4, v3, vcc_lo
	s_delay_alu instid0(VALU_DEP_2) | instskip(NEXT) | instid1(VALU_DEP_2)
	v_and_b32_e32 v2, 0x80000000, v2
	v_lshl_add_u32 v4, v5, 23, 0x37800000
	s_delay_alu instid0(VALU_DEP_3) | instskip(NEXT) | instid1(VALU_DEP_1)
	v_lshlrev_b32_e32 v3, 21, v3
	v_or3_b32 v40, v2, v4, v3
.LBB51_2236:
	s_or_b32 exec_lo, exec_lo, s2
	s_mov_b32 s1, 0
	s_branch .LBB51_2242
.LBB51_2237:
	s_mov_b32 s1, -1
                                        ; implicit-def: $vgpr40
	s_branch .LBB51_2248
.LBB51_2238:
	s_or_saveexec_b32 s3, s3
	v_mov_b32_e32 v40, 0x7f800001
	s_xor_b32 exec_lo, exec_lo, s3
	s_cbranch_execz .LBB51_2221
.LBB51_2239:
	v_cmp_ne_u16_e32 vcc_lo, 0, v2
	v_mov_b32_e32 v40, 0
	s_and_not1_b32 s2, s2, exec_lo
	s_and_b32 s4, vcc_lo, exec_lo
	s_delay_alu instid0(SALU_CYCLE_1)
	s_or_b32 s2, s2, s4
	s_or_b32 exec_lo, exec_lo, s3
	s_and_saveexec_b32 s3, s2
	s_cbranch_execnz .LBB51_2222
	s_branch .LBB51_2223
.LBB51_2240:
	s_mov_b32 s1, -1
                                        ; implicit-def: $vgpr40
	s_branch .LBB51_2245
.LBB51_2241:
	s_mov_b32 s1, -1
                                        ; implicit-def: $vgpr40
.LBB51_2242:
	s_delay_alu instid0(SALU_CYCLE_1)
	s_and_b32 vcc_lo, exec_lo, s1
	s_cbranch_vccz .LBB51_2244
; %bb.2243:
	global_load_u8 v2, v[0:1], off
	s_wait_loadcnt 0x0
	v_lshlrev_b32_e32 v2, 24, v2
	s_delay_alu instid0(VALU_DEP_1) | instskip(NEXT) | instid1(VALU_DEP_1)
	v_and_b32_e32 v3, 0x7f000000, v2
	v_clz_i32_u32_e32 v4, v3
	v_cmp_ne_u32_e32 vcc_lo, 0, v3
	v_add_nc_u32_e32 v6, 0x1000000, v3
	s_delay_alu instid0(VALU_DEP_3) | instskip(NEXT) | instid1(VALU_DEP_1)
	v_min_u32_e32 v4, 32, v4
	v_sub_nc_u32_e64 v4, v4, 4 clamp
	s_delay_alu instid0(VALU_DEP_1) | instskip(NEXT) | instid1(VALU_DEP_1)
	v_dual_lshlrev_b32 v5, v4, v3 :: v_dual_lshlrev_b32 v4, 23, v4
	v_lshrrev_b32_e32 v5, 4, v5
	s_delay_alu instid0(VALU_DEP_1) | instskip(NEXT) | instid1(VALU_DEP_1)
	v_dual_sub_nc_u32 v4, v5, v4 :: v_dual_ashrrev_i32 v5, 8, v6
	v_add_nc_u32_e32 v4, 0x3c000000, v4
	s_delay_alu instid0(VALU_DEP_1) | instskip(NEXT) | instid1(VALU_DEP_1)
	v_and_or_b32 v4, 0x7f800000, v5, v4
	v_cndmask_b32_e32 v3, 0, v4, vcc_lo
	s_delay_alu instid0(VALU_DEP_1)
	v_and_or_b32 v40, 0x80000000, v2, v3
.LBB51_2244:
	s_mov_b32 s1, 0
.LBB51_2245:
	s_delay_alu instid0(SALU_CYCLE_1)
	s_and_not1_b32 vcc_lo, exec_lo, s1
	s_cbranch_vccnz .LBB51_2247
; %bb.2246:
	global_load_u8 v2, v[0:1], off
	s_wait_loadcnt 0x0
	v_lshlrev_b32_e32 v3, 25, v2
	v_lshlrev_b16 v2, 8, v2
	s_delay_alu instid0(VALU_DEP_1) | instskip(SKIP_1) | instid1(VALU_DEP_2)
	v_and_or_b32 v5, 0x7f00, v2, 0.5
	v_bfe_i32 v2, v2, 0, 16
	v_dual_add_f32 v5, -0.5, v5 :: v_dual_lshrrev_b32 v4, 4, v3
	v_cmp_gt_u32_e32 vcc_lo, 0x8000000, v3
	s_delay_alu instid0(VALU_DEP_2) | instskip(NEXT) | instid1(VALU_DEP_1)
	v_or_b32_e32 v4, 0x70000000, v4
	v_mul_f32_e32 v4, 0x7800000, v4
	s_delay_alu instid0(VALU_DEP_1) | instskip(NEXT) | instid1(VALU_DEP_1)
	v_cndmask_b32_e32 v3, v4, v5, vcc_lo
	v_and_or_b32 v40, 0x80000000, v2, v3
.LBB51_2247:
	s_mov_b32 s1, 0
	s_mov_b32 s2, -1
.LBB51_2248:
	s_and_not1_b32 vcc_lo, exec_lo, s1
	s_mov_b32 s1, 0
	s_cbranch_vccnz .LBB51_2259
; %bb.2249:
	s_cmp_gt_i32 s52, 14
	s_cbranch_scc0 .LBB51_2252
; %bb.2250:
	s_cmp_eq_u32 s52, 15
	s_cbranch_scc0 .LBB51_2255
; %bb.2251:
	global_load_u16 v2, v[0:1], off
	s_mov_b32 s0, 0
	s_mov_b32 s2, -1
	s_wait_loadcnt 0x0
	v_lshlrev_b32_e32 v40, 16, v2
	s_branch .LBB51_2257
.LBB51_2252:
	s_mov_b32 s1, -1
	s_branch .LBB51_2256
.LBB51_2253:
	s_or_saveexec_b32 s2, s2
	v_mov_b32_e32 v40, 0x7f800001
	s_xor_b32 exec_lo, exec_lo, s2
	s_cbranch_execz .LBB51_2234
.LBB51_2254:
	v_cmp_ne_u16_e32 vcc_lo, 0, v2
	v_mov_b32_e32 v40, 0
	s_and_not1_b32 s1, s1, exec_lo
	s_and_b32 s3, vcc_lo, exec_lo
	s_delay_alu instid0(SALU_CYCLE_1)
	s_or_b32 s1, s1, s3
	s_or_b32 exec_lo, exec_lo, s2
	s_and_saveexec_b32 s2, s1
	s_cbranch_execnz .LBB51_2235
	s_branch .LBB51_2236
.LBB51_2255:
	s_mov_b32 s0, -1
.LBB51_2256:
                                        ; implicit-def: $vgpr40
.LBB51_2257:
	s_and_b32 vcc_lo, exec_lo, s1
	s_mov_b32 s1, 0
	s_cbranch_vccz .LBB51_2259
; %bb.2258:
	s_cmp_lg_u32 s52, 11
	s_mov_b32 s1, -1
	s_cselect_b32 s0, -1, 0
.LBB51_2259:
	s_delay_alu instid0(SALU_CYCLE_1)
	s_and_b32 vcc_lo, exec_lo, s0
	s_cbranch_vccnz .LBB51_2324
; %bb.2260:
	s_and_not1_b32 vcc_lo, exec_lo, s1
	s_cbranch_vccnz .LBB51_2262
.LBB51_2261:
	global_load_u8 v2, v[0:1], off
	s_mov_b32 s2, -1
	s_wait_loadcnt 0x0
	v_cmp_ne_u16_e32 vcc_lo, 0, v2
	v_cndmask_b32_e64 v40, 0, 1.0, vcc_lo
.LBB51_2262:
	s_mov_b32 s0, 0
.LBB51_2263:
	s_delay_alu instid0(SALU_CYCLE_1)
	s_and_b32 vcc_lo, exec_lo, s0
	s_cbranch_vccz .LBB51_2312
; %bb.2264:
	s_cmp_lt_i32 s52, 5
	s_cbranch_scc1 .LBB51_2269
; %bb.2265:
	s_cmp_lt_i32 s52, 8
	s_cbranch_scc1 .LBB51_2270
; %bb.2266:
	s_cmp_lt_i32 s52, 9
	s_cbranch_scc1 .LBB51_2271
; %bb.2267:
	s_cmp_gt_i32 s52, 9
	s_cbranch_scc0 .LBB51_2272
; %bb.2268:
	global_load_b64 v[2:3], v[0:1], off
	s_mov_b32 s0, 0
	s_wait_loadcnt 0x0
	v_cvt_f32_f64_e32 v40, v[2:3]
	s_branch .LBB51_2273
.LBB51_2269:
	s_mov_b32 s0, -1
                                        ; implicit-def: $vgpr40
	s_branch .LBB51_2291
.LBB51_2270:
	s_mov_b32 s0, -1
                                        ; implicit-def: $vgpr40
	s_branch .LBB51_2279
.LBB51_2271:
	s_mov_b32 s0, -1
                                        ; implicit-def: $vgpr40
	s_branch .LBB51_2276
.LBB51_2272:
	s_mov_b32 s0, -1
                                        ; implicit-def: $vgpr40
.LBB51_2273:
	s_delay_alu instid0(SALU_CYCLE_1)
	s_and_not1_b32 vcc_lo, exec_lo, s0
	s_cbranch_vccnz .LBB51_2275
; %bb.2274:
	s_wait_loadcnt 0x0
	global_load_b32 v40, v[0:1], off
.LBB51_2275:
	s_mov_b32 s0, 0
.LBB51_2276:
	s_delay_alu instid0(SALU_CYCLE_1)
	s_and_not1_b32 vcc_lo, exec_lo, s0
	s_cbranch_vccnz .LBB51_2278
; %bb.2277:
	global_load_b32 v2, v[0:1], off
	s_wait_loadcnt 0x0
	v_cvt_f32_f16_e32 v40, v2
.LBB51_2278:
	s_mov_b32 s0, 0
.LBB51_2279:
	s_delay_alu instid0(SALU_CYCLE_1)
	s_and_not1_b32 vcc_lo, exec_lo, s0
	s_cbranch_vccnz .LBB51_2290
; %bb.2280:
	s_cmp_lt_i32 s52, 6
	s_cbranch_scc1 .LBB51_2283
; %bb.2281:
	s_cmp_gt_i32 s52, 6
	s_cbranch_scc0 .LBB51_2284
; %bb.2282:
	global_load_b64 v[2:3], v[0:1], off
	s_mov_b32 s0, 0
	s_wait_loadcnt 0x0
	v_cvt_f32_f64_e32 v40, v[2:3]
	s_branch .LBB51_2285
.LBB51_2283:
	s_mov_b32 s0, -1
                                        ; implicit-def: $vgpr40
	s_branch .LBB51_2288
.LBB51_2284:
	s_mov_b32 s0, -1
                                        ; implicit-def: $vgpr40
.LBB51_2285:
	s_delay_alu instid0(SALU_CYCLE_1)
	s_and_not1_b32 vcc_lo, exec_lo, s0
	s_cbranch_vccnz .LBB51_2287
; %bb.2286:
	s_wait_loadcnt 0x0
	global_load_b32 v40, v[0:1], off
.LBB51_2287:
	s_mov_b32 s0, 0
.LBB51_2288:
	s_delay_alu instid0(SALU_CYCLE_1)
	s_and_not1_b32 vcc_lo, exec_lo, s0
	s_cbranch_vccnz .LBB51_2290
; %bb.2289:
	global_load_u16 v2, v[0:1], off
	s_wait_loadcnt 0x0
	v_cvt_f32_f16_e32 v40, v2
.LBB51_2290:
	s_mov_b32 s0, 0
.LBB51_2291:
	s_delay_alu instid0(SALU_CYCLE_1)
	s_and_not1_b32 vcc_lo, exec_lo, s0
	s_cbranch_vccnz .LBB51_2311
; %bb.2292:
	s_cmp_lt_i32 s52, 2
	s_cbranch_scc1 .LBB51_2296
; %bb.2293:
	s_cmp_lt_i32 s52, 3
	s_cbranch_scc1 .LBB51_2297
; %bb.2294:
	s_cmp_gt_i32 s52, 3
	s_cbranch_scc0 .LBB51_2298
; %bb.2295:
	global_load_b64 v[2:3], v[0:1], off
	s_mov_b32 s0, 0
	s_wait_loadcnt 0x0
	v_xor_b32_e32 v4, v2, v3
	v_cls_i32_e32 v5, v3
	s_delay_alu instid0(VALU_DEP_2) | instskip(NEXT) | instid1(VALU_DEP_1)
	v_ashrrev_i32_e32 v4, 31, v4
	v_add_nc_u32_e32 v4, 32, v4
	s_delay_alu instid0(VALU_DEP_1) | instskip(NEXT) | instid1(VALU_DEP_1)
	v_add_min_u32_e64 v4, v5, -1, v4
	v_lshlrev_b64_e32 v[2:3], v4, v[2:3]
	s_delay_alu instid0(VALU_DEP_1) | instskip(NEXT) | instid1(VALU_DEP_1)
	v_min_u32_e32 v2, 1, v2
	v_dual_sub_nc_u32 v3, 32, v4 :: v_dual_bitop2_b32 v2, v3, v2 bitop3:0x54
	s_delay_alu instid0(VALU_DEP_1) | instskip(NEXT) | instid1(VALU_DEP_1)
	v_cvt_f32_i32_e32 v2, v2
	v_ldexp_f32 v40, v2, v3
	s_branch .LBB51_2299
.LBB51_2296:
	s_mov_b32 s0, -1
                                        ; implicit-def: $vgpr40
	s_branch .LBB51_2305
.LBB51_2297:
	s_mov_b32 s0, -1
                                        ; implicit-def: $vgpr40
	s_branch .LBB51_2302
.LBB51_2298:
	s_mov_b32 s0, -1
                                        ; implicit-def: $vgpr40
.LBB51_2299:
	s_delay_alu instid0(SALU_CYCLE_1)
	s_and_not1_b32 vcc_lo, exec_lo, s0
	s_cbranch_vccnz .LBB51_2301
; %bb.2300:
	global_load_b32 v2, v[0:1], off
	s_wait_loadcnt 0x0
	v_cvt_f32_i32_e32 v40, v2
.LBB51_2301:
	s_mov_b32 s0, 0
.LBB51_2302:
	s_delay_alu instid0(SALU_CYCLE_1)
	s_and_not1_b32 vcc_lo, exec_lo, s0
	s_cbranch_vccnz .LBB51_2304
; %bb.2303:
	global_load_i16 v2, v[0:1], off
	s_wait_loadcnt 0x0
	v_cvt_f32_i32_e32 v40, v2
.LBB51_2304:
	s_mov_b32 s0, 0
.LBB51_2305:
	s_delay_alu instid0(SALU_CYCLE_1)
	s_and_not1_b32 vcc_lo, exec_lo, s0
	s_cbranch_vccnz .LBB51_2311
; %bb.2306:
	s_cmp_gt_i32 s52, 0
	s_mov_b32 s0, 0
	s_cbranch_scc0 .LBB51_2308
; %bb.2307:
	global_load_i8 v2, v[0:1], off
	s_wait_loadcnt 0x0
	v_cvt_f32_i32_e32 v40, v2
	s_branch .LBB51_2309
.LBB51_2308:
	s_mov_b32 s0, -1
                                        ; implicit-def: $vgpr40
.LBB51_2309:
	s_delay_alu instid0(SALU_CYCLE_1)
	s_and_not1_b32 vcc_lo, exec_lo, s0
	s_cbranch_vccnz .LBB51_2311
; %bb.2310:
	global_load_u8 v0, v[0:1], off
	s_wait_loadcnt 0x0
	v_cvt_f32_ubyte0_e32 v40, v0
.LBB51_2311:
	s_mov_b32 s2, -1
.LBB51_2312:
	s_delay_alu instid0(SALU_CYCLE_1)
	s_and_not1_b32 vcc_lo, exec_lo, s2
	s_cbranch_vccnz .LBB51_2715
; %bb.2313:
	v_mov_b32_e32 v47, 0
	s_cmp_lt_i32 s53, 11
	s_wait_xcnt 0x0
	s_delay_alu instid0(VALU_DEP_1)
	v_add_nc_u64_e32 v[0:1], s[46:47], v[46:47]
	s_cbranch_scc1 .LBB51_2320
; %bb.2314:
	s_cmp_gt_i32 s53, 25
	s_mov_b32 s1, 0
	s_cbranch_scc0 .LBB51_2321
; %bb.2315:
	s_cmp_gt_i32 s53, 28
	s_cbranch_scc0 .LBB51_2322
; %bb.2316:
	s_cmp_gt_i32 s53, 43
	;; [unrolled: 3-line block ×3, first 2 shown]
	s_cbranch_scc0 .LBB51_2325
; %bb.2318:
	s_cmp_eq_u32 s53, 46
	s_mov_b32 s3, 0
	s_cbranch_scc0 .LBB51_2328
; %bb.2319:
	global_load_b32 v2, v[0:1], off
	s_mov_b32 s0, 0
	s_mov_b32 s2, -1
	s_wait_loadcnt 0x0
	v_lshlrev_b32_e32 v43, 16, v2
	s_branch .LBB51_2330
.LBB51_2320:
	s_mov_b32 s0, -1
	s_mov_b32 s2, 0
                                        ; implicit-def: $vgpr43
	s_branch .LBB51_2396
.LBB51_2321:
	s_mov_b32 s3, -1
	s_mov_b32 s2, 0
	s_mov_b32 s0, 0
                                        ; implicit-def: $vgpr43
	s_branch .LBB51_2359
.LBB51_2322:
	s_mov_b32 s3, -1
	s_mov_b32 s2, 0
	s_mov_b32 s0, 0
                                        ; implicit-def: $vgpr43
	s_branch .LBB51_2340
.LBB51_2323:
	s_mov_b32 s3, -1
	s_mov_b32 s2, 0
	s_mov_b32 s0, 0
                                        ; implicit-def: $vgpr43
	s_branch .LBB51_2335
.LBB51_2324:
	s_or_b32 s50, s50, exec_lo
	s_trap 2
	s_cbranch_execz .LBB51_2261
	s_branch .LBB51_2262
.LBB51_2325:
	s_mov_b32 s3, -1
	s_mov_b32 s2, 0
	s_mov_b32 s0, 0
	s_branch .LBB51_2329
.LBB51_2326:
	s_and_not1_saveexec_b32 s5, s5
	s_cbranch_execz .LBB51_1136
.LBB51_2327:
	v_add_f32_e64 v1, 0x42800000, |v0|
	s_and_not1_b32 s4, s4, exec_lo
	s_delay_alu instid0(VALU_DEP_1) | instskip(NEXT) | instid1(VALU_DEP_1)
	v_and_b32_e32 v1, 0xff, v1
	v_cmp_ne_u32_e32 vcc_lo, 0, v1
	s_and_b32 s6, vcc_lo, exec_lo
	s_delay_alu instid0(SALU_CYCLE_1)
	s_or_b32 s4, s4, s6
	s_or_b32 exec_lo, exec_lo, s5
	v_mov_b32_e32 v4, 0
	s_and_saveexec_b32 s5, s4
	s_cbranch_execnz .LBB51_1137
	s_branch .LBB51_1138
.LBB51_2328:
	s_mov_b32 s0, -1
	s_mov_b32 s2, 0
.LBB51_2329:
                                        ; implicit-def: $vgpr43
.LBB51_2330:
	s_and_b32 vcc_lo, exec_lo, s3
	s_cbranch_vccz .LBB51_2334
; %bb.2331:
	s_cmp_eq_u32 s53, 44
	s_cbranch_scc0 .LBB51_2333
; %bb.2332:
	global_load_u8 v2, v[0:1], off
	s_mov_b32 s0, 0
	s_mov_b32 s2, -1
	s_wait_loadcnt 0x0
	v_lshlrev_b32_e32 v3, 23, v2
	v_cmp_ne_u32_e32 vcc_lo, 0xff, v2
	s_delay_alu instid0(VALU_DEP_2) | instskip(SKIP_1) | instid1(VALU_DEP_2)
	v_cndmask_b32_e32 v3, 0x7f800001, v3, vcc_lo
	v_cmp_ne_u32_e32 vcc_lo, 0, v2
	v_cndmask_b32_e32 v43, 0x400000, v3, vcc_lo
	s_branch .LBB51_2334
.LBB51_2333:
	s_mov_b32 s0, -1
                                        ; implicit-def: $vgpr43
.LBB51_2334:
	s_mov_b32 s3, 0
.LBB51_2335:
	s_delay_alu instid0(SALU_CYCLE_1)
	s_and_b32 vcc_lo, exec_lo, s3
	s_cbranch_vccz .LBB51_2339
; %bb.2336:
	s_cmp_eq_u32 s53, 29
	s_cbranch_scc0 .LBB51_2338
; %bb.2337:
	global_load_b64 v[2:3], v[0:1], off
	s_mov_b32 s0, 0
	s_mov_b32 s2, -1
	s_mov_b32 s3, 0
	s_wait_loadcnt 0x0
	v_clz_i32_u32_e32 v4, v3
	s_delay_alu instid0(VALU_DEP_1) | instskip(NEXT) | instid1(VALU_DEP_1)
	v_min_u32_e32 v4, 32, v4
	v_lshlrev_b64_e32 v[2:3], v4, v[2:3]
	s_delay_alu instid0(VALU_DEP_1) | instskip(NEXT) | instid1(VALU_DEP_1)
	v_min_u32_e32 v2, 1, v2
	v_dual_sub_nc_u32 v3, 32, v4 :: v_dual_bitop2_b32 v2, v3, v2 bitop3:0x54
	s_delay_alu instid0(VALU_DEP_1) | instskip(NEXT) | instid1(VALU_DEP_1)
	v_cvt_f32_u32_e32 v2, v2
	v_ldexp_f32 v43, v2, v3
	s_branch .LBB51_2340
.LBB51_2338:
	s_mov_b32 s0, -1
                                        ; implicit-def: $vgpr43
.LBB51_2339:
	s_mov_b32 s3, 0
.LBB51_2340:
	s_delay_alu instid0(SALU_CYCLE_1)
	s_and_b32 vcc_lo, exec_lo, s3
	s_cbranch_vccz .LBB51_2358
; %bb.2341:
	s_cmp_lt_i32 s53, 27
	s_cbranch_scc1 .LBB51_2344
; %bb.2342:
	s_cmp_gt_i32 s53, 27
	s_cbranch_scc0 .LBB51_2345
; %bb.2343:
	global_load_b32 v2, v[0:1], off
	s_mov_b32 s2, 0
	s_wait_loadcnt 0x0
	v_cvt_f32_u32_e32 v43, v2
	s_branch .LBB51_2346
.LBB51_2344:
	s_mov_b32 s2, -1
                                        ; implicit-def: $vgpr43
	s_branch .LBB51_2349
.LBB51_2345:
	s_mov_b32 s2, -1
                                        ; implicit-def: $vgpr43
.LBB51_2346:
	s_delay_alu instid0(SALU_CYCLE_1)
	s_and_not1_b32 vcc_lo, exec_lo, s2
	s_cbranch_vccnz .LBB51_2348
; %bb.2347:
	global_load_u16 v2, v[0:1], off
	s_wait_loadcnt 0x0
	v_cvt_f32_u32_e32 v43, v2
.LBB51_2348:
	s_mov_b32 s2, 0
.LBB51_2349:
	s_delay_alu instid0(SALU_CYCLE_1)
	s_and_not1_b32 vcc_lo, exec_lo, s2
	s_cbranch_vccnz .LBB51_2357
; %bb.2350:
	global_load_u8 v2, v[0:1], off
	s_mov_b32 s2, 0
	s_mov_b32 s3, exec_lo
	s_wait_loadcnt 0x0
	v_cmpx_lt_i16_e32 0x7f, v2
	s_xor_b32 s3, exec_lo, s3
	s_cbranch_execz .LBB51_2371
; %bb.2351:
	s_mov_b32 s2, -1
	s_mov_b32 s4, exec_lo
	v_cmpx_eq_u16_e32 0x80, v2
; %bb.2352:
	s_xor_b32 s2, exec_lo, -1
; %bb.2353:
	s_or_b32 exec_lo, exec_lo, s4
	s_delay_alu instid0(SALU_CYCLE_1)
	s_and_b32 s2, s2, exec_lo
	s_or_saveexec_b32 s3, s3
	v_mov_b32_e32 v43, 0x7f800001
	s_xor_b32 exec_lo, exec_lo, s3
	s_cbranch_execnz .LBB51_2372
.LBB51_2354:
	s_or_b32 exec_lo, exec_lo, s3
	s_and_saveexec_b32 s3, s2
	s_cbranch_execz .LBB51_2356
.LBB51_2355:
	v_and_b32_e32 v3, 0xffff, v2
	s_delay_alu instid0(VALU_DEP_1) | instskip(SKIP_1) | instid1(VALU_DEP_2)
	v_and_b32_e32 v4, 7, v3
	v_bfe_u32 v7, v3, 3, 4
	v_clz_i32_u32_e32 v5, v4
	s_delay_alu instid0(VALU_DEP_2) | instskip(NEXT) | instid1(VALU_DEP_2)
	v_cmp_eq_u32_e32 vcc_lo, 0, v7
	v_min_u32_e32 v5, 32, v5
	s_delay_alu instid0(VALU_DEP_1) | instskip(NEXT) | instid1(VALU_DEP_1)
	v_subrev_nc_u32_e32 v6, 28, v5
	v_dual_lshlrev_b32 v3, v6, v3 :: v_dual_sub_nc_u32 v5, 29, v5
	s_delay_alu instid0(VALU_DEP_1) | instskip(NEXT) | instid1(VALU_DEP_1)
	v_dual_lshlrev_b32 v2, 24, v2 :: v_dual_bitop2_b32 v3, 7, v3 bitop3:0x40
	v_dual_cndmask_b32 v5, v7, v5, vcc_lo :: v_dual_cndmask_b32 v3, v4, v3, vcc_lo
	s_delay_alu instid0(VALU_DEP_2) | instskip(NEXT) | instid1(VALU_DEP_2)
	v_and_b32_e32 v2, 0x80000000, v2
	v_lshl_add_u32 v4, v5, 23, 0x3b800000
	s_delay_alu instid0(VALU_DEP_3) | instskip(NEXT) | instid1(VALU_DEP_1)
	v_lshlrev_b32_e32 v3, 20, v3
	v_or3_b32 v43, v2, v4, v3
.LBB51_2356:
	s_or_b32 exec_lo, exec_lo, s3
.LBB51_2357:
	s_mov_b32 s2, -1
.LBB51_2358:
	s_mov_b32 s3, 0
.LBB51_2359:
	s_delay_alu instid0(SALU_CYCLE_1)
	s_and_b32 vcc_lo, exec_lo, s3
	s_cbranch_vccz .LBB51_2392
; %bb.2360:
	s_cmp_gt_i32 s53, 22
	s_cbranch_scc0 .LBB51_2370
; %bb.2361:
	s_cmp_lt_i32 s53, 24
	s_cbranch_scc1 .LBB51_2373
; %bb.2362:
	s_cmp_gt_i32 s53, 24
	s_cbranch_scc0 .LBB51_2374
; %bb.2363:
	global_load_u8 v2, v[0:1], off
	s_mov_b32 s2, exec_lo
	s_wait_loadcnt 0x0
	v_cmpx_lt_i16_e32 0x7f, v2
	s_xor_b32 s2, exec_lo, s2
	s_cbranch_execz .LBB51_2386
; %bb.2364:
	s_mov_b32 s1, -1
	s_mov_b32 s3, exec_lo
	v_cmpx_eq_u16_e32 0x80, v2
; %bb.2365:
	s_xor_b32 s1, exec_lo, -1
; %bb.2366:
	s_or_b32 exec_lo, exec_lo, s3
	s_delay_alu instid0(SALU_CYCLE_1)
	s_and_b32 s1, s1, exec_lo
	s_or_saveexec_b32 s2, s2
	v_mov_b32_e32 v43, 0x7f800001
	s_xor_b32 exec_lo, exec_lo, s2
	s_cbranch_execnz .LBB51_2387
.LBB51_2367:
	s_or_b32 exec_lo, exec_lo, s2
	s_and_saveexec_b32 s2, s1
	s_cbranch_execz .LBB51_2369
.LBB51_2368:
	v_and_b32_e32 v3, 0xffff, v2
	s_delay_alu instid0(VALU_DEP_1) | instskip(SKIP_1) | instid1(VALU_DEP_2)
	v_and_b32_e32 v4, 3, v3
	v_bfe_u32 v7, v3, 2, 5
	v_clz_i32_u32_e32 v5, v4
	s_delay_alu instid0(VALU_DEP_2) | instskip(NEXT) | instid1(VALU_DEP_2)
	v_cmp_eq_u32_e32 vcc_lo, 0, v7
	v_min_u32_e32 v5, 32, v5
	s_delay_alu instid0(VALU_DEP_1) | instskip(NEXT) | instid1(VALU_DEP_1)
	v_subrev_nc_u32_e32 v6, 29, v5
	v_dual_lshlrev_b32 v3, v6, v3 :: v_dual_sub_nc_u32 v5, 30, v5
	s_delay_alu instid0(VALU_DEP_1) | instskip(NEXT) | instid1(VALU_DEP_1)
	v_dual_lshlrev_b32 v2, 24, v2 :: v_dual_bitop2_b32 v3, 3, v3 bitop3:0x40
	v_dual_cndmask_b32 v5, v7, v5, vcc_lo :: v_dual_cndmask_b32 v3, v4, v3, vcc_lo
	s_delay_alu instid0(VALU_DEP_2) | instskip(NEXT) | instid1(VALU_DEP_2)
	v_and_b32_e32 v2, 0x80000000, v2
	v_lshl_add_u32 v4, v5, 23, 0x37800000
	s_delay_alu instid0(VALU_DEP_3) | instskip(NEXT) | instid1(VALU_DEP_1)
	v_lshlrev_b32_e32 v3, 21, v3
	v_or3_b32 v43, v2, v4, v3
.LBB51_2369:
	s_or_b32 exec_lo, exec_lo, s2
	s_mov_b32 s1, 0
	s_branch .LBB51_2375
.LBB51_2370:
	s_mov_b32 s1, -1
                                        ; implicit-def: $vgpr43
	s_branch .LBB51_2381
.LBB51_2371:
	s_or_saveexec_b32 s3, s3
	v_mov_b32_e32 v43, 0x7f800001
	s_xor_b32 exec_lo, exec_lo, s3
	s_cbranch_execz .LBB51_2354
.LBB51_2372:
	v_cmp_ne_u16_e32 vcc_lo, 0, v2
	v_mov_b32_e32 v43, 0
	s_and_not1_b32 s2, s2, exec_lo
	s_and_b32 s4, vcc_lo, exec_lo
	s_delay_alu instid0(SALU_CYCLE_1)
	s_or_b32 s2, s2, s4
	s_or_b32 exec_lo, exec_lo, s3
	s_and_saveexec_b32 s3, s2
	s_cbranch_execnz .LBB51_2355
	s_branch .LBB51_2356
.LBB51_2373:
	s_mov_b32 s1, -1
                                        ; implicit-def: $vgpr43
	s_branch .LBB51_2378
.LBB51_2374:
	s_mov_b32 s1, -1
                                        ; implicit-def: $vgpr43
.LBB51_2375:
	s_delay_alu instid0(SALU_CYCLE_1)
	s_and_b32 vcc_lo, exec_lo, s1
	s_cbranch_vccz .LBB51_2377
; %bb.2376:
	global_load_u8 v2, v[0:1], off
	s_wait_loadcnt 0x0
	v_lshlrev_b32_e32 v2, 24, v2
	s_delay_alu instid0(VALU_DEP_1) | instskip(NEXT) | instid1(VALU_DEP_1)
	v_and_b32_e32 v3, 0x7f000000, v2
	v_clz_i32_u32_e32 v4, v3
	v_cmp_ne_u32_e32 vcc_lo, 0, v3
	v_add_nc_u32_e32 v6, 0x1000000, v3
	s_delay_alu instid0(VALU_DEP_3) | instskip(NEXT) | instid1(VALU_DEP_1)
	v_min_u32_e32 v4, 32, v4
	v_sub_nc_u32_e64 v4, v4, 4 clamp
	s_delay_alu instid0(VALU_DEP_1) | instskip(NEXT) | instid1(VALU_DEP_1)
	v_dual_lshlrev_b32 v5, v4, v3 :: v_dual_lshlrev_b32 v4, 23, v4
	v_lshrrev_b32_e32 v5, 4, v5
	s_delay_alu instid0(VALU_DEP_1) | instskip(NEXT) | instid1(VALU_DEP_1)
	v_dual_sub_nc_u32 v4, v5, v4 :: v_dual_ashrrev_i32 v5, 8, v6
	v_add_nc_u32_e32 v4, 0x3c000000, v4
	s_delay_alu instid0(VALU_DEP_1) | instskip(NEXT) | instid1(VALU_DEP_1)
	v_and_or_b32 v4, 0x7f800000, v5, v4
	v_cndmask_b32_e32 v3, 0, v4, vcc_lo
	s_delay_alu instid0(VALU_DEP_1)
	v_and_or_b32 v43, 0x80000000, v2, v3
.LBB51_2377:
	s_mov_b32 s1, 0
.LBB51_2378:
	s_delay_alu instid0(SALU_CYCLE_1)
	s_and_not1_b32 vcc_lo, exec_lo, s1
	s_cbranch_vccnz .LBB51_2380
; %bb.2379:
	global_load_u8 v2, v[0:1], off
	s_wait_loadcnt 0x0
	v_lshlrev_b32_e32 v3, 25, v2
	v_lshlrev_b16 v2, 8, v2
	s_delay_alu instid0(VALU_DEP_1) | instskip(SKIP_1) | instid1(VALU_DEP_2)
	v_and_or_b32 v5, 0x7f00, v2, 0.5
	v_bfe_i32 v2, v2, 0, 16
	v_dual_add_f32 v5, -0.5, v5 :: v_dual_lshrrev_b32 v4, 4, v3
	v_cmp_gt_u32_e32 vcc_lo, 0x8000000, v3
	s_delay_alu instid0(VALU_DEP_2) | instskip(NEXT) | instid1(VALU_DEP_1)
	v_or_b32_e32 v4, 0x70000000, v4
	v_mul_f32_e32 v4, 0x7800000, v4
	s_delay_alu instid0(VALU_DEP_1) | instskip(NEXT) | instid1(VALU_DEP_1)
	v_cndmask_b32_e32 v3, v4, v5, vcc_lo
	v_and_or_b32 v43, 0x80000000, v2, v3
.LBB51_2380:
	s_mov_b32 s1, 0
	s_mov_b32 s2, -1
.LBB51_2381:
	s_and_not1_b32 vcc_lo, exec_lo, s1
	s_mov_b32 s1, 0
	s_cbranch_vccnz .LBB51_2392
; %bb.2382:
	s_cmp_gt_i32 s53, 14
	s_cbranch_scc0 .LBB51_2385
; %bb.2383:
	s_cmp_eq_u32 s53, 15
	s_cbranch_scc0 .LBB51_2388
; %bb.2384:
	global_load_u16 v2, v[0:1], off
	s_mov_b32 s0, 0
	s_mov_b32 s2, -1
	s_wait_loadcnt 0x0
	v_lshlrev_b32_e32 v43, 16, v2
	s_branch .LBB51_2390
.LBB51_2385:
	s_mov_b32 s1, -1
	s_branch .LBB51_2389
.LBB51_2386:
	s_or_saveexec_b32 s2, s2
	v_mov_b32_e32 v43, 0x7f800001
	s_xor_b32 exec_lo, exec_lo, s2
	s_cbranch_execz .LBB51_2367
.LBB51_2387:
	v_cmp_ne_u16_e32 vcc_lo, 0, v2
	v_mov_b32_e32 v43, 0
	s_and_not1_b32 s1, s1, exec_lo
	s_and_b32 s3, vcc_lo, exec_lo
	s_delay_alu instid0(SALU_CYCLE_1)
	s_or_b32 s1, s1, s3
	s_or_b32 exec_lo, exec_lo, s2
	s_and_saveexec_b32 s2, s1
	s_cbranch_execnz .LBB51_2368
	s_branch .LBB51_2369
.LBB51_2388:
	s_mov_b32 s0, -1
.LBB51_2389:
                                        ; implicit-def: $vgpr43
.LBB51_2390:
	s_and_b32 vcc_lo, exec_lo, s1
	s_mov_b32 s1, 0
	s_cbranch_vccz .LBB51_2392
; %bb.2391:
	s_cmp_lg_u32 s53, 11
	s_mov_b32 s1, -1
	s_cselect_b32 s0, -1, 0
.LBB51_2392:
	s_delay_alu instid0(SALU_CYCLE_1)
	s_and_b32 vcc_lo, exec_lo, s0
	s_cbranch_vccnz .LBB51_2462
; %bb.2393:
	s_and_not1_b32 vcc_lo, exec_lo, s1
	s_cbranch_vccnz .LBB51_2395
.LBB51_2394:
	global_load_u8 v2, v[0:1], off
	s_mov_b32 s2, -1
	s_wait_loadcnt 0x0
	v_cmp_ne_u16_e32 vcc_lo, 0, v2
	v_cndmask_b32_e64 v43, 0, 1.0, vcc_lo
.LBB51_2395:
	s_mov_b32 s0, 0
.LBB51_2396:
	s_delay_alu instid0(SALU_CYCLE_1)
	s_and_b32 vcc_lo, exec_lo, s0
	s_cbranch_vccz .LBB51_2445
; %bb.2397:
	s_cmp_lt_i32 s53, 5
	s_cbranch_scc1 .LBB51_2402
; %bb.2398:
	s_cmp_lt_i32 s53, 8
	s_cbranch_scc1 .LBB51_2403
	;; [unrolled: 3-line block ×3, first 2 shown]
; %bb.2400:
	s_cmp_gt_i32 s53, 9
	s_cbranch_scc0 .LBB51_2405
; %bb.2401:
	global_load_b64 v[2:3], v[0:1], off
	s_mov_b32 s0, 0
	s_wait_loadcnt 0x0
	v_cvt_f32_f64_e32 v43, v[2:3]
	s_branch .LBB51_2406
.LBB51_2402:
	s_mov_b32 s0, -1
                                        ; implicit-def: $vgpr43
	s_branch .LBB51_2424
.LBB51_2403:
	s_mov_b32 s0, -1
                                        ; implicit-def: $vgpr43
	s_branch .LBB51_2412
.LBB51_2404:
	s_mov_b32 s0, -1
                                        ; implicit-def: $vgpr43
	s_branch .LBB51_2409
.LBB51_2405:
	s_mov_b32 s0, -1
                                        ; implicit-def: $vgpr43
.LBB51_2406:
	s_delay_alu instid0(SALU_CYCLE_1)
	s_and_not1_b32 vcc_lo, exec_lo, s0
	s_cbranch_vccnz .LBB51_2408
; %bb.2407:
	s_wait_loadcnt 0x0
	global_load_b32 v43, v[0:1], off
.LBB51_2408:
	s_mov_b32 s0, 0
.LBB51_2409:
	s_delay_alu instid0(SALU_CYCLE_1)
	s_and_not1_b32 vcc_lo, exec_lo, s0
	s_cbranch_vccnz .LBB51_2411
; %bb.2410:
	global_load_b32 v2, v[0:1], off
	s_wait_loadcnt 0x0
	v_cvt_f32_f16_e32 v43, v2
.LBB51_2411:
	s_mov_b32 s0, 0
.LBB51_2412:
	s_delay_alu instid0(SALU_CYCLE_1)
	s_and_not1_b32 vcc_lo, exec_lo, s0
	s_cbranch_vccnz .LBB51_2423
; %bb.2413:
	s_cmp_lt_i32 s53, 6
	s_cbranch_scc1 .LBB51_2416
; %bb.2414:
	s_cmp_gt_i32 s53, 6
	s_cbranch_scc0 .LBB51_2417
; %bb.2415:
	global_load_b64 v[2:3], v[0:1], off
	s_mov_b32 s0, 0
	s_wait_loadcnt 0x0
	v_cvt_f32_f64_e32 v43, v[2:3]
	s_branch .LBB51_2418
.LBB51_2416:
	s_mov_b32 s0, -1
                                        ; implicit-def: $vgpr43
	s_branch .LBB51_2421
.LBB51_2417:
	s_mov_b32 s0, -1
                                        ; implicit-def: $vgpr43
.LBB51_2418:
	s_delay_alu instid0(SALU_CYCLE_1)
	s_and_not1_b32 vcc_lo, exec_lo, s0
	s_cbranch_vccnz .LBB51_2420
; %bb.2419:
	s_wait_loadcnt 0x0
	global_load_b32 v43, v[0:1], off
.LBB51_2420:
	s_mov_b32 s0, 0
.LBB51_2421:
	s_delay_alu instid0(SALU_CYCLE_1)
	s_and_not1_b32 vcc_lo, exec_lo, s0
	s_cbranch_vccnz .LBB51_2423
; %bb.2422:
	global_load_u16 v2, v[0:1], off
	s_wait_loadcnt 0x0
	v_cvt_f32_f16_e32 v43, v2
.LBB51_2423:
	s_mov_b32 s0, 0
.LBB51_2424:
	s_delay_alu instid0(SALU_CYCLE_1)
	s_and_not1_b32 vcc_lo, exec_lo, s0
	s_cbranch_vccnz .LBB51_2444
; %bb.2425:
	s_cmp_lt_i32 s53, 2
	s_cbranch_scc1 .LBB51_2429
; %bb.2426:
	s_cmp_lt_i32 s53, 3
	s_cbranch_scc1 .LBB51_2430
; %bb.2427:
	s_cmp_gt_i32 s53, 3
	s_cbranch_scc0 .LBB51_2431
; %bb.2428:
	global_load_b64 v[2:3], v[0:1], off
	s_mov_b32 s0, 0
	s_wait_loadcnt 0x0
	v_xor_b32_e32 v4, v2, v3
	v_cls_i32_e32 v5, v3
	s_delay_alu instid0(VALU_DEP_2) | instskip(NEXT) | instid1(VALU_DEP_1)
	v_ashrrev_i32_e32 v4, 31, v4
	v_add_nc_u32_e32 v4, 32, v4
	s_delay_alu instid0(VALU_DEP_1) | instskip(NEXT) | instid1(VALU_DEP_1)
	v_add_min_u32_e64 v4, v5, -1, v4
	v_lshlrev_b64_e32 v[2:3], v4, v[2:3]
	s_delay_alu instid0(VALU_DEP_1) | instskip(NEXT) | instid1(VALU_DEP_1)
	v_min_u32_e32 v2, 1, v2
	v_dual_sub_nc_u32 v3, 32, v4 :: v_dual_bitop2_b32 v2, v3, v2 bitop3:0x54
	s_delay_alu instid0(VALU_DEP_1) | instskip(NEXT) | instid1(VALU_DEP_1)
	v_cvt_f32_i32_e32 v2, v2
	v_ldexp_f32 v43, v2, v3
	s_branch .LBB51_2432
.LBB51_2429:
	s_mov_b32 s0, -1
                                        ; implicit-def: $vgpr43
	s_branch .LBB51_2438
.LBB51_2430:
	s_mov_b32 s0, -1
                                        ; implicit-def: $vgpr43
	s_branch .LBB51_2435
.LBB51_2431:
	s_mov_b32 s0, -1
                                        ; implicit-def: $vgpr43
.LBB51_2432:
	s_delay_alu instid0(SALU_CYCLE_1)
	s_and_not1_b32 vcc_lo, exec_lo, s0
	s_cbranch_vccnz .LBB51_2434
; %bb.2433:
	global_load_b32 v2, v[0:1], off
	s_wait_loadcnt 0x0
	v_cvt_f32_i32_e32 v43, v2
.LBB51_2434:
	s_mov_b32 s0, 0
.LBB51_2435:
	s_delay_alu instid0(SALU_CYCLE_1)
	s_and_not1_b32 vcc_lo, exec_lo, s0
	s_cbranch_vccnz .LBB51_2437
; %bb.2436:
	global_load_i16 v2, v[0:1], off
	s_wait_loadcnt 0x0
	v_cvt_f32_i32_e32 v43, v2
.LBB51_2437:
	s_mov_b32 s0, 0
.LBB51_2438:
	s_delay_alu instid0(SALU_CYCLE_1)
	s_and_not1_b32 vcc_lo, exec_lo, s0
	s_cbranch_vccnz .LBB51_2444
; %bb.2439:
	s_cmp_gt_i32 s53, 0
	s_mov_b32 s0, 0
	s_cbranch_scc0 .LBB51_2441
; %bb.2440:
	global_load_i8 v2, v[0:1], off
	s_wait_loadcnt 0x0
	v_cvt_f32_i32_e32 v43, v2
	s_branch .LBB51_2442
.LBB51_2441:
	s_mov_b32 s0, -1
                                        ; implicit-def: $vgpr43
.LBB51_2442:
	s_delay_alu instid0(SALU_CYCLE_1)
	s_and_not1_b32 vcc_lo, exec_lo, s0
	s_cbranch_vccnz .LBB51_2444
; %bb.2443:
	global_load_u8 v0, v[0:1], off
	s_wait_loadcnt 0x0
	v_cvt_f32_ubyte0_e32 v43, v0
.LBB51_2444:
	s_mov_b32 s2, -1
.LBB51_2445:
	s_delay_alu instid0(SALU_CYCLE_1)
	s_and_not1_b32 vcc_lo, exec_lo, s2
	s_cbranch_vccnz .LBB51_2715
; %bb.2446:
	s_and_b32 vcc_lo, exec_lo, s51
	s_cbranch_vccz .LBB51_2448
; %bb.2447:
	s_wait_loadcnt 0x0
	s_delay_alu instid0(VALU_DEP_1) | instskip(SKIP_2) | instid1(SALU_CYCLE_1)
	v_dual_mov_b32 v0, v40 :: v_dual_mov_b32 v1, v43
	s_get_pc_i64 s[0:1]
	s_add_nc_u64 s[0:1], s[0:1], _ZN12_GLOBAL__N_111calc_igammaIfEET_S1_S1_@rel64+4
	s_swap_pc_i64 s[30:31], s[0:1]
	s_delay_alu instid0(VALU_DEP_1)
	v_mov_b32_e32 v46, v0
	s_mov_b32 s0, 0
	s_branch .LBB51_2449
.LBB51_2448:
	s_mov_b32 s0, -1
                                        ; implicit-def: $vgpr46
.LBB51_2449:
	s_delay_alu instid0(SALU_CYCLE_1)
	s_and_not1_b32 vcc_lo, exec_lo, s0
	s_cbranch_vccnz .LBB51_2451
; %bb.2450:
	s_wait_loadcnt 0x0
	s_delay_alu instid0(VALU_DEP_1) | instskip(SKIP_2) | instid1(SALU_CYCLE_1)
	v_dual_mov_b32 v0, v40 :: v_dual_mov_b32 v1, v43
	s_get_pc_i64 s[0:1]
	s_add_nc_u64 s[0:1], s[0:1], _ZN12_GLOBAL__N_112calc_igammacIfEET_S1_S1_@rel64+4
	s_swap_pc_i64 s[30:31], s[0:1]
	s_delay_alu instid0(VALU_DEP_1)
	v_mov_b32_e32 v46, v0
.LBB51_2451:
	v_mov_b32_e32 v75, 0
	s_cmp_lt_i32 s52, 11
	s_wait_xcnt 0x0
	s_delay_alu instid0(VALU_DEP_1)
	v_add_nc_u64_e32 v[0:1], s[38:39], v[74:75]
	s_cbranch_scc1 .LBB51_2458
; %bb.2452:
	s_cmp_gt_i32 s52, 25
	s_mov_b32 s1, 0
	s_cbranch_scc0 .LBB51_2459
; %bb.2453:
	s_cmp_gt_i32 s52, 28
	s_cbranch_scc0 .LBB51_2460
; %bb.2454:
	s_cmp_gt_i32 s52, 43
	s_cbranch_scc0 .LBB51_2461
; %bb.2455:
	s_cmp_gt_i32 s52, 45
	s_cbranch_scc0 .LBB51_2463
; %bb.2456:
	s_cmp_eq_u32 s52, 46
	s_mov_b32 s3, 0
	s_cbranch_scc0 .LBB51_2464
; %bb.2457:
	global_load_b32 v2, v[0:1], off
	s_mov_b32 s0, 0
	s_mov_b32 s2, -1
	s_wait_loadcnt 0x0
	v_lshlrev_b32_e32 v40, 16, v2
	s_branch .LBB51_2466
.LBB51_2458:
	s_mov_b32 s0, -1
	s_mov_b32 s2, 0
                                        ; implicit-def: $vgpr40
	s_branch .LBB51_2532
.LBB51_2459:
	s_mov_b32 s3, -1
	s_mov_b32 s2, 0
	s_mov_b32 s0, 0
                                        ; implicit-def: $vgpr40
	s_branch .LBB51_2495
.LBB51_2460:
	s_mov_b32 s3, -1
	s_mov_b32 s2, 0
	s_mov_b32 s0, 0
                                        ; implicit-def: $vgpr40
	s_branch .LBB51_2476
.LBB51_2461:
	s_mov_b32 s3, -1
	s_mov_b32 s2, 0
	s_mov_b32 s0, 0
                                        ; implicit-def: $vgpr40
	s_branch .LBB51_2471
.LBB51_2462:
	s_or_b32 s50, s50, exec_lo
	s_trap 2
	s_cbranch_execz .LBB51_2394
	s_branch .LBB51_2395
.LBB51_2463:
	s_mov_b32 s3, -1
	s_mov_b32 s2, 0
	s_mov_b32 s0, 0
	s_branch .LBB51_2465
.LBB51_2464:
	s_mov_b32 s0, -1
	s_mov_b32 s2, 0
.LBB51_2465:
                                        ; implicit-def: $vgpr40
.LBB51_2466:
	s_and_b32 vcc_lo, exec_lo, s3
	s_cbranch_vccz .LBB51_2470
; %bb.2467:
	s_cmp_eq_u32 s52, 44
	s_cbranch_scc0 .LBB51_2469
; %bb.2468:
	global_load_u8 v2, v[0:1], off
	s_mov_b32 s0, 0
	s_mov_b32 s2, -1
	s_wait_loadcnt 0x0
	v_lshlrev_b32_e32 v3, 23, v2
	v_cmp_ne_u32_e32 vcc_lo, 0xff, v2
	s_delay_alu instid0(VALU_DEP_2) | instskip(SKIP_1) | instid1(VALU_DEP_2)
	v_cndmask_b32_e32 v3, 0x7f800001, v3, vcc_lo
	v_cmp_ne_u32_e32 vcc_lo, 0, v2
	v_cndmask_b32_e32 v40, 0x400000, v3, vcc_lo
	s_branch .LBB51_2470
.LBB51_2469:
	s_mov_b32 s0, -1
                                        ; implicit-def: $vgpr40
.LBB51_2470:
	s_mov_b32 s3, 0
.LBB51_2471:
	s_delay_alu instid0(SALU_CYCLE_1)
	s_and_b32 vcc_lo, exec_lo, s3
	s_cbranch_vccz .LBB51_2475
; %bb.2472:
	s_cmp_eq_u32 s52, 29
	s_cbranch_scc0 .LBB51_2474
; %bb.2473:
	global_load_b64 v[2:3], v[0:1], off
	s_mov_b32 s0, 0
	s_mov_b32 s2, -1
	s_mov_b32 s3, 0
	s_wait_loadcnt 0x0
	v_clz_i32_u32_e32 v4, v3
	s_delay_alu instid0(VALU_DEP_1) | instskip(NEXT) | instid1(VALU_DEP_1)
	v_min_u32_e32 v4, 32, v4
	v_lshlrev_b64_e32 v[2:3], v4, v[2:3]
	s_delay_alu instid0(VALU_DEP_1) | instskip(NEXT) | instid1(VALU_DEP_1)
	v_min_u32_e32 v2, 1, v2
	v_dual_sub_nc_u32 v3, 32, v4 :: v_dual_bitop2_b32 v2, v3, v2 bitop3:0x54
	s_delay_alu instid0(VALU_DEP_1) | instskip(NEXT) | instid1(VALU_DEP_1)
	v_cvt_f32_u32_e32 v2, v2
	v_ldexp_f32 v40, v2, v3
	s_branch .LBB51_2476
.LBB51_2474:
	s_mov_b32 s0, -1
                                        ; implicit-def: $vgpr40
.LBB51_2475:
	s_mov_b32 s3, 0
.LBB51_2476:
	s_delay_alu instid0(SALU_CYCLE_1)
	s_and_b32 vcc_lo, exec_lo, s3
	s_cbranch_vccz .LBB51_2494
; %bb.2477:
	s_cmp_lt_i32 s52, 27
	s_cbranch_scc1 .LBB51_2480
; %bb.2478:
	s_cmp_gt_i32 s52, 27
	s_cbranch_scc0 .LBB51_2481
; %bb.2479:
	global_load_b32 v2, v[0:1], off
	s_mov_b32 s2, 0
	s_wait_loadcnt 0x0
	v_cvt_f32_u32_e32 v40, v2
	s_branch .LBB51_2482
.LBB51_2480:
	s_mov_b32 s2, -1
                                        ; implicit-def: $vgpr40
	s_branch .LBB51_2485
.LBB51_2481:
	s_mov_b32 s2, -1
                                        ; implicit-def: $vgpr40
.LBB51_2482:
	s_delay_alu instid0(SALU_CYCLE_1)
	s_and_not1_b32 vcc_lo, exec_lo, s2
	s_cbranch_vccnz .LBB51_2484
; %bb.2483:
	global_load_u16 v2, v[0:1], off
	s_wait_loadcnt 0x0
	v_cvt_f32_u32_e32 v40, v2
.LBB51_2484:
	s_mov_b32 s2, 0
.LBB51_2485:
	s_delay_alu instid0(SALU_CYCLE_1)
	s_and_not1_b32 vcc_lo, exec_lo, s2
	s_cbranch_vccnz .LBB51_2493
; %bb.2486:
	global_load_u8 v2, v[0:1], off
	s_mov_b32 s2, 0
	s_mov_b32 s3, exec_lo
	s_wait_loadcnt 0x0
	v_cmpx_lt_i16_e32 0x7f, v2
	s_xor_b32 s3, exec_lo, s3
	s_cbranch_execz .LBB51_2507
; %bb.2487:
	s_mov_b32 s2, -1
	s_mov_b32 s4, exec_lo
	v_cmpx_eq_u16_e32 0x80, v2
; %bb.2488:
	s_xor_b32 s2, exec_lo, -1
; %bb.2489:
	s_or_b32 exec_lo, exec_lo, s4
	s_delay_alu instid0(SALU_CYCLE_1)
	s_and_b32 s2, s2, exec_lo
	s_or_saveexec_b32 s3, s3
	v_mov_b32_e32 v40, 0x7f800001
	s_xor_b32 exec_lo, exec_lo, s3
	s_cbranch_execnz .LBB51_2508
.LBB51_2490:
	s_or_b32 exec_lo, exec_lo, s3
	s_and_saveexec_b32 s3, s2
	s_cbranch_execz .LBB51_2492
.LBB51_2491:
	v_and_b32_e32 v3, 0xffff, v2
	s_delay_alu instid0(VALU_DEP_1) | instskip(SKIP_1) | instid1(VALU_DEP_2)
	v_and_b32_e32 v4, 7, v3
	v_bfe_u32 v7, v3, 3, 4
	v_clz_i32_u32_e32 v5, v4
	s_delay_alu instid0(VALU_DEP_2) | instskip(NEXT) | instid1(VALU_DEP_2)
	v_cmp_eq_u32_e32 vcc_lo, 0, v7
	v_min_u32_e32 v5, 32, v5
	s_delay_alu instid0(VALU_DEP_1) | instskip(NEXT) | instid1(VALU_DEP_1)
	v_subrev_nc_u32_e32 v6, 28, v5
	v_dual_lshlrev_b32 v3, v6, v3 :: v_dual_sub_nc_u32 v5, 29, v5
	s_delay_alu instid0(VALU_DEP_1) | instskip(NEXT) | instid1(VALU_DEP_1)
	v_dual_lshlrev_b32 v2, 24, v2 :: v_dual_bitop2_b32 v3, 7, v3 bitop3:0x40
	v_dual_cndmask_b32 v5, v7, v5, vcc_lo :: v_dual_cndmask_b32 v3, v4, v3, vcc_lo
	s_delay_alu instid0(VALU_DEP_2) | instskip(NEXT) | instid1(VALU_DEP_2)
	v_and_b32_e32 v2, 0x80000000, v2
	v_lshl_add_u32 v4, v5, 23, 0x3b800000
	s_delay_alu instid0(VALU_DEP_3) | instskip(NEXT) | instid1(VALU_DEP_1)
	v_lshlrev_b32_e32 v3, 20, v3
	v_or3_b32 v40, v2, v4, v3
.LBB51_2492:
	s_or_b32 exec_lo, exec_lo, s3
.LBB51_2493:
	s_mov_b32 s2, -1
.LBB51_2494:
	s_mov_b32 s3, 0
.LBB51_2495:
	s_delay_alu instid0(SALU_CYCLE_1)
	s_and_b32 vcc_lo, exec_lo, s3
	s_cbranch_vccz .LBB51_2528
; %bb.2496:
	s_cmp_gt_i32 s52, 22
	s_cbranch_scc0 .LBB51_2506
; %bb.2497:
	s_cmp_lt_i32 s52, 24
	s_cbranch_scc1 .LBB51_2509
; %bb.2498:
	s_cmp_gt_i32 s52, 24
	s_cbranch_scc0 .LBB51_2510
; %bb.2499:
	global_load_u8 v2, v[0:1], off
	s_mov_b32 s2, exec_lo
	s_wait_loadcnt 0x0
	v_cmpx_lt_i16_e32 0x7f, v2
	s_xor_b32 s2, exec_lo, s2
	s_cbranch_execz .LBB51_2522
; %bb.2500:
	s_mov_b32 s1, -1
	s_mov_b32 s3, exec_lo
	v_cmpx_eq_u16_e32 0x80, v2
; %bb.2501:
	s_xor_b32 s1, exec_lo, -1
; %bb.2502:
	s_or_b32 exec_lo, exec_lo, s3
	s_delay_alu instid0(SALU_CYCLE_1)
	s_and_b32 s1, s1, exec_lo
	s_or_saveexec_b32 s2, s2
	v_mov_b32_e32 v40, 0x7f800001
	s_xor_b32 exec_lo, exec_lo, s2
	s_cbranch_execnz .LBB51_2523
.LBB51_2503:
	s_or_b32 exec_lo, exec_lo, s2
	s_and_saveexec_b32 s2, s1
	s_cbranch_execz .LBB51_2505
.LBB51_2504:
	v_and_b32_e32 v3, 0xffff, v2
	s_delay_alu instid0(VALU_DEP_1) | instskip(SKIP_1) | instid1(VALU_DEP_2)
	v_and_b32_e32 v4, 3, v3
	v_bfe_u32 v7, v3, 2, 5
	v_clz_i32_u32_e32 v5, v4
	s_delay_alu instid0(VALU_DEP_2) | instskip(NEXT) | instid1(VALU_DEP_2)
	v_cmp_eq_u32_e32 vcc_lo, 0, v7
	v_min_u32_e32 v5, 32, v5
	s_delay_alu instid0(VALU_DEP_1) | instskip(NEXT) | instid1(VALU_DEP_1)
	v_subrev_nc_u32_e32 v6, 29, v5
	v_dual_lshlrev_b32 v3, v6, v3 :: v_dual_sub_nc_u32 v5, 30, v5
	s_delay_alu instid0(VALU_DEP_1) | instskip(NEXT) | instid1(VALU_DEP_1)
	v_dual_lshlrev_b32 v2, 24, v2 :: v_dual_bitop2_b32 v3, 3, v3 bitop3:0x40
	v_dual_cndmask_b32 v5, v7, v5, vcc_lo :: v_dual_cndmask_b32 v3, v4, v3, vcc_lo
	s_delay_alu instid0(VALU_DEP_2) | instskip(NEXT) | instid1(VALU_DEP_2)
	v_and_b32_e32 v2, 0x80000000, v2
	v_lshl_add_u32 v4, v5, 23, 0x37800000
	s_delay_alu instid0(VALU_DEP_3) | instskip(NEXT) | instid1(VALU_DEP_1)
	v_lshlrev_b32_e32 v3, 21, v3
	v_or3_b32 v40, v2, v4, v3
.LBB51_2505:
	s_or_b32 exec_lo, exec_lo, s2
	s_mov_b32 s1, 0
	s_branch .LBB51_2511
.LBB51_2506:
	s_mov_b32 s1, -1
                                        ; implicit-def: $vgpr40
	s_branch .LBB51_2517
.LBB51_2507:
	s_or_saveexec_b32 s3, s3
	v_mov_b32_e32 v40, 0x7f800001
	s_xor_b32 exec_lo, exec_lo, s3
	s_cbranch_execz .LBB51_2490
.LBB51_2508:
	v_cmp_ne_u16_e32 vcc_lo, 0, v2
	v_mov_b32_e32 v40, 0
	s_and_not1_b32 s2, s2, exec_lo
	s_and_b32 s4, vcc_lo, exec_lo
	s_delay_alu instid0(SALU_CYCLE_1)
	s_or_b32 s2, s2, s4
	s_or_b32 exec_lo, exec_lo, s3
	s_and_saveexec_b32 s3, s2
	s_cbranch_execnz .LBB51_2491
	s_branch .LBB51_2492
.LBB51_2509:
	s_mov_b32 s1, -1
                                        ; implicit-def: $vgpr40
	s_branch .LBB51_2514
.LBB51_2510:
	s_mov_b32 s1, -1
                                        ; implicit-def: $vgpr40
.LBB51_2511:
	s_delay_alu instid0(SALU_CYCLE_1)
	s_and_b32 vcc_lo, exec_lo, s1
	s_cbranch_vccz .LBB51_2513
; %bb.2512:
	global_load_u8 v2, v[0:1], off
	s_wait_loadcnt 0x0
	v_lshlrev_b32_e32 v2, 24, v2
	s_delay_alu instid0(VALU_DEP_1) | instskip(NEXT) | instid1(VALU_DEP_1)
	v_and_b32_e32 v3, 0x7f000000, v2
	v_clz_i32_u32_e32 v4, v3
	v_cmp_ne_u32_e32 vcc_lo, 0, v3
	v_add_nc_u32_e32 v6, 0x1000000, v3
	s_delay_alu instid0(VALU_DEP_3) | instskip(NEXT) | instid1(VALU_DEP_1)
	v_min_u32_e32 v4, 32, v4
	v_sub_nc_u32_e64 v4, v4, 4 clamp
	s_delay_alu instid0(VALU_DEP_1) | instskip(NEXT) | instid1(VALU_DEP_1)
	v_dual_lshlrev_b32 v5, v4, v3 :: v_dual_lshlrev_b32 v4, 23, v4
	v_lshrrev_b32_e32 v5, 4, v5
	s_delay_alu instid0(VALU_DEP_1) | instskip(NEXT) | instid1(VALU_DEP_1)
	v_dual_sub_nc_u32 v4, v5, v4 :: v_dual_ashrrev_i32 v5, 8, v6
	v_add_nc_u32_e32 v4, 0x3c000000, v4
	s_delay_alu instid0(VALU_DEP_1) | instskip(NEXT) | instid1(VALU_DEP_1)
	v_and_or_b32 v4, 0x7f800000, v5, v4
	v_cndmask_b32_e32 v3, 0, v4, vcc_lo
	s_delay_alu instid0(VALU_DEP_1)
	v_and_or_b32 v40, 0x80000000, v2, v3
.LBB51_2513:
	s_mov_b32 s1, 0
.LBB51_2514:
	s_delay_alu instid0(SALU_CYCLE_1)
	s_and_not1_b32 vcc_lo, exec_lo, s1
	s_cbranch_vccnz .LBB51_2516
; %bb.2515:
	global_load_u8 v2, v[0:1], off
	s_wait_loadcnt 0x0
	v_lshlrev_b32_e32 v3, 25, v2
	v_lshlrev_b16 v2, 8, v2
	s_delay_alu instid0(VALU_DEP_1) | instskip(SKIP_1) | instid1(VALU_DEP_2)
	v_and_or_b32 v5, 0x7f00, v2, 0.5
	v_bfe_i32 v2, v2, 0, 16
	v_dual_add_f32 v5, -0.5, v5 :: v_dual_lshrrev_b32 v4, 4, v3
	v_cmp_gt_u32_e32 vcc_lo, 0x8000000, v3
	s_delay_alu instid0(VALU_DEP_2) | instskip(NEXT) | instid1(VALU_DEP_1)
	v_or_b32_e32 v4, 0x70000000, v4
	v_mul_f32_e32 v4, 0x7800000, v4
	s_delay_alu instid0(VALU_DEP_1) | instskip(NEXT) | instid1(VALU_DEP_1)
	v_cndmask_b32_e32 v3, v4, v5, vcc_lo
	v_and_or_b32 v40, 0x80000000, v2, v3
.LBB51_2516:
	s_mov_b32 s1, 0
	s_mov_b32 s2, -1
.LBB51_2517:
	s_and_not1_b32 vcc_lo, exec_lo, s1
	s_mov_b32 s1, 0
	s_cbranch_vccnz .LBB51_2528
; %bb.2518:
	s_cmp_gt_i32 s52, 14
	s_cbranch_scc0 .LBB51_2521
; %bb.2519:
	s_cmp_eq_u32 s52, 15
	s_cbranch_scc0 .LBB51_2524
; %bb.2520:
	global_load_u16 v2, v[0:1], off
	s_mov_b32 s0, 0
	s_mov_b32 s2, -1
	s_wait_loadcnt 0x0
	v_lshlrev_b32_e32 v40, 16, v2
	s_branch .LBB51_2526
.LBB51_2521:
	s_mov_b32 s1, -1
	s_branch .LBB51_2525
.LBB51_2522:
	s_or_saveexec_b32 s2, s2
	v_mov_b32_e32 v40, 0x7f800001
	s_xor_b32 exec_lo, exec_lo, s2
	s_cbranch_execz .LBB51_2503
.LBB51_2523:
	v_cmp_ne_u16_e32 vcc_lo, 0, v2
	v_mov_b32_e32 v40, 0
	s_and_not1_b32 s1, s1, exec_lo
	s_and_b32 s3, vcc_lo, exec_lo
	s_delay_alu instid0(SALU_CYCLE_1)
	s_or_b32 s1, s1, s3
	s_or_b32 exec_lo, exec_lo, s2
	s_and_saveexec_b32 s2, s1
	s_cbranch_execnz .LBB51_2504
	s_branch .LBB51_2505
.LBB51_2524:
	s_mov_b32 s0, -1
.LBB51_2525:
                                        ; implicit-def: $vgpr40
.LBB51_2526:
	s_and_b32 vcc_lo, exec_lo, s1
	s_mov_b32 s1, 0
	s_cbranch_vccz .LBB51_2528
; %bb.2527:
	s_cmp_lg_u32 s52, 11
	s_mov_b32 s1, -1
	s_cselect_b32 s0, -1, 0
.LBB51_2528:
	s_delay_alu instid0(SALU_CYCLE_1)
	s_and_b32 vcc_lo, exec_lo, s0
	s_cbranch_vccnz .LBB51_2593
; %bb.2529:
	s_and_not1_b32 vcc_lo, exec_lo, s1
	s_cbranch_vccnz .LBB51_2531
.LBB51_2530:
	global_load_u8 v2, v[0:1], off
	s_mov_b32 s2, -1
	s_wait_loadcnt 0x0
	v_cmp_ne_u16_e32 vcc_lo, 0, v2
	v_cndmask_b32_e64 v40, 0, 1.0, vcc_lo
.LBB51_2531:
	s_mov_b32 s0, 0
.LBB51_2532:
	s_delay_alu instid0(SALU_CYCLE_1)
	s_and_b32 vcc_lo, exec_lo, s0
	s_cbranch_vccz .LBB51_2581
; %bb.2533:
	s_cmp_lt_i32 s52, 5
	s_cbranch_scc1 .LBB51_2538
; %bb.2534:
	s_cmp_lt_i32 s52, 8
	s_cbranch_scc1 .LBB51_2539
	;; [unrolled: 3-line block ×3, first 2 shown]
; %bb.2536:
	s_cmp_gt_i32 s52, 9
	s_cbranch_scc0 .LBB51_2541
; %bb.2537:
	global_load_b64 v[2:3], v[0:1], off
	s_mov_b32 s0, 0
	s_wait_loadcnt 0x0
	v_cvt_f32_f64_e32 v40, v[2:3]
	s_branch .LBB51_2542
.LBB51_2538:
	s_mov_b32 s0, -1
                                        ; implicit-def: $vgpr40
	s_branch .LBB51_2560
.LBB51_2539:
	s_mov_b32 s0, -1
                                        ; implicit-def: $vgpr40
	s_branch .LBB51_2548
.LBB51_2540:
	s_mov_b32 s0, -1
                                        ; implicit-def: $vgpr40
	s_branch .LBB51_2545
.LBB51_2541:
	s_mov_b32 s0, -1
                                        ; implicit-def: $vgpr40
.LBB51_2542:
	s_delay_alu instid0(SALU_CYCLE_1)
	s_and_not1_b32 vcc_lo, exec_lo, s0
	s_cbranch_vccnz .LBB51_2544
; %bb.2543:
	s_wait_loadcnt 0x0
	global_load_b32 v40, v[0:1], off
.LBB51_2544:
	s_mov_b32 s0, 0
.LBB51_2545:
	s_delay_alu instid0(SALU_CYCLE_1)
	s_and_not1_b32 vcc_lo, exec_lo, s0
	s_cbranch_vccnz .LBB51_2547
; %bb.2546:
	global_load_b32 v2, v[0:1], off
	s_wait_loadcnt 0x0
	v_cvt_f32_f16_e32 v40, v2
.LBB51_2547:
	s_mov_b32 s0, 0
.LBB51_2548:
	s_delay_alu instid0(SALU_CYCLE_1)
	s_and_not1_b32 vcc_lo, exec_lo, s0
	s_cbranch_vccnz .LBB51_2559
; %bb.2549:
	s_cmp_lt_i32 s52, 6
	s_cbranch_scc1 .LBB51_2552
; %bb.2550:
	s_cmp_gt_i32 s52, 6
	s_cbranch_scc0 .LBB51_2553
; %bb.2551:
	global_load_b64 v[2:3], v[0:1], off
	s_mov_b32 s0, 0
	s_wait_loadcnt 0x0
	v_cvt_f32_f64_e32 v40, v[2:3]
	s_branch .LBB51_2554
.LBB51_2552:
	s_mov_b32 s0, -1
                                        ; implicit-def: $vgpr40
	s_branch .LBB51_2557
.LBB51_2553:
	s_mov_b32 s0, -1
                                        ; implicit-def: $vgpr40
.LBB51_2554:
	s_delay_alu instid0(SALU_CYCLE_1)
	s_and_not1_b32 vcc_lo, exec_lo, s0
	s_cbranch_vccnz .LBB51_2556
; %bb.2555:
	s_wait_loadcnt 0x0
	global_load_b32 v40, v[0:1], off
.LBB51_2556:
	s_mov_b32 s0, 0
.LBB51_2557:
	s_delay_alu instid0(SALU_CYCLE_1)
	s_and_not1_b32 vcc_lo, exec_lo, s0
	s_cbranch_vccnz .LBB51_2559
; %bb.2558:
	global_load_u16 v2, v[0:1], off
	s_wait_loadcnt 0x0
	v_cvt_f32_f16_e32 v40, v2
.LBB51_2559:
	s_mov_b32 s0, 0
.LBB51_2560:
	s_delay_alu instid0(SALU_CYCLE_1)
	s_and_not1_b32 vcc_lo, exec_lo, s0
	s_cbranch_vccnz .LBB51_2580
; %bb.2561:
	s_cmp_lt_i32 s52, 2
	s_cbranch_scc1 .LBB51_2565
; %bb.2562:
	s_cmp_lt_i32 s52, 3
	s_cbranch_scc1 .LBB51_2566
; %bb.2563:
	s_cmp_gt_i32 s52, 3
	s_cbranch_scc0 .LBB51_2567
; %bb.2564:
	global_load_b64 v[2:3], v[0:1], off
	s_mov_b32 s0, 0
	s_wait_loadcnt 0x0
	v_xor_b32_e32 v4, v2, v3
	v_cls_i32_e32 v5, v3
	s_delay_alu instid0(VALU_DEP_2) | instskip(NEXT) | instid1(VALU_DEP_1)
	v_ashrrev_i32_e32 v4, 31, v4
	v_add_nc_u32_e32 v4, 32, v4
	s_delay_alu instid0(VALU_DEP_1) | instskip(NEXT) | instid1(VALU_DEP_1)
	v_add_min_u32_e64 v4, v5, -1, v4
	v_lshlrev_b64_e32 v[2:3], v4, v[2:3]
	s_delay_alu instid0(VALU_DEP_1) | instskip(NEXT) | instid1(VALU_DEP_1)
	v_min_u32_e32 v2, 1, v2
	v_dual_sub_nc_u32 v3, 32, v4 :: v_dual_bitop2_b32 v2, v3, v2 bitop3:0x54
	s_delay_alu instid0(VALU_DEP_1) | instskip(NEXT) | instid1(VALU_DEP_1)
	v_cvt_f32_i32_e32 v2, v2
	v_ldexp_f32 v40, v2, v3
	s_branch .LBB51_2568
.LBB51_2565:
	s_mov_b32 s0, -1
                                        ; implicit-def: $vgpr40
	s_branch .LBB51_2574
.LBB51_2566:
	s_mov_b32 s0, -1
                                        ; implicit-def: $vgpr40
	s_branch .LBB51_2571
.LBB51_2567:
	s_mov_b32 s0, -1
                                        ; implicit-def: $vgpr40
.LBB51_2568:
	s_delay_alu instid0(SALU_CYCLE_1)
	s_and_not1_b32 vcc_lo, exec_lo, s0
	s_cbranch_vccnz .LBB51_2570
; %bb.2569:
	global_load_b32 v2, v[0:1], off
	s_wait_loadcnt 0x0
	v_cvt_f32_i32_e32 v40, v2
.LBB51_2570:
	s_mov_b32 s0, 0
.LBB51_2571:
	s_delay_alu instid0(SALU_CYCLE_1)
	s_and_not1_b32 vcc_lo, exec_lo, s0
	s_cbranch_vccnz .LBB51_2573
; %bb.2572:
	global_load_i16 v2, v[0:1], off
	s_wait_loadcnt 0x0
	v_cvt_f32_i32_e32 v40, v2
.LBB51_2573:
	s_mov_b32 s0, 0
.LBB51_2574:
	s_delay_alu instid0(SALU_CYCLE_1)
	s_and_not1_b32 vcc_lo, exec_lo, s0
	s_cbranch_vccnz .LBB51_2580
; %bb.2575:
	s_cmp_gt_i32 s52, 0
	s_mov_b32 s0, 0
	s_cbranch_scc0 .LBB51_2577
; %bb.2576:
	global_load_i8 v2, v[0:1], off
	s_wait_loadcnt 0x0
	v_cvt_f32_i32_e32 v40, v2
	s_branch .LBB51_2578
.LBB51_2577:
	s_mov_b32 s0, -1
                                        ; implicit-def: $vgpr40
.LBB51_2578:
	s_delay_alu instid0(SALU_CYCLE_1)
	s_and_not1_b32 vcc_lo, exec_lo, s0
	s_cbranch_vccnz .LBB51_2580
; %bb.2579:
	global_load_u8 v0, v[0:1], off
	s_wait_loadcnt 0x0
	v_cvt_f32_ubyte0_e32 v40, v0
.LBB51_2580:
	s_mov_b32 s2, -1
.LBB51_2581:
	s_delay_alu instid0(SALU_CYCLE_1)
	s_and_not1_b32 vcc_lo, exec_lo, s2
	s_cbranch_vccnz .LBB51_2715
; %bb.2582:
	v_mov_b32_e32 v73, 0
	s_cmp_lt_i32 s53, 11
	s_wait_xcnt 0x0
	s_delay_alu instid0(VALU_DEP_1)
	v_add_nc_u64_e32 v[0:1], s[46:47], v[72:73]
	s_cbranch_scc1 .LBB51_2589
; %bb.2583:
	s_cmp_gt_i32 s53, 25
	s_mov_b32 s1, 0
	s_cbranch_scc0 .LBB51_2590
; %bb.2584:
	s_cmp_gt_i32 s53, 28
	s_cbranch_scc0 .LBB51_2591
; %bb.2585:
	s_cmp_gt_i32 s53, 43
	;; [unrolled: 3-line block ×3, first 2 shown]
	s_cbranch_scc0 .LBB51_2594
; %bb.2587:
	s_cmp_eq_u32 s53, 46
	s_mov_b32 s3, 0
	s_cbranch_scc0 .LBB51_2595
; %bb.2588:
	global_load_b32 v2, v[0:1], off
	s_mov_b32 s0, 0
	s_mov_b32 s2, -1
	s_wait_loadcnt 0x0
	v_lshlrev_b32_e32 v43, 16, v2
	s_branch .LBB51_2597
.LBB51_2589:
	s_mov_b32 s0, -1
	s_mov_b32 s2, 0
                                        ; implicit-def: $vgpr43
	s_branch .LBB51_2663
.LBB51_2590:
	s_mov_b32 s3, -1
	s_mov_b32 s2, 0
	s_mov_b32 s0, 0
                                        ; implicit-def: $vgpr43
	s_branch .LBB51_2626
.LBB51_2591:
	s_mov_b32 s3, -1
	s_mov_b32 s2, 0
	s_mov_b32 s0, 0
                                        ; implicit-def: $vgpr43
	s_branch .LBB51_2607
.LBB51_2592:
	s_mov_b32 s3, -1
	s_mov_b32 s2, 0
	s_mov_b32 s0, 0
                                        ; implicit-def: $vgpr43
	s_branch .LBB51_2602
.LBB51_2593:
	s_or_b32 s50, s50, exec_lo
	s_trap 2
	s_cbranch_execz .LBB51_2530
	s_branch .LBB51_2531
.LBB51_2594:
	s_mov_b32 s3, -1
	s_mov_b32 s2, 0
	s_mov_b32 s0, 0
	s_branch .LBB51_2596
.LBB51_2595:
	s_mov_b32 s0, -1
	s_mov_b32 s2, 0
.LBB51_2596:
                                        ; implicit-def: $vgpr43
.LBB51_2597:
	s_and_b32 vcc_lo, exec_lo, s3
	s_cbranch_vccz .LBB51_2601
; %bb.2598:
	s_cmp_eq_u32 s53, 44
	s_cbranch_scc0 .LBB51_2600
; %bb.2599:
	global_load_u8 v2, v[0:1], off
	s_mov_b32 s0, 0
	s_mov_b32 s2, -1
	s_wait_loadcnt 0x0
	v_lshlrev_b32_e32 v3, 23, v2
	v_cmp_ne_u32_e32 vcc_lo, 0xff, v2
	s_delay_alu instid0(VALU_DEP_2) | instskip(SKIP_1) | instid1(VALU_DEP_2)
	v_cndmask_b32_e32 v3, 0x7f800001, v3, vcc_lo
	v_cmp_ne_u32_e32 vcc_lo, 0, v2
	v_cndmask_b32_e32 v43, 0x400000, v3, vcc_lo
	s_branch .LBB51_2601
.LBB51_2600:
	s_mov_b32 s0, -1
                                        ; implicit-def: $vgpr43
.LBB51_2601:
	s_mov_b32 s3, 0
.LBB51_2602:
	s_delay_alu instid0(SALU_CYCLE_1)
	s_and_b32 vcc_lo, exec_lo, s3
	s_cbranch_vccz .LBB51_2606
; %bb.2603:
	s_cmp_eq_u32 s53, 29
	s_cbranch_scc0 .LBB51_2605
; %bb.2604:
	global_load_b64 v[2:3], v[0:1], off
	s_mov_b32 s0, 0
	s_mov_b32 s2, -1
	s_mov_b32 s3, 0
	s_wait_loadcnt 0x0
	v_clz_i32_u32_e32 v4, v3
	s_delay_alu instid0(VALU_DEP_1) | instskip(NEXT) | instid1(VALU_DEP_1)
	v_min_u32_e32 v4, 32, v4
	v_lshlrev_b64_e32 v[2:3], v4, v[2:3]
	s_delay_alu instid0(VALU_DEP_1) | instskip(NEXT) | instid1(VALU_DEP_1)
	v_min_u32_e32 v2, 1, v2
	v_dual_sub_nc_u32 v3, 32, v4 :: v_dual_bitop2_b32 v2, v3, v2 bitop3:0x54
	s_delay_alu instid0(VALU_DEP_1) | instskip(NEXT) | instid1(VALU_DEP_1)
	v_cvt_f32_u32_e32 v2, v2
	v_ldexp_f32 v43, v2, v3
	s_branch .LBB51_2607
.LBB51_2605:
	s_mov_b32 s0, -1
                                        ; implicit-def: $vgpr43
.LBB51_2606:
	s_mov_b32 s3, 0
.LBB51_2607:
	s_delay_alu instid0(SALU_CYCLE_1)
	s_and_b32 vcc_lo, exec_lo, s3
	s_cbranch_vccz .LBB51_2625
; %bb.2608:
	s_cmp_lt_i32 s53, 27
	s_cbranch_scc1 .LBB51_2611
; %bb.2609:
	s_cmp_gt_i32 s53, 27
	s_cbranch_scc0 .LBB51_2612
; %bb.2610:
	global_load_b32 v2, v[0:1], off
	s_mov_b32 s2, 0
	s_wait_loadcnt 0x0
	v_cvt_f32_u32_e32 v43, v2
	s_branch .LBB51_2613
.LBB51_2611:
	s_mov_b32 s2, -1
                                        ; implicit-def: $vgpr43
	s_branch .LBB51_2616
.LBB51_2612:
	s_mov_b32 s2, -1
                                        ; implicit-def: $vgpr43
.LBB51_2613:
	s_delay_alu instid0(SALU_CYCLE_1)
	s_and_not1_b32 vcc_lo, exec_lo, s2
	s_cbranch_vccnz .LBB51_2615
; %bb.2614:
	global_load_u16 v2, v[0:1], off
	s_wait_loadcnt 0x0
	v_cvt_f32_u32_e32 v43, v2
.LBB51_2615:
	s_mov_b32 s2, 0
.LBB51_2616:
	s_delay_alu instid0(SALU_CYCLE_1)
	s_and_not1_b32 vcc_lo, exec_lo, s2
	s_cbranch_vccnz .LBB51_2624
; %bb.2617:
	global_load_u8 v2, v[0:1], off
	s_mov_b32 s2, 0
	s_mov_b32 s3, exec_lo
	s_wait_loadcnt 0x0
	v_cmpx_lt_i16_e32 0x7f, v2
	s_xor_b32 s3, exec_lo, s3
	s_cbranch_execz .LBB51_2638
; %bb.2618:
	s_mov_b32 s2, -1
	s_mov_b32 s4, exec_lo
	v_cmpx_eq_u16_e32 0x80, v2
; %bb.2619:
	s_xor_b32 s2, exec_lo, -1
; %bb.2620:
	s_or_b32 exec_lo, exec_lo, s4
	s_delay_alu instid0(SALU_CYCLE_1)
	s_and_b32 s2, s2, exec_lo
	s_or_saveexec_b32 s3, s3
	v_mov_b32_e32 v43, 0x7f800001
	s_xor_b32 exec_lo, exec_lo, s3
	s_cbranch_execnz .LBB51_2639
.LBB51_2621:
	s_or_b32 exec_lo, exec_lo, s3
	s_and_saveexec_b32 s3, s2
	s_cbranch_execz .LBB51_2623
.LBB51_2622:
	v_and_b32_e32 v3, 0xffff, v2
	s_delay_alu instid0(VALU_DEP_1) | instskip(SKIP_1) | instid1(VALU_DEP_2)
	v_and_b32_e32 v4, 7, v3
	v_bfe_u32 v7, v3, 3, 4
	v_clz_i32_u32_e32 v5, v4
	s_delay_alu instid0(VALU_DEP_2) | instskip(NEXT) | instid1(VALU_DEP_2)
	v_cmp_eq_u32_e32 vcc_lo, 0, v7
	v_min_u32_e32 v5, 32, v5
	s_delay_alu instid0(VALU_DEP_1) | instskip(NEXT) | instid1(VALU_DEP_1)
	v_subrev_nc_u32_e32 v6, 28, v5
	v_dual_lshlrev_b32 v3, v6, v3 :: v_dual_sub_nc_u32 v5, 29, v5
	s_delay_alu instid0(VALU_DEP_1) | instskip(NEXT) | instid1(VALU_DEP_1)
	v_dual_lshlrev_b32 v2, 24, v2 :: v_dual_bitop2_b32 v3, 7, v3 bitop3:0x40
	v_dual_cndmask_b32 v5, v7, v5, vcc_lo :: v_dual_cndmask_b32 v3, v4, v3, vcc_lo
	s_delay_alu instid0(VALU_DEP_2) | instskip(NEXT) | instid1(VALU_DEP_2)
	v_and_b32_e32 v2, 0x80000000, v2
	v_lshl_add_u32 v4, v5, 23, 0x3b800000
	s_delay_alu instid0(VALU_DEP_3) | instskip(NEXT) | instid1(VALU_DEP_1)
	v_lshlrev_b32_e32 v3, 20, v3
	v_or3_b32 v43, v2, v4, v3
.LBB51_2623:
	s_or_b32 exec_lo, exec_lo, s3
.LBB51_2624:
	s_mov_b32 s2, -1
.LBB51_2625:
	s_mov_b32 s3, 0
.LBB51_2626:
	s_delay_alu instid0(SALU_CYCLE_1)
	s_and_b32 vcc_lo, exec_lo, s3
	s_cbranch_vccz .LBB51_2659
; %bb.2627:
	s_cmp_gt_i32 s53, 22
	s_cbranch_scc0 .LBB51_2637
; %bb.2628:
	s_cmp_lt_i32 s53, 24
	s_cbranch_scc1 .LBB51_2640
; %bb.2629:
	s_cmp_gt_i32 s53, 24
	s_cbranch_scc0 .LBB51_2641
; %bb.2630:
	global_load_u8 v2, v[0:1], off
	s_mov_b32 s2, exec_lo
	s_wait_loadcnt 0x0
	v_cmpx_lt_i16_e32 0x7f, v2
	s_xor_b32 s2, exec_lo, s2
	s_cbranch_execz .LBB51_2653
; %bb.2631:
	s_mov_b32 s1, -1
	s_mov_b32 s3, exec_lo
	v_cmpx_eq_u16_e32 0x80, v2
; %bb.2632:
	s_xor_b32 s1, exec_lo, -1
; %bb.2633:
	s_or_b32 exec_lo, exec_lo, s3
	s_delay_alu instid0(SALU_CYCLE_1)
	s_and_b32 s1, s1, exec_lo
	s_or_saveexec_b32 s2, s2
	v_mov_b32_e32 v43, 0x7f800001
	s_xor_b32 exec_lo, exec_lo, s2
	s_cbranch_execnz .LBB51_2654
.LBB51_2634:
	s_or_b32 exec_lo, exec_lo, s2
	s_and_saveexec_b32 s2, s1
	s_cbranch_execz .LBB51_2636
.LBB51_2635:
	v_and_b32_e32 v3, 0xffff, v2
	s_delay_alu instid0(VALU_DEP_1) | instskip(SKIP_1) | instid1(VALU_DEP_2)
	v_and_b32_e32 v4, 3, v3
	v_bfe_u32 v7, v3, 2, 5
	v_clz_i32_u32_e32 v5, v4
	s_delay_alu instid0(VALU_DEP_2) | instskip(NEXT) | instid1(VALU_DEP_2)
	v_cmp_eq_u32_e32 vcc_lo, 0, v7
	v_min_u32_e32 v5, 32, v5
	s_delay_alu instid0(VALU_DEP_1) | instskip(NEXT) | instid1(VALU_DEP_1)
	v_subrev_nc_u32_e32 v6, 29, v5
	v_dual_lshlrev_b32 v3, v6, v3 :: v_dual_sub_nc_u32 v5, 30, v5
	s_delay_alu instid0(VALU_DEP_1) | instskip(NEXT) | instid1(VALU_DEP_1)
	v_dual_lshlrev_b32 v2, 24, v2 :: v_dual_bitop2_b32 v3, 3, v3 bitop3:0x40
	v_dual_cndmask_b32 v5, v7, v5, vcc_lo :: v_dual_cndmask_b32 v3, v4, v3, vcc_lo
	s_delay_alu instid0(VALU_DEP_2) | instskip(NEXT) | instid1(VALU_DEP_2)
	v_and_b32_e32 v2, 0x80000000, v2
	v_lshl_add_u32 v4, v5, 23, 0x37800000
	s_delay_alu instid0(VALU_DEP_3) | instskip(NEXT) | instid1(VALU_DEP_1)
	v_lshlrev_b32_e32 v3, 21, v3
	v_or3_b32 v43, v2, v4, v3
.LBB51_2636:
	s_or_b32 exec_lo, exec_lo, s2
	s_mov_b32 s1, 0
	s_branch .LBB51_2642
.LBB51_2637:
	s_mov_b32 s1, -1
                                        ; implicit-def: $vgpr43
	s_branch .LBB51_2648
.LBB51_2638:
	s_or_saveexec_b32 s3, s3
	v_mov_b32_e32 v43, 0x7f800001
	s_xor_b32 exec_lo, exec_lo, s3
	s_cbranch_execz .LBB51_2621
.LBB51_2639:
	v_cmp_ne_u16_e32 vcc_lo, 0, v2
	v_mov_b32_e32 v43, 0
	s_and_not1_b32 s2, s2, exec_lo
	s_and_b32 s4, vcc_lo, exec_lo
	s_delay_alu instid0(SALU_CYCLE_1)
	s_or_b32 s2, s2, s4
	s_or_b32 exec_lo, exec_lo, s3
	s_and_saveexec_b32 s3, s2
	s_cbranch_execnz .LBB51_2622
	s_branch .LBB51_2623
.LBB51_2640:
	s_mov_b32 s1, -1
                                        ; implicit-def: $vgpr43
	s_branch .LBB51_2645
.LBB51_2641:
	s_mov_b32 s1, -1
                                        ; implicit-def: $vgpr43
.LBB51_2642:
	s_delay_alu instid0(SALU_CYCLE_1)
	s_and_b32 vcc_lo, exec_lo, s1
	s_cbranch_vccz .LBB51_2644
; %bb.2643:
	global_load_u8 v2, v[0:1], off
	s_wait_loadcnt 0x0
	v_lshlrev_b32_e32 v2, 24, v2
	s_delay_alu instid0(VALU_DEP_1) | instskip(NEXT) | instid1(VALU_DEP_1)
	v_and_b32_e32 v3, 0x7f000000, v2
	v_clz_i32_u32_e32 v4, v3
	v_cmp_ne_u32_e32 vcc_lo, 0, v3
	v_add_nc_u32_e32 v6, 0x1000000, v3
	s_delay_alu instid0(VALU_DEP_3) | instskip(NEXT) | instid1(VALU_DEP_1)
	v_min_u32_e32 v4, 32, v4
	v_sub_nc_u32_e64 v4, v4, 4 clamp
	s_delay_alu instid0(VALU_DEP_1) | instskip(NEXT) | instid1(VALU_DEP_1)
	v_dual_lshlrev_b32 v5, v4, v3 :: v_dual_lshlrev_b32 v4, 23, v4
	v_lshrrev_b32_e32 v5, 4, v5
	s_delay_alu instid0(VALU_DEP_1) | instskip(NEXT) | instid1(VALU_DEP_1)
	v_dual_sub_nc_u32 v4, v5, v4 :: v_dual_ashrrev_i32 v5, 8, v6
	v_add_nc_u32_e32 v4, 0x3c000000, v4
	s_delay_alu instid0(VALU_DEP_1) | instskip(NEXT) | instid1(VALU_DEP_1)
	v_and_or_b32 v4, 0x7f800000, v5, v4
	v_cndmask_b32_e32 v3, 0, v4, vcc_lo
	s_delay_alu instid0(VALU_DEP_1)
	v_and_or_b32 v43, 0x80000000, v2, v3
.LBB51_2644:
	s_mov_b32 s1, 0
.LBB51_2645:
	s_delay_alu instid0(SALU_CYCLE_1)
	s_and_not1_b32 vcc_lo, exec_lo, s1
	s_cbranch_vccnz .LBB51_2647
; %bb.2646:
	global_load_u8 v2, v[0:1], off
	s_wait_loadcnt 0x0
	v_lshlrev_b32_e32 v3, 25, v2
	v_lshlrev_b16 v2, 8, v2
	s_delay_alu instid0(VALU_DEP_1) | instskip(SKIP_1) | instid1(VALU_DEP_2)
	v_and_or_b32 v5, 0x7f00, v2, 0.5
	v_bfe_i32 v2, v2, 0, 16
	v_dual_add_f32 v5, -0.5, v5 :: v_dual_lshrrev_b32 v4, 4, v3
	v_cmp_gt_u32_e32 vcc_lo, 0x8000000, v3
	s_delay_alu instid0(VALU_DEP_2) | instskip(NEXT) | instid1(VALU_DEP_1)
	v_or_b32_e32 v4, 0x70000000, v4
	v_mul_f32_e32 v4, 0x7800000, v4
	s_delay_alu instid0(VALU_DEP_1) | instskip(NEXT) | instid1(VALU_DEP_1)
	v_cndmask_b32_e32 v3, v4, v5, vcc_lo
	v_and_or_b32 v43, 0x80000000, v2, v3
.LBB51_2647:
	s_mov_b32 s1, 0
	s_mov_b32 s2, -1
.LBB51_2648:
	s_and_not1_b32 vcc_lo, exec_lo, s1
	s_mov_b32 s1, 0
	s_cbranch_vccnz .LBB51_2659
; %bb.2649:
	s_cmp_gt_i32 s53, 14
	s_cbranch_scc0 .LBB51_2652
; %bb.2650:
	s_cmp_eq_u32 s53, 15
	s_cbranch_scc0 .LBB51_2655
; %bb.2651:
	global_load_u16 v2, v[0:1], off
	s_mov_b32 s0, 0
	s_mov_b32 s2, -1
	s_wait_loadcnt 0x0
	v_lshlrev_b32_e32 v43, 16, v2
	s_branch .LBB51_2657
.LBB51_2652:
	s_mov_b32 s1, -1
	s_branch .LBB51_2656
.LBB51_2653:
	s_or_saveexec_b32 s2, s2
	v_mov_b32_e32 v43, 0x7f800001
	s_xor_b32 exec_lo, exec_lo, s2
	s_cbranch_execz .LBB51_2634
.LBB51_2654:
	v_cmp_ne_u16_e32 vcc_lo, 0, v2
	v_mov_b32_e32 v43, 0
	s_and_not1_b32 s1, s1, exec_lo
	s_and_b32 s3, vcc_lo, exec_lo
	s_delay_alu instid0(SALU_CYCLE_1)
	s_or_b32 s1, s1, s3
	s_or_b32 exec_lo, exec_lo, s2
	s_and_saveexec_b32 s2, s1
	s_cbranch_execnz .LBB51_2635
	s_branch .LBB51_2636
.LBB51_2655:
	s_mov_b32 s0, -1
.LBB51_2656:
                                        ; implicit-def: $vgpr43
.LBB51_2657:
	s_and_b32 vcc_lo, exec_lo, s1
	s_mov_b32 s1, 0
	s_cbranch_vccz .LBB51_2659
; %bb.2658:
	s_cmp_lg_u32 s53, 11
	s_mov_b32 s1, -1
	s_cselect_b32 s0, -1, 0
.LBB51_2659:
	s_delay_alu instid0(SALU_CYCLE_1)
	s_and_b32 vcc_lo, exec_lo, s0
	s_cbranch_vccnz .LBB51_3198
; %bb.2660:
	s_and_not1_b32 vcc_lo, exec_lo, s1
	s_cbranch_vccnz .LBB51_2662
.LBB51_2661:
	global_load_u8 v2, v[0:1], off
	s_mov_b32 s2, -1
	s_wait_loadcnt 0x0
	v_cmp_ne_u16_e32 vcc_lo, 0, v2
	v_cndmask_b32_e64 v43, 0, 1.0, vcc_lo
.LBB51_2662:
	s_mov_b32 s0, 0
.LBB51_2663:
	s_delay_alu instid0(SALU_CYCLE_1)
	s_and_b32 vcc_lo, exec_lo, s0
	s_cbranch_vccz .LBB51_2712
; %bb.2664:
	s_cmp_lt_i32 s53, 5
	s_cbranch_scc1 .LBB51_2669
; %bb.2665:
	s_cmp_lt_i32 s53, 8
	s_cbranch_scc1 .LBB51_2670
	;; [unrolled: 3-line block ×3, first 2 shown]
; %bb.2667:
	s_cmp_gt_i32 s53, 9
	s_cbranch_scc0 .LBB51_2672
; %bb.2668:
	global_load_b64 v[2:3], v[0:1], off
	s_mov_b32 s0, 0
	s_wait_loadcnt 0x0
	v_cvt_f32_f64_e32 v43, v[2:3]
	s_branch .LBB51_2673
.LBB51_2669:
	s_mov_b32 s0, -1
                                        ; implicit-def: $vgpr43
	s_branch .LBB51_2691
.LBB51_2670:
	s_mov_b32 s0, -1
                                        ; implicit-def: $vgpr43
	s_branch .LBB51_2679
.LBB51_2671:
	s_mov_b32 s0, -1
                                        ; implicit-def: $vgpr43
	s_branch .LBB51_2676
.LBB51_2672:
	s_mov_b32 s0, -1
                                        ; implicit-def: $vgpr43
.LBB51_2673:
	s_delay_alu instid0(SALU_CYCLE_1)
	s_and_not1_b32 vcc_lo, exec_lo, s0
	s_cbranch_vccnz .LBB51_2675
; %bb.2674:
	s_wait_loadcnt 0x0
	global_load_b32 v43, v[0:1], off
.LBB51_2675:
	s_mov_b32 s0, 0
.LBB51_2676:
	s_delay_alu instid0(SALU_CYCLE_1)
	s_and_not1_b32 vcc_lo, exec_lo, s0
	s_cbranch_vccnz .LBB51_2678
; %bb.2677:
	global_load_b32 v2, v[0:1], off
	s_wait_loadcnt 0x0
	v_cvt_f32_f16_e32 v43, v2
.LBB51_2678:
	s_mov_b32 s0, 0
.LBB51_2679:
	s_delay_alu instid0(SALU_CYCLE_1)
	s_and_not1_b32 vcc_lo, exec_lo, s0
	s_cbranch_vccnz .LBB51_2690
; %bb.2680:
	s_cmp_lt_i32 s53, 6
	s_cbranch_scc1 .LBB51_2683
; %bb.2681:
	s_cmp_gt_i32 s53, 6
	s_cbranch_scc0 .LBB51_2684
; %bb.2682:
	global_load_b64 v[2:3], v[0:1], off
	s_mov_b32 s0, 0
	s_wait_loadcnt 0x0
	v_cvt_f32_f64_e32 v43, v[2:3]
	s_branch .LBB51_2685
.LBB51_2683:
	s_mov_b32 s0, -1
                                        ; implicit-def: $vgpr43
	s_branch .LBB51_2688
.LBB51_2684:
	s_mov_b32 s0, -1
                                        ; implicit-def: $vgpr43
.LBB51_2685:
	s_delay_alu instid0(SALU_CYCLE_1)
	s_and_not1_b32 vcc_lo, exec_lo, s0
	s_cbranch_vccnz .LBB51_2687
; %bb.2686:
	s_wait_loadcnt 0x0
	global_load_b32 v43, v[0:1], off
.LBB51_2687:
	s_mov_b32 s0, 0
.LBB51_2688:
	s_delay_alu instid0(SALU_CYCLE_1)
	s_and_not1_b32 vcc_lo, exec_lo, s0
	s_cbranch_vccnz .LBB51_2690
; %bb.2689:
	global_load_u16 v2, v[0:1], off
	s_wait_loadcnt 0x0
	v_cvt_f32_f16_e32 v43, v2
.LBB51_2690:
	s_mov_b32 s0, 0
.LBB51_2691:
	s_delay_alu instid0(SALU_CYCLE_1)
	s_and_not1_b32 vcc_lo, exec_lo, s0
	s_cbranch_vccnz .LBB51_2711
; %bb.2692:
	s_cmp_lt_i32 s53, 2
	s_cbranch_scc1 .LBB51_2696
; %bb.2693:
	s_cmp_lt_i32 s53, 3
	s_cbranch_scc1 .LBB51_2697
; %bb.2694:
	s_cmp_gt_i32 s53, 3
	s_cbranch_scc0 .LBB51_2698
; %bb.2695:
	global_load_b64 v[2:3], v[0:1], off
	s_mov_b32 s0, 0
	s_wait_loadcnt 0x0
	v_xor_b32_e32 v4, v2, v3
	v_cls_i32_e32 v5, v3
	s_delay_alu instid0(VALU_DEP_2) | instskip(NEXT) | instid1(VALU_DEP_1)
	v_ashrrev_i32_e32 v4, 31, v4
	v_add_nc_u32_e32 v4, 32, v4
	s_delay_alu instid0(VALU_DEP_1) | instskip(NEXT) | instid1(VALU_DEP_1)
	v_add_min_u32_e64 v4, v5, -1, v4
	v_lshlrev_b64_e32 v[2:3], v4, v[2:3]
	s_delay_alu instid0(VALU_DEP_1) | instskip(NEXT) | instid1(VALU_DEP_1)
	v_min_u32_e32 v2, 1, v2
	v_dual_sub_nc_u32 v3, 32, v4 :: v_dual_bitop2_b32 v2, v3, v2 bitop3:0x54
	s_delay_alu instid0(VALU_DEP_1) | instskip(NEXT) | instid1(VALU_DEP_1)
	v_cvt_f32_i32_e32 v2, v2
	v_ldexp_f32 v43, v2, v3
	s_branch .LBB51_2699
.LBB51_2696:
	s_mov_b32 s0, -1
                                        ; implicit-def: $vgpr43
	s_branch .LBB51_2705
.LBB51_2697:
	s_mov_b32 s0, -1
                                        ; implicit-def: $vgpr43
	s_branch .LBB51_2702
.LBB51_2698:
	s_mov_b32 s0, -1
                                        ; implicit-def: $vgpr43
.LBB51_2699:
	s_delay_alu instid0(SALU_CYCLE_1)
	s_and_not1_b32 vcc_lo, exec_lo, s0
	s_cbranch_vccnz .LBB51_2701
; %bb.2700:
	global_load_b32 v2, v[0:1], off
	s_wait_loadcnt 0x0
	v_cvt_f32_i32_e32 v43, v2
.LBB51_2701:
	s_mov_b32 s0, 0
.LBB51_2702:
	s_delay_alu instid0(SALU_CYCLE_1)
	s_and_not1_b32 vcc_lo, exec_lo, s0
	s_cbranch_vccnz .LBB51_2704
; %bb.2703:
	global_load_i16 v2, v[0:1], off
	s_wait_loadcnt 0x0
	v_cvt_f32_i32_e32 v43, v2
.LBB51_2704:
	s_mov_b32 s0, 0
.LBB51_2705:
	s_delay_alu instid0(SALU_CYCLE_1)
	s_and_not1_b32 vcc_lo, exec_lo, s0
	s_cbranch_vccnz .LBB51_2711
; %bb.2706:
	s_cmp_gt_i32 s53, 0
	s_mov_b32 s0, 0
	s_cbranch_scc0 .LBB51_2708
; %bb.2707:
	global_load_i8 v2, v[0:1], off
	s_wait_loadcnt 0x0
	v_cvt_f32_i32_e32 v43, v2
	s_branch .LBB51_2709
.LBB51_2708:
	s_mov_b32 s0, -1
                                        ; implicit-def: $vgpr43
.LBB51_2709:
	s_delay_alu instid0(SALU_CYCLE_1)
	s_and_not1_b32 vcc_lo, exec_lo, s0
	s_cbranch_vccnz .LBB51_2711
; %bb.2710:
	global_load_u8 v0, v[0:1], off
	s_wait_loadcnt 0x0
	v_cvt_f32_ubyte0_e32 v43, v0
.LBB51_2711:
	s_mov_b32 s2, -1
.LBB51_2712:
	s_delay_alu instid0(SALU_CYCLE_1)
	s_and_not1_b32 vcc_lo, exec_lo, s2
	s_cbranch_vccnz .LBB51_2715
; %bb.2713:
	s_and_b32 vcc_lo, exec_lo, s51
	s_cbranch_vccz .LBB51_2760
; %bb.2714:
	s_wait_loadcnt 0x0
	s_delay_alu instid0(VALU_DEP_1) | instskip(SKIP_2) | instid1(SALU_CYCLE_1)
	v_dual_mov_b32 v0, v40 :: v_dual_mov_b32 v1, v43
	s_get_pc_i64 s[0:1]
	s_add_nc_u64 s[0:1], s[0:1], _ZN12_GLOBAL__N_111calc_igammaIfEET_S1_S1_@rel64+4
	s_swap_pc_i64 s[30:31], s[0:1]
	s_mov_b32 s0, 0
	s_branch .LBB51_2761
.LBB51_2715:
	s_mov_b32 s0, 0
	s_mov_b32 s3, 0
                                        ; implicit-def: $vgpr2_vgpr3
                                        ; implicit-def: $sgpr1
                                        ; implicit-def: $vgpr0
.LBB51_2716:
	s_and_not1_b32 s2, s48, exec_lo
	s_and_b32 s4, s50, exec_lo
	s_and_b32 s0, s0, exec_lo
	;; [unrolled: 1-line block ×3, first 2 shown]
	s_or_b32 s48, s2, s4
.LBB51_2717:
	s_wait_xcnt 0x0
	s_or_b32 exec_lo, exec_lo, s49
	s_and_saveexec_b32 s2, s48
	s_cbranch_execz .LBB51_2720
; %bb.2718:
	; divergent unreachable
	s_or_b32 exec_lo, exec_lo, s2
	s_and_saveexec_b32 s2, s66
	s_delay_alu instid0(SALU_CYCLE_1)
	s_xor_b32 s2, exec_lo, s2
	s_cbranch_execnz .LBB51_2721
.LBB51_2719:
	s_or_b32 exec_lo, exec_lo, s2
	s_and_saveexec_b32 s2, s0
	s_cbranch_execnz .LBB51_2722
	s_branch .LBB51_2759
.LBB51_2720:
	s_or_b32 exec_lo, exec_lo, s2
	s_and_saveexec_b32 s2, s66
	s_delay_alu instid0(SALU_CYCLE_1)
	s_xor_b32 s2, exec_lo, s2
	s_cbranch_execz .LBB51_2719
.LBB51_2721:
	v_cmp_neq_f32_e32 vcc_lo, 0, v0
	v_cndmask_b32_e64 v1, 0, 1, vcc_lo
	global_store_b8 v[2:3], v1, off
	s_wait_xcnt 0x0
	s_or_b32 exec_lo, exec_lo, s2
	s_and_saveexec_b32 s2, s0
	s_cbranch_execz .LBB51_2759
.LBB51_2722:
	s_sext_i32_i16 s2, s1
	s_mov_b32 s0, -1
	s_cmp_lt_i32 s2, 5
	s_cbranch_scc1 .LBB51_2743
; %bb.2723:
	s_cmp_lt_i32 s2, 8
	s_cbranch_scc1 .LBB51_2733
; %bb.2724:
	;; [unrolled: 3-line block ×3, first 2 shown]
	s_cmp_gt_i32 s2, 9
	s_cbranch_scc0 .LBB51_2727
; %bb.2726:
	v_cvt_f64_f32_e32 v[4:5], v0
	v_mov_b32_e32 v6, 0
	s_mov_b32 s0, 0
	s_delay_alu instid0(VALU_DEP_1)
	v_mov_b32_e32 v7, v6
	global_store_b128 v[2:3], v[4:7], off
.LBB51_2727:
	s_and_not1_b32 vcc_lo, exec_lo, s0
	s_cbranch_vccnz .LBB51_2729
; %bb.2728:
	v_mov_b32_e32 v1, 0
	global_store_b64 v[2:3], v[0:1], off
.LBB51_2729:
	s_mov_b32 s0, 0
.LBB51_2730:
	s_delay_alu instid0(SALU_CYCLE_1)
	s_and_not1_b32 vcc_lo, exec_lo, s0
	s_cbranch_vccnz .LBB51_2732
; %bb.2731:
	s_wait_xcnt 0x0
	v_cvt_f16_f32_e32 v1, v0
	s_delay_alu instid0(VALU_DEP_1)
	v_and_b32_e32 v1, 0xffff, v1
	global_store_b32 v[2:3], v1, off
.LBB51_2732:
	s_mov_b32 s0, 0
.LBB51_2733:
	s_delay_alu instid0(SALU_CYCLE_1)
	s_and_not1_b32 vcc_lo, exec_lo, s0
	s_cbranch_vccnz .LBB51_2742
; %bb.2734:
	s_sext_i32_i16 s2, s1
	s_mov_b32 s0, -1
	s_cmp_lt_i32 s2, 6
	s_cbranch_scc1 .LBB51_2740
; %bb.2735:
	s_cmp_gt_i32 s2, 6
	s_cbranch_scc0 .LBB51_2737
; %bb.2736:
	s_wait_xcnt 0x0
	v_cvt_f64_f32_e32 v[4:5], v0
	s_mov_b32 s0, 0
	global_store_b64 v[2:3], v[4:5], off
.LBB51_2737:
	s_and_not1_b32 vcc_lo, exec_lo, s0
	s_cbranch_vccnz .LBB51_2739
; %bb.2738:
	global_store_b32 v[2:3], v0, off
.LBB51_2739:
	s_mov_b32 s0, 0
.LBB51_2740:
	s_delay_alu instid0(SALU_CYCLE_1)
	s_and_not1_b32 vcc_lo, exec_lo, s0
	s_cbranch_vccnz .LBB51_2742
; %bb.2741:
	s_wait_xcnt 0x0
	v_cvt_f16_f32_e32 v1, v0
	global_store_b16 v[2:3], v1, off
.LBB51_2742:
	s_mov_b32 s0, 0
.LBB51_2743:
	s_delay_alu instid0(SALU_CYCLE_1)
	s_and_not1_b32 vcc_lo, exec_lo, s0
	s_cbranch_vccnz .LBB51_2759
; %bb.2744:
	s_sext_i32_i16 s2, s1
	s_mov_b32 s0, -1
	s_cmp_lt_i32 s2, 2
	s_cbranch_scc1 .LBB51_2754
; %bb.2745:
	s_cmp_lt_i32 s2, 3
	s_cbranch_scc1 .LBB51_2751
; %bb.2746:
	s_cmp_gt_i32 s2, 3
	s_cbranch_scc0 .LBB51_2748
; %bb.2747:
	s_wait_xcnt 0x0
	v_trunc_f32_e32 v1, v0
	s_mov_b32 s0, 0
	s_delay_alu instid0(VALU_DEP_1) | instskip(NEXT) | instid1(VALU_DEP_1)
	v_mul_f32_e64 v4, 0x2f800000, |v1|
	v_floor_f32_e32 v5, v4
	v_ashrrev_i32_e32 v4, 31, v1
	s_delay_alu instid0(VALU_DEP_2) | instskip(SKIP_1) | instid1(VALU_DEP_3)
	v_fma_f32 v6, 0xcf800000, v5, |v1|
	v_cvt_u32_f32_e32 v1, v5
	v_mov_b32_e32 v5, v4
	s_delay_alu instid0(VALU_DEP_3) | instskip(NEXT) | instid1(VALU_DEP_3)
	v_cvt_u32_f32_e32 v6, v6
	v_xor_b32_e32 v7, v1, v4
	s_delay_alu instid0(VALU_DEP_2) | instskip(NEXT) | instid1(VALU_DEP_1)
	v_xor_b32_e32 v6, v6, v4
	v_sub_nc_u64_e32 v[4:5], v[6:7], v[4:5]
	global_store_b64 v[2:3], v[4:5], off
.LBB51_2748:
	s_and_not1_b32 vcc_lo, exec_lo, s0
	s_cbranch_vccnz .LBB51_2750
; %bb.2749:
	s_wait_xcnt 0x0
	v_cvt_i32_f32_e32 v1, v0
	global_store_b32 v[2:3], v1, off
.LBB51_2750:
	s_mov_b32 s0, 0
.LBB51_2751:
	s_delay_alu instid0(SALU_CYCLE_1)
	s_and_not1_b32 vcc_lo, exec_lo, s0
	s_cbranch_vccnz .LBB51_2753
; %bb.2752:
	s_wait_xcnt 0x0
	v_cvt_i32_f32_e32 v1, v0
	global_store_b16 v[2:3], v1, off
.LBB51_2753:
	s_mov_b32 s0, 0
.LBB51_2754:
	s_delay_alu instid0(SALU_CYCLE_1)
	s_and_not1_b32 vcc_lo, exec_lo, s0
	s_cbranch_vccnz .LBB51_2759
; %bb.2755:
	s_sext_i32_i16 s0, s1
	s_delay_alu instid0(SALU_CYCLE_1)
	s_cmp_gt_i32 s0, 0
	s_mov_b32 s0, -1
	s_cbranch_scc0 .LBB51_2757
; %bb.2756:
	s_wait_xcnt 0x0
	v_cvt_i32_f32_e32 v1, v0
	s_mov_b32 s0, 0
	global_store_b8 v[2:3], v1, off
.LBB51_2757:
	s_and_not1_b32 vcc_lo, exec_lo, s0
	s_cbranch_vccnz .LBB51_2759
; %bb.2758:
	s_wait_xcnt 0x0
	v_trunc_f32_e32 v0, v0
	s_delay_alu instid0(VALU_DEP_1) | instskip(NEXT) | instid1(VALU_DEP_1)
	v_mul_f32_e64 v1, 0x2f800000, |v0|
	v_floor_f32_e32 v1, v1
	s_delay_alu instid0(VALU_DEP_1) | instskip(SKIP_1) | instid1(VALU_DEP_2)
	v_fma_f32 v1, 0xcf800000, v1, |v0|
	v_ashrrev_i32_e32 v0, 31, v0
	v_cvt_u32_f32_e32 v1, v1
	s_delay_alu instid0(VALU_DEP_1) | instskip(NEXT) | instid1(VALU_DEP_1)
	v_xor_b32_e32 v1, v1, v0
	v_sub_nc_u32_e32 v0, v1, v0
	global_store_b8 v[2:3], v0, off
	s_endpgm
.LBB51_2759:
	s_endpgm
.LBB51_2760:
	s_mov_b32 s0, -1
                                        ; implicit-def: $vgpr0
.LBB51_2761:
	s_delay_alu instid0(SALU_CYCLE_1)
	s_and_not1_b32 vcc_lo, exec_lo, s0
	s_cbranch_vccnz .LBB51_2763
; %bb.2762:
	s_wait_loadcnt 0x0
	s_delay_alu instid0(VALU_DEP_1) | instskip(SKIP_2) | instid1(SALU_CYCLE_1)
	v_dual_mov_b32 v0, v40 :: v_dual_mov_b32 v1, v43
	s_get_pc_i64 s[0:1]
	s_add_nc_u64 s[0:1], s[0:1], _ZN12_GLOBAL__N_112calc_igammacIfEET_S1_S1_@rel64+4
	s_swap_pc_i64 s[30:31], s[0:1]
.LBB51_2763:
	v_mov_b32_e32 v63, 0
	global_load_u8 v1, v63, s[34:35] offset:417
	s_wait_loadcnt 0x0
	v_and_b32_e32 v2, 0xffff, v1
	v_readfirstlane_b32 s1, v1
	s_delay_alu instid0(VALU_DEP_2)
	v_cmp_gt_i32_e32 vcc_lo, 11, v2
	v_add_nc_u64_e32 v[2:3], s[36:37], v[62:63]
	s_cbranch_vccnz .LBB51_2841
; %bb.2764:
	s_and_b32 s2, 0xffff, s1
	s_mov_b32 s5, -1
	s_mov_b32 s3, 0
	s_cmp_gt_i32 s2, 25
	s_mov_b32 s4, 0
	s_mov_b32 s0, 0
	s_cbranch_scc0 .LBB51_2797
; %bb.2765:
	s_cmp_gt_i32 s2, 28
	s_cbranch_scc0 .LBB51_2780
; %bb.2766:
	s_cmp_gt_i32 s2, 43
	;; [unrolled: 3-line block ×3, first 2 shown]
	s_cbranch_scc0 .LBB51_2770
; %bb.2768:
	s_mov_b32 s0, -1
	s_mov_b32 s5, 0
	s_cmp_eq_u32 s2, 46
	s_cbranch_scc0 .LBB51_2770
; %bb.2769:
	v_bfe_u32 v1, v42, 16, 1
	v_cmp_o_f32_e32 vcc_lo, v42, v42
	s_mov_b32 s0, 0
	s_mov_b32 s4, -1
	s_delay_alu instid0(VALU_DEP_2) | instskip(NEXT) | instid1(VALU_DEP_1)
	v_add3_u32 v1, v42, v1, 0x7fff
	v_lshrrev_b32_e32 v1, 16, v1
	s_delay_alu instid0(VALU_DEP_1)
	v_cndmask_b32_e32 v1, 0x7fc0, v1, vcc_lo
	global_store_b32 v[2:3], v1, off
.LBB51_2770:
	s_and_b32 vcc_lo, exec_lo, s5
	s_cbranch_vccz .LBB51_2775
; %bb.2771:
	s_cmp_eq_u32 s2, 44
	s_mov_b32 s0, -1
	s_cbranch_scc0 .LBB51_2775
; %bb.2772:
	v_bfe_u32 v4, v42, 23, 8
	s_wait_xcnt 0x0
	v_mov_b32_e32 v1, 0xff
	s_mov_b32 s4, exec_lo
	s_delay_alu instid0(VALU_DEP_2)
	v_cmpx_ne_u32_e32 0xff, v4
	s_cbranch_execz .LBB51_2774
; %bb.2773:
	v_and_b32_e32 v1, 0x400000, v42
	v_and_or_b32 v4, 0x3fffff, v42, v4
	s_delay_alu instid0(VALU_DEP_2) | instskip(NEXT) | instid1(VALU_DEP_2)
	v_cmp_ne_u32_e32 vcc_lo, 0, v1
	v_cmp_ne_u32_e64 s0, 0, v4
	v_lshrrev_b32_e32 v1, 23, v42
	s_and_b32 s0, vcc_lo, s0
	s_delay_alu instid0(SALU_CYCLE_1) | instskip(NEXT) | instid1(VALU_DEP_1)
	v_cndmask_b32_e64 v4, 0, 1, s0
	v_add_nc_u32_e32 v1, v1, v4
.LBB51_2774:
	s_or_b32 exec_lo, exec_lo, s4
	s_mov_b32 s0, 0
	s_mov_b32 s4, -1
	global_store_b8 v[2:3], v1, off
.LBB51_2775:
	s_mov_b32 s5, 0
.LBB51_2776:
	s_delay_alu instid0(SALU_CYCLE_1)
	s_and_b32 vcc_lo, exec_lo, s5
	s_cbranch_vccz .LBB51_2779
; %bb.2777:
	s_cmp_eq_u32 s2, 29
	s_mov_b32 s0, -1
	s_cbranch_scc0 .LBB51_2779
; %bb.2778:
	s_wait_xcnt 0x0
	v_trunc_f32_e32 v1, v42
	s_mov_b32 s0, 0
	s_mov_b32 s4, -1
	s_delay_alu instid0(VALU_DEP_1) | instskip(NEXT) | instid1(VALU_DEP_1)
	v_mul_f32_e32 v4, 0x2f800000, v1
	v_floor_f32_e32 v4, v4
	s_delay_alu instid0(VALU_DEP_1) | instskip(SKIP_1) | instid1(VALU_DEP_2)
	v_fmamk_f32 v1, v4, 0xcf800000, v1
	v_cvt_u32_f32_e32 v5, v4
	v_cvt_u32_f32_e32 v4, v1
	global_store_b64 v[2:3], v[4:5], off
.LBB51_2779:
	s_mov_b32 s5, 0
.LBB51_2780:
	s_delay_alu instid0(SALU_CYCLE_1)
	s_and_b32 vcc_lo, exec_lo, s5
	s_cbranch_vccz .LBB51_2796
; %bb.2781:
	s_cmp_lt_i32 s2, 27
	s_mov_b32 s4, -1
	s_cbranch_scc1 .LBB51_2787
; %bb.2782:
	s_wait_xcnt 0x0
	v_cvt_u32_f32_e32 v1, v42
	s_cmp_gt_i32 s2, 27
	s_cbranch_scc0 .LBB51_2784
; %bb.2783:
	s_mov_b32 s4, 0
	global_store_b32 v[2:3], v1, off
.LBB51_2784:
	s_and_not1_b32 vcc_lo, exec_lo, s4
	s_cbranch_vccnz .LBB51_2786
; %bb.2785:
	global_store_b16 v[2:3], v1, off
.LBB51_2786:
	s_mov_b32 s4, 0
.LBB51_2787:
	s_delay_alu instid0(SALU_CYCLE_1)
	s_and_not1_b32 vcc_lo, exec_lo, s4
	s_cbranch_vccnz .LBB51_2795
; %bb.2788:
	s_wait_xcnt 0x0
	v_and_b32_e32 v1, 0x7fffffff, v42
	v_mov_b32_e32 v4, 0x80
	s_mov_b32 s4, exec_lo
	s_delay_alu instid0(VALU_DEP_2)
	v_cmpx_gt_u32_e32 0x43800000, v1
	s_cbranch_execz .LBB51_2794
; %bb.2789:
	v_cmp_lt_u32_e32 vcc_lo, 0x3bffffff, v1
	s_mov_b32 s5, 0
                                        ; implicit-def: $vgpr1
	s_and_saveexec_b32 s6, vcc_lo
	s_delay_alu instid0(SALU_CYCLE_1)
	s_xor_b32 s6, exec_lo, s6
	s_cbranch_execz .LBB51_3199
; %bb.2790:
	v_bfe_u32 v1, v42, 20, 1
	s_mov_b32 s5, exec_lo
	s_delay_alu instid0(VALU_DEP_1) | instskip(NEXT) | instid1(VALU_DEP_1)
	v_add3_u32 v1, v42, v1, 0x487ffff
	v_lshrrev_b32_e32 v1, 20, v1
	s_and_not1_saveexec_b32 s6, s6
	s_cbranch_execnz .LBB51_3200
.LBB51_2791:
	s_or_b32 exec_lo, exec_lo, s6
	v_mov_b32_e32 v4, 0
	s_and_saveexec_b32 s6, s5
.LBB51_2792:
	v_lshrrev_b32_e32 v4, 24, v42
	s_delay_alu instid0(VALU_DEP_1)
	v_and_or_b32 v4, 0x80, v4, v1
.LBB51_2793:
	s_or_b32 exec_lo, exec_lo, s6
.LBB51_2794:
	s_delay_alu instid0(SALU_CYCLE_1)
	s_or_b32 exec_lo, exec_lo, s4
	global_store_b8 v[2:3], v4, off
.LBB51_2795:
	s_mov_b32 s4, -1
.LBB51_2796:
	s_mov_b32 s5, 0
.LBB51_2797:
	s_delay_alu instid0(SALU_CYCLE_1)
	s_and_b32 vcc_lo, exec_lo, s5
	s_cbranch_vccz .LBB51_2837
; %bb.2798:
	s_cmp_gt_i32 s2, 22
	s_mov_b32 s3, -1
	s_cbranch_scc0 .LBB51_2830
; %bb.2799:
	s_cmp_lt_i32 s2, 24
	s_cbranch_scc1 .LBB51_2819
; %bb.2800:
	s_cmp_gt_i32 s2, 24
	s_cbranch_scc0 .LBB51_2808
; %bb.2801:
	s_wait_xcnt 0x0
	v_and_b32_e32 v1, 0x7fffffff, v42
	v_mov_b32_e32 v4, 0x80
	s_mov_b32 s3, exec_lo
	s_delay_alu instid0(VALU_DEP_2)
	v_cmpx_gt_u32_e32 0x47800000, v1
	s_cbranch_execz .LBB51_2807
; %bb.2802:
	v_cmp_lt_u32_e32 vcc_lo, 0x37ffffff, v1
	s_mov_b32 s4, 0
                                        ; implicit-def: $vgpr1
	s_and_saveexec_b32 s5, vcc_lo
	s_delay_alu instid0(SALU_CYCLE_1)
	s_xor_b32 s5, exec_lo, s5
	s_cbranch_execz .LBB51_3202
; %bb.2803:
	v_bfe_u32 v1, v42, 21, 1
	s_mov_b32 s4, exec_lo
	s_delay_alu instid0(VALU_DEP_1) | instskip(NEXT) | instid1(VALU_DEP_1)
	v_add3_u32 v1, v42, v1, 0x88fffff
	v_lshrrev_b32_e32 v1, 21, v1
	s_and_not1_saveexec_b32 s5, s5
	s_cbranch_execnz .LBB51_3203
.LBB51_2804:
	s_or_b32 exec_lo, exec_lo, s5
	v_mov_b32_e32 v4, 0
	s_and_saveexec_b32 s5, s4
.LBB51_2805:
	v_lshrrev_b32_e32 v4, 24, v42
	s_delay_alu instid0(VALU_DEP_1)
	v_and_or_b32 v4, 0x80, v4, v1
.LBB51_2806:
	s_or_b32 exec_lo, exec_lo, s5
.LBB51_2807:
	s_delay_alu instid0(SALU_CYCLE_1)
	s_or_b32 exec_lo, exec_lo, s3
	s_mov_b32 s3, 0
	global_store_b8 v[2:3], v4, off
.LBB51_2808:
	s_and_b32 vcc_lo, exec_lo, s3
	s_cbranch_vccz .LBB51_2818
; %bb.2809:
	s_wait_xcnt 0x0
	v_and_b32_e32 v4, 0x7fffffff, v42
	s_mov_b32 s3, exec_lo
                                        ; implicit-def: $vgpr1
	s_delay_alu instid0(VALU_DEP_1)
	v_cmpx_gt_u32_e32 0x43f00000, v4
	s_xor_b32 s3, exec_lo, s3
	s_cbranch_execz .LBB51_2815
; %bb.2810:
	s_mov_b32 s4, exec_lo
                                        ; implicit-def: $vgpr1
	v_cmpx_lt_u32_e32 0x3c7fffff, v4
	s_xor_b32 s4, exec_lo, s4
; %bb.2811:
	v_bfe_u32 v1, v42, 20, 1
	s_delay_alu instid0(VALU_DEP_1) | instskip(NEXT) | instid1(VALU_DEP_1)
	v_add3_u32 v1, v42, v1, 0x407ffff
	v_and_b32_e32 v4, 0xff00000, v1
	v_lshrrev_b32_e32 v1, 20, v1
	s_delay_alu instid0(VALU_DEP_2) | instskip(NEXT) | instid1(VALU_DEP_2)
	v_cmp_ne_u32_e32 vcc_lo, 0x7f00000, v4
	v_cndmask_b32_e32 v1, 0x7e, v1, vcc_lo
; %bb.2812:
	s_and_not1_saveexec_b32 s4, s4
; %bb.2813:
	v_add_f32_e64 v1, 0x46800000, |v42|
; %bb.2814:
	s_or_b32 exec_lo, exec_lo, s4
                                        ; implicit-def: $vgpr4
.LBB51_2815:
	s_and_not1_saveexec_b32 s3, s3
; %bb.2816:
	v_mov_b32_e32 v1, 0x7f
	v_cmp_lt_u32_e32 vcc_lo, 0x7f800000, v4
	s_delay_alu instid0(VALU_DEP_2)
	v_cndmask_b32_e32 v1, 0x7e, v1, vcc_lo
; %bb.2817:
	s_or_b32 exec_lo, exec_lo, s3
	v_lshrrev_b32_e32 v4, 24, v42
	s_delay_alu instid0(VALU_DEP_1)
	v_and_or_b32 v1, 0x80, v4, v1
	global_store_b8 v[2:3], v1, off
.LBB51_2818:
	s_mov_b32 s3, 0
.LBB51_2819:
	s_delay_alu instid0(SALU_CYCLE_1)
	s_and_not1_b32 vcc_lo, exec_lo, s3
	s_cbranch_vccnz .LBB51_2829
; %bb.2820:
	s_wait_xcnt 0x0
	v_and_b32_e32 v4, 0x7fffffff, v42
	s_mov_b32 s3, exec_lo
                                        ; implicit-def: $vgpr1
	s_delay_alu instid0(VALU_DEP_1)
	v_cmpx_gt_u32_e32 0x47800000, v4
	s_xor_b32 s3, exec_lo, s3
	s_cbranch_execz .LBB51_2826
; %bb.2821:
	s_mov_b32 s4, exec_lo
                                        ; implicit-def: $vgpr1
	v_cmpx_lt_u32_e32 0x387fffff, v4
	s_xor_b32 s4, exec_lo, s4
; %bb.2822:
	v_bfe_u32 v1, v42, 21, 1
	s_delay_alu instid0(VALU_DEP_1) | instskip(NEXT) | instid1(VALU_DEP_1)
	v_add3_u32 v1, v42, v1, 0x80fffff
	v_lshrrev_b32_e32 v1, 21, v1
; %bb.2823:
	s_and_not1_saveexec_b32 s4, s4
; %bb.2824:
	v_add_f32_e64 v1, 0x43000000, |v42|
; %bb.2825:
	s_or_b32 exec_lo, exec_lo, s4
                                        ; implicit-def: $vgpr4
.LBB51_2826:
	s_and_not1_saveexec_b32 s3, s3
; %bb.2827:
	v_mov_b32_e32 v1, 0x7f
	v_cmp_lt_u32_e32 vcc_lo, 0x7f800000, v4
	s_delay_alu instid0(VALU_DEP_2)
	v_cndmask_b32_e32 v1, 0x7c, v1, vcc_lo
; %bb.2828:
	s_or_b32 exec_lo, exec_lo, s3
	v_lshrrev_b32_e32 v4, 24, v42
	s_delay_alu instid0(VALU_DEP_1)
	v_and_or_b32 v1, 0x80, v4, v1
	global_store_b8 v[2:3], v1, off
.LBB51_2829:
	s_mov_b32 s3, 0
	s_mov_b32 s4, -1
.LBB51_2830:
	s_and_not1_b32 vcc_lo, exec_lo, s3
	s_mov_b32 s3, 0
	s_cbranch_vccnz .LBB51_2837
; %bb.2831:
	s_cmp_gt_i32 s2, 14
	s_mov_b32 s3, -1
	s_cbranch_scc0 .LBB51_2835
; %bb.2832:
	s_cmp_eq_u32 s2, 15
	s_mov_b32 s0, -1
	s_cbranch_scc0 .LBB51_2834
; %bb.2833:
	s_wait_xcnt 0x0
	v_bfe_u32 v1, v42, 16, 1
	v_cmp_o_f32_e32 vcc_lo, v42, v42
	s_mov_b32 s0, 0
	s_mov_b32 s4, -1
	s_delay_alu instid0(VALU_DEP_2) | instskip(NEXT) | instid1(VALU_DEP_1)
	v_add3_u32 v1, v42, v1, 0x7fff
	v_lshrrev_b32_e32 v1, 16, v1
	s_delay_alu instid0(VALU_DEP_1)
	v_cndmask_b32_e32 v1, 0x7fc0, v1, vcc_lo
	global_store_b16 v[2:3], v1, off
.LBB51_2834:
	s_mov_b32 s3, 0
.LBB51_2835:
	s_delay_alu instid0(SALU_CYCLE_1)
	s_and_b32 vcc_lo, exec_lo, s3
	s_mov_b32 s3, 0
	s_cbranch_vccz .LBB51_2837
; %bb.2836:
	s_cmp_lg_u32 s2, 11
	s_mov_b32 s3, -1
	s_cselect_b32 s0, -1, 0
.LBB51_2837:
	s_delay_alu instid0(SALU_CYCLE_1)
	s_and_b32 vcc_lo, exec_lo, s0
	s_cbranch_vccnz .LBB51_3201
; %bb.2838:
	s_and_not1_b32 vcc_lo, exec_lo, s3
	s_cbranch_vccnz .LBB51_2840
.LBB51_2839:
	v_cmp_neq_f32_e32 vcc_lo, 0, v42
	s_mov_b32 s4, -1
	s_wait_xcnt 0x0
	v_cndmask_b32_e64 v1, 0, 1, vcc_lo
	global_store_b8 v[2:3], v1, off
.LBB51_2840:
	s_mov_b32 s0, 0
	s_branch .LBB51_2842
.LBB51_2841:
	s_mov_b32 s0, -1
	s_mov_b32 s4, 0
.LBB51_2842:
	s_and_b32 vcc_lo, exec_lo, s0
	s_cbranch_vccz .LBB51_2881
; %bb.2843:
	s_and_b32 s0, 0xffff, s1
	s_mov_b32 s2, -1
	s_cmp_lt_i32 s0, 5
	s_cbranch_scc1 .LBB51_2864
; %bb.2844:
	s_cmp_lt_i32 s0, 8
	s_cbranch_scc1 .LBB51_2854
; %bb.2845:
	;; [unrolled: 3-line block ×3, first 2 shown]
	s_cmp_gt_i32 s0, 9
	s_cbranch_scc0 .LBB51_2848
; %bb.2847:
	s_wait_xcnt 0x0
	v_cvt_f64_f32_e32 v[4:5], v42
	v_mov_b32_e32 v6, 0
	s_mov_b32 s2, 0
	s_delay_alu instid0(VALU_DEP_1)
	v_mov_b32_e32 v7, v6
	global_store_b128 v[2:3], v[4:7], off
.LBB51_2848:
	s_and_not1_b32 vcc_lo, exec_lo, s2
	s_cbranch_vccnz .LBB51_2850
; %bb.2849:
	v_mov_b32_e32 v43, 0
	global_store_b64 v[2:3], v[42:43], off
.LBB51_2850:
	s_mov_b32 s2, 0
.LBB51_2851:
	s_delay_alu instid0(SALU_CYCLE_1)
	s_and_not1_b32 vcc_lo, exec_lo, s2
	s_cbranch_vccnz .LBB51_2853
; %bb.2852:
	s_wait_xcnt 0x0
	v_cvt_f16_f32_e32 v1, v42
	s_delay_alu instid0(VALU_DEP_1)
	v_and_b32_e32 v1, 0xffff, v1
	global_store_b32 v[2:3], v1, off
.LBB51_2853:
	s_mov_b32 s2, 0
.LBB51_2854:
	s_delay_alu instid0(SALU_CYCLE_1)
	s_and_not1_b32 vcc_lo, exec_lo, s2
	s_cbranch_vccnz .LBB51_2863
; %bb.2855:
	s_cmp_lt_i32 s0, 6
	s_mov_b32 s2, -1
	s_cbranch_scc1 .LBB51_2861
; %bb.2856:
	s_cmp_gt_i32 s0, 6
	s_cbranch_scc0 .LBB51_2858
; %bb.2857:
	s_wait_xcnt 0x0
	v_cvt_f64_f32_e32 v[4:5], v42
	s_mov_b32 s2, 0
	global_store_b64 v[2:3], v[4:5], off
.LBB51_2858:
	s_and_not1_b32 vcc_lo, exec_lo, s2
	s_cbranch_vccnz .LBB51_2860
; %bb.2859:
	global_store_b32 v[2:3], v42, off
.LBB51_2860:
	s_mov_b32 s2, 0
.LBB51_2861:
	s_delay_alu instid0(SALU_CYCLE_1)
	s_and_not1_b32 vcc_lo, exec_lo, s2
	s_cbranch_vccnz .LBB51_2863
; %bb.2862:
	s_wait_xcnt 0x0
	v_cvt_f16_f32_e32 v1, v42
	global_store_b16 v[2:3], v1, off
.LBB51_2863:
	s_mov_b32 s2, 0
.LBB51_2864:
	s_delay_alu instid0(SALU_CYCLE_1)
	s_and_not1_b32 vcc_lo, exec_lo, s2
	s_cbranch_vccnz .LBB51_2880
; %bb.2865:
	s_cmp_lt_i32 s0, 2
	s_mov_b32 s2, -1
	s_cbranch_scc1 .LBB51_2875
; %bb.2866:
	s_cmp_lt_i32 s0, 3
	s_cbranch_scc1 .LBB51_2872
; %bb.2867:
	s_cmp_gt_i32 s0, 3
	s_cbranch_scc0 .LBB51_2869
; %bb.2868:
	s_wait_xcnt 0x0
	v_trunc_f32_e32 v1, v42
	s_mov_b32 s2, 0
	s_delay_alu instid0(VALU_DEP_1) | instskip(NEXT) | instid1(VALU_DEP_1)
	v_mul_f32_e64 v4, 0x2f800000, |v1|
	v_floor_f32_e32 v5, v4
	v_ashrrev_i32_e32 v4, 31, v1
	s_delay_alu instid0(VALU_DEP_2) | instskip(SKIP_1) | instid1(VALU_DEP_3)
	v_fma_f32 v6, 0xcf800000, v5, |v1|
	v_cvt_u32_f32_e32 v1, v5
	v_mov_b32_e32 v5, v4
	s_delay_alu instid0(VALU_DEP_3) | instskip(NEXT) | instid1(VALU_DEP_3)
	v_cvt_u32_f32_e32 v6, v6
	v_xor_b32_e32 v7, v1, v4
	s_delay_alu instid0(VALU_DEP_2) | instskip(NEXT) | instid1(VALU_DEP_1)
	v_xor_b32_e32 v6, v6, v4
	v_sub_nc_u64_e32 v[4:5], v[6:7], v[4:5]
	global_store_b64 v[2:3], v[4:5], off
.LBB51_2869:
	s_and_not1_b32 vcc_lo, exec_lo, s2
	s_cbranch_vccnz .LBB51_2871
; %bb.2870:
	s_wait_xcnt 0x0
	v_cvt_i32_f32_e32 v1, v42
	global_store_b32 v[2:3], v1, off
.LBB51_2871:
	s_mov_b32 s2, 0
.LBB51_2872:
	s_delay_alu instid0(SALU_CYCLE_1)
	s_and_not1_b32 vcc_lo, exec_lo, s2
	s_cbranch_vccnz .LBB51_2874
; %bb.2873:
	s_wait_xcnt 0x0
	v_cvt_i32_f32_e32 v1, v42
	global_store_b16 v[2:3], v1, off
.LBB51_2874:
	s_mov_b32 s2, 0
.LBB51_2875:
	s_delay_alu instid0(SALU_CYCLE_1)
	s_and_not1_b32 vcc_lo, exec_lo, s2
	s_cbranch_vccnz .LBB51_2880
; %bb.2876:
	s_cmp_gt_i32 s0, 0
	s_mov_b32 s0, -1
	s_cbranch_scc0 .LBB51_2878
; %bb.2877:
	s_wait_xcnt 0x0
	v_cvt_i32_f32_e32 v1, v42
	s_mov_b32 s0, 0
	global_store_b8 v[2:3], v1, off
.LBB51_2878:
	s_and_not1_b32 vcc_lo, exec_lo, s0
	s_cbranch_vccnz .LBB51_2880
; %bb.2879:
	s_wait_xcnt 0x0
	v_trunc_f32_e32 v1, v42
	s_delay_alu instid0(VALU_DEP_1) | instskip(NEXT) | instid1(VALU_DEP_1)
	v_mul_f32_e64 v4, 0x2f800000, |v1|
	v_floor_f32_e32 v4, v4
	s_delay_alu instid0(VALU_DEP_1) | instskip(SKIP_1) | instid1(VALU_DEP_2)
	v_fma_f32 v4, 0xcf800000, v4, |v1|
	v_ashrrev_i32_e32 v1, 31, v1
	v_cvt_u32_f32_e32 v4, v4
	s_delay_alu instid0(VALU_DEP_1) | instskip(NEXT) | instid1(VALU_DEP_1)
	v_xor_b32_e32 v4, v4, v1
	v_sub_nc_u32_e32 v1, v4, v1
	global_store_b8 v[2:3], v1, off
.LBB51_2880:
	s_mov_b32 s4, -1
.LBB51_2881:
	s_delay_alu instid0(SALU_CYCLE_1)
	s_and_not1_b32 vcc_lo, exec_lo, s4
	s_cbranch_vccnz .LBB51_3196
; %bb.2882:
	v_mov_b32_e32 v61, 0
	s_and_b32 s2, 0xffff, s1
	s_delay_alu instid0(SALU_CYCLE_1) | instskip(SKIP_1) | instid1(VALU_DEP_1)
	s_cmp_lt_i32 s2, 11
	s_wait_xcnt 0x0
	v_add_nc_u64_e32 v[2:3], s[36:37], v[60:61]
	s_cbranch_scc1 .LBB51_2960
; %bb.2883:
	s_mov_b32 s5, -1
	s_mov_b32 s3, 0
	s_cmp_gt_i32 s2, 25
	s_mov_b32 s4, 0
	s_mov_b32 s0, 0
	s_cbranch_scc0 .LBB51_2916
; %bb.2884:
	s_cmp_gt_i32 s2, 28
	s_cbranch_scc0 .LBB51_2899
; %bb.2885:
	s_cmp_gt_i32 s2, 43
	;; [unrolled: 3-line block ×3, first 2 shown]
	s_cbranch_scc0 .LBB51_2889
; %bb.2887:
	s_mov_b32 s0, -1
	s_mov_b32 s5, 0
	s_cmp_eq_u32 s2, 46
	s_cbranch_scc0 .LBB51_2889
; %bb.2888:
	v_bfe_u32 v1, v44, 16, 1
	v_cmp_o_f32_e32 vcc_lo, v44, v44
	s_mov_b32 s0, 0
	s_mov_b32 s4, -1
	s_delay_alu instid0(VALU_DEP_2) | instskip(NEXT) | instid1(VALU_DEP_1)
	v_add3_u32 v1, v44, v1, 0x7fff
	v_lshrrev_b32_e32 v1, 16, v1
	s_delay_alu instid0(VALU_DEP_1)
	v_cndmask_b32_e32 v1, 0x7fc0, v1, vcc_lo
	global_store_b32 v[2:3], v1, off
.LBB51_2889:
	s_and_b32 vcc_lo, exec_lo, s5
	s_cbranch_vccz .LBB51_2894
; %bb.2890:
	s_cmp_eq_u32 s2, 44
	s_mov_b32 s0, -1
	s_cbranch_scc0 .LBB51_2894
; %bb.2891:
	v_bfe_u32 v4, v44, 23, 8
	s_wait_xcnt 0x0
	v_mov_b32_e32 v1, 0xff
	s_mov_b32 s4, exec_lo
	s_delay_alu instid0(VALU_DEP_2)
	v_cmpx_ne_u32_e32 0xff, v4
	s_cbranch_execz .LBB51_2893
; %bb.2892:
	v_and_b32_e32 v1, 0x400000, v44
	v_and_or_b32 v4, 0x3fffff, v44, v4
	s_delay_alu instid0(VALU_DEP_2) | instskip(NEXT) | instid1(VALU_DEP_2)
	v_cmp_ne_u32_e32 vcc_lo, 0, v1
	v_cmp_ne_u32_e64 s0, 0, v4
	v_lshrrev_b32_e32 v1, 23, v44
	s_and_b32 s0, vcc_lo, s0
	s_delay_alu instid0(SALU_CYCLE_1) | instskip(NEXT) | instid1(VALU_DEP_1)
	v_cndmask_b32_e64 v4, 0, 1, s0
	v_add_nc_u32_e32 v1, v1, v4
.LBB51_2893:
	s_or_b32 exec_lo, exec_lo, s4
	s_mov_b32 s0, 0
	s_mov_b32 s4, -1
	global_store_b8 v[2:3], v1, off
.LBB51_2894:
	s_mov_b32 s5, 0
.LBB51_2895:
	s_delay_alu instid0(SALU_CYCLE_1)
	s_and_b32 vcc_lo, exec_lo, s5
	s_cbranch_vccz .LBB51_2898
; %bb.2896:
	s_cmp_eq_u32 s2, 29
	s_mov_b32 s0, -1
	s_cbranch_scc0 .LBB51_2898
; %bb.2897:
	s_wait_xcnt 0x0
	v_trunc_f32_e32 v1, v44
	s_mov_b32 s0, 0
	s_mov_b32 s4, -1
	s_delay_alu instid0(VALU_DEP_1) | instskip(NEXT) | instid1(VALU_DEP_1)
	v_mul_f32_e32 v4, 0x2f800000, v1
	v_floor_f32_e32 v4, v4
	s_delay_alu instid0(VALU_DEP_1) | instskip(SKIP_1) | instid1(VALU_DEP_2)
	v_fmamk_f32 v1, v4, 0xcf800000, v1
	v_cvt_u32_f32_e32 v5, v4
	v_cvt_u32_f32_e32 v4, v1
	global_store_b64 v[2:3], v[4:5], off
.LBB51_2898:
	s_mov_b32 s5, 0
.LBB51_2899:
	s_delay_alu instid0(SALU_CYCLE_1)
	s_and_b32 vcc_lo, exec_lo, s5
	s_cbranch_vccz .LBB51_2915
; %bb.2900:
	s_cmp_lt_i32 s2, 27
	s_mov_b32 s4, -1
	s_cbranch_scc1 .LBB51_2906
; %bb.2901:
	s_cmp_gt_i32 s2, 27
	s_cbranch_scc0 .LBB51_2903
; %bb.2902:
	s_wait_xcnt 0x0
	v_cvt_u32_f32_e32 v1, v44
	s_mov_b32 s4, 0
	global_store_b32 v[2:3], v1, off
.LBB51_2903:
	s_and_not1_b32 vcc_lo, exec_lo, s4
	s_cbranch_vccnz .LBB51_2905
; %bb.2904:
	s_wait_xcnt 0x0
	v_cvt_u32_f32_e32 v1, v44
	global_store_b16 v[2:3], v1, off
.LBB51_2905:
	s_mov_b32 s4, 0
.LBB51_2906:
	s_delay_alu instid0(SALU_CYCLE_1)
	s_and_not1_b32 vcc_lo, exec_lo, s4
	s_cbranch_vccnz .LBB51_2914
; %bb.2907:
	s_wait_xcnt 0x0
	v_and_b32_e32 v1, 0x7fffffff, v44
	v_mov_b32_e32 v4, 0x80
	s_mov_b32 s4, exec_lo
	s_delay_alu instid0(VALU_DEP_2)
	v_cmpx_gt_u32_e32 0x43800000, v1
	s_cbranch_execz .LBB51_2913
; %bb.2908:
	v_cmp_lt_u32_e32 vcc_lo, 0x3bffffff, v1
	s_mov_b32 s5, 0
                                        ; implicit-def: $vgpr1
	s_and_saveexec_b32 s6, vcc_lo
	s_delay_alu instid0(SALU_CYCLE_1)
	s_xor_b32 s6, exec_lo, s6
	s_cbranch_execz .LBB51_3204
; %bb.2909:
	v_bfe_u32 v1, v44, 20, 1
	s_mov_b32 s5, exec_lo
	s_delay_alu instid0(VALU_DEP_1) | instskip(NEXT) | instid1(VALU_DEP_1)
	v_add3_u32 v1, v44, v1, 0x487ffff
	v_lshrrev_b32_e32 v1, 20, v1
	s_and_not1_saveexec_b32 s6, s6
	s_cbranch_execnz .LBB51_3205
.LBB51_2910:
	s_or_b32 exec_lo, exec_lo, s6
	v_mov_b32_e32 v4, 0
	s_and_saveexec_b32 s6, s5
.LBB51_2911:
	v_lshrrev_b32_e32 v4, 24, v44
	s_delay_alu instid0(VALU_DEP_1)
	v_and_or_b32 v4, 0x80, v4, v1
.LBB51_2912:
	s_or_b32 exec_lo, exec_lo, s6
.LBB51_2913:
	s_delay_alu instid0(SALU_CYCLE_1)
	s_or_b32 exec_lo, exec_lo, s4
	global_store_b8 v[2:3], v4, off
.LBB51_2914:
	s_mov_b32 s4, -1
.LBB51_2915:
	s_mov_b32 s5, 0
.LBB51_2916:
	s_delay_alu instid0(SALU_CYCLE_1)
	s_and_b32 vcc_lo, exec_lo, s5
	s_cbranch_vccz .LBB51_2956
; %bb.2917:
	s_cmp_gt_i32 s2, 22
	s_mov_b32 s3, -1
	s_cbranch_scc0 .LBB51_2949
; %bb.2918:
	s_cmp_lt_i32 s2, 24
	s_cbranch_scc1 .LBB51_2938
; %bb.2919:
	s_cmp_gt_i32 s2, 24
	s_cbranch_scc0 .LBB51_2927
; %bb.2920:
	s_wait_xcnt 0x0
	v_and_b32_e32 v1, 0x7fffffff, v44
	v_mov_b32_e32 v4, 0x80
	s_mov_b32 s3, exec_lo
	s_delay_alu instid0(VALU_DEP_2)
	v_cmpx_gt_u32_e32 0x47800000, v1
	s_cbranch_execz .LBB51_2926
; %bb.2921:
	v_cmp_lt_u32_e32 vcc_lo, 0x37ffffff, v1
	s_mov_b32 s4, 0
                                        ; implicit-def: $vgpr1
	s_and_saveexec_b32 s5, vcc_lo
	s_delay_alu instid0(SALU_CYCLE_1)
	s_xor_b32 s5, exec_lo, s5
	s_cbranch_execz .LBB51_3207
; %bb.2922:
	v_bfe_u32 v1, v44, 21, 1
	s_mov_b32 s4, exec_lo
	s_delay_alu instid0(VALU_DEP_1) | instskip(NEXT) | instid1(VALU_DEP_1)
	v_add3_u32 v1, v44, v1, 0x88fffff
	v_lshrrev_b32_e32 v1, 21, v1
	s_and_not1_saveexec_b32 s5, s5
	s_cbranch_execnz .LBB51_3208
.LBB51_2923:
	s_or_b32 exec_lo, exec_lo, s5
	v_mov_b32_e32 v4, 0
	s_and_saveexec_b32 s5, s4
.LBB51_2924:
	v_lshrrev_b32_e32 v4, 24, v44
	s_delay_alu instid0(VALU_DEP_1)
	v_and_or_b32 v4, 0x80, v4, v1
.LBB51_2925:
	s_or_b32 exec_lo, exec_lo, s5
.LBB51_2926:
	s_delay_alu instid0(SALU_CYCLE_1)
	s_or_b32 exec_lo, exec_lo, s3
	s_mov_b32 s3, 0
	global_store_b8 v[2:3], v4, off
.LBB51_2927:
	s_and_b32 vcc_lo, exec_lo, s3
	s_cbranch_vccz .LBB51_2937
; %bb.2928:
	s_wait_xcnt 0x0
	v_and_b32_e32 v4, 0x7fffffff, v44
	s_mov_b32 s3, exec_lo
                                        ; implicit-def: $vgpr1
	s_delay_alu instid0(VALU_DEP_1)
	v_cmpx_gt_u32_e32 0x43f00000, v4
	s_xor_b32 s3, exec_lo, s3
	s_cbranch_execz .LBB51_2934
; %bb.2929:
	s_mov_b32 s4, exec_lo
                                        ; implicit-def: $vgpr1
	v_cmpx_lt_u32_e32 0x3c7fffff, v4
	s_xor_b32 s4, exec_lo, s4
; %bb.2930:
	v_bfe_u32 v1, v44, 20, 1
	s_delay_alu instid0(VALU_DEP_1) | instskip(NEXT) | instid1(VALU_DEP_1)
	v_add3_u32 v1, v44, v1, 0x407ffff
	v_and_b32_e32 v4, 0xff00000, v1
	v_lshrrev_b32_e32 v1, 20, v1
	s_delay_alu instid0(VALU_DEP_2) | instskip(NEXT) | instid1(VALU_DEP_2)
	v_cmp_ne_u32_e32 vcc_lo, 0x7f00000, v4
	v_cndmask_b32_e32 v1, 0x7e, v1, vcc_lo
; %bb.2931:
	s_and_not1_saveexec_b32 s4, s4
; %bb.2932:
	v_add_f32_e64 v1, 0x46800000, |v44|
; %bb.2933:
	s_or_b32 exec_lo, exec_lo, s4
                                        ; implicit-def: $vgpr4
.LBB51_2934:
	s_and_not1_saveexec_b32 s3, s3
; %bb.2935:
	v_mov_b32_e32 v1, 0x7f
	v_cmp_lt_u32_e32 vcc_lo, 0x7f800000, v4
	s_delay_alu instid0(VALU_DEP_2)
	v_cndmask_b32_e32 v1, 0x7e, v1, vcc_lo
; %bb.2936:
	s_or_b32 exec_lo, exec_lo, s3
	v_lshrrev_b32_e32 v4, 24, v44
	s_delay_alu instid0(VALU_DEP_1)
	v_and_or_b32 v1, 0x80, v4, v1
	global_store_b8 v[2:3], v1, off
.LBB51_2937:
	s_mov_b32 s3, 0
.LBB51_2938:
	s_delay_alu instid0(SALU_CYCLE_1)
	s_and_not1_b32 vcc_lo, exec_lo, s3
	s_cbranch_vccnz .LBB51_2948
; %bb.2939:
	s_wait_xcnt 0x0
	v_and_b32_e32 v4, 0x7fffffff, v44
	s_mov_b32 s3, exec_lo
                                        ; implicit-def: $vgpr1
	s_delay_alu instid0(VALU_DEP_1)
	v_cmpx_gt_u32_e32 0x47800000, v4
	s_xor_b32 s3, exec_lo, s3
	s_cbranch_execz .LBB51_2945
; %bb.2940:
	s_mov_b32 s4, exec_lo
                                        ; implicit-def: $vgpr1
	v_cmpx_lt_u32_e32 0x387fffff, v4
	s_xor_b32 s4, exec_lo, s4
; %bb.2941:
	v_bfe_u32 v1, v44, 21, 1
	s_delay_alu instid0(VALU_DEP_1) | instskip(NEXT) | instid1(VALU_DEP_1)
	v_add3_u32 v1, v44, v1, 0x80fffff
	v_lshrrev_b32_e32 v1, 21, v1
; %bb.2942:
	s_and_not1_saveexec_b32 s4, s4
; %bb.2943:
	v_add_f32_e64 v1, 0x43000000, |v44|
; %bb.2944:
	s_or_b32 exec_lo, exec_lo, s4
                                        ; implicit-def: $vgpr4
.LBB51_2945:
	s_and_not1_saveexec_b32 s3, s3
; %bb.2946:
	v_mov_b32_e32 v1, 0x7f
	v_cmp_lt_u32_e32 vcc_lo, 0x7f800000, v4
	s_delay_alu instid0(VALU_DEP_2)
	v_cndmask_b32_e32 v1, 0x7c, v1, vcc_lo
; %bb.2947:
	s_or_b32 exec_lo, exec_lo, s3
	v_lshrrev_b32_e32 v4, 24, v44
	s_delay_alu instid0(VALU_DEP_1)
	v_and_or_b32 v1, 0x80, v4, v1
	global_store_b8 v[2:3], v1, off
.LBB51_2948:
	s_mov_b32 s3, 0
	s_mov_b32 s4, -1
.LBB51_2949:
	s_and_not1_b32 vcc_lo, exec_lo, s3
	s_mov_b32 s3, 0
	s_cbranch_vccnz .LBB51_2956
; %bb.2950:
	s_cmp_gt_i32 s2, 14
	s_mov_b32 s3, -1
	s_cbranch_scc0 .LBB51_2954
; %bb.2951:
	s_cmp_eq_u32 s2, 15
	s_mov_b32 s0, -1
	s_cbranch_scc0 .LBB51_2953
; %bb.2952:
	s_wait_xcnt 0x0
	v_bfe_u32 v1, v44, 16, 1
	v_cmp_o_f32_e32 vcc_lo, v44, v44
	s_mov_b32 s0, 0
	s_mov_b32 s4, -1
	s_delay_alu instid0(VALU_DEP_2) | instskip(NEXT) | instid1(VALU_DEP_1)
	v_add3_u32 v1, v44, v1, 0x7fff
	v_lshrrev_b32_e32 v1, 16, v1
	s_delay_alu instid0(VALU_DEP_1)
	v_cndmask_b32_e32 v1, 0x7fc0, v1, vcc_lo
	global_store_b16 v[2:3], v1, off
.LBB51_2953:
	s_mov_b32 s3, 0
.LBB51_2954:
	s_delay_alu instid0(SALU_CYCLE_1)
	s_and_b32 vcc_lo, exec_lo, s3
	s_mov_b32 s3, 0
	s_cbranch_vccz .LBB51_2956
; %bb.2955:
	s_cmp_lg_u32 s2, 11
	s_mov_b32 s3, -1
	s_cselect_b32 s0, -1, 0
.LBB51_2956:
	s_delay_alu instid0(SALU_CYCLE_1)
	s_and_b32 vcc_lo, exec_lo, s0
	s_cbranch_vccnz .LBB51_3206
; %bb.2957:
	s_and_not1_b32 vcc_lo, exec_lo, s3
	s_cbranch_vccnz .LBB51_2959
.LBB51_2958:
	v_cmp_neq_f32_e32 vcc_lo, 0, v44
	s_mov_b32 s4, -1
	s_wait_xcnt 0x0
	v_cndmask_b32_e64 v1, 0, 1, vcc_lo
	global_store_b8 v[2:3], v1, off
.LBB51_2959:
	s_mov_b32 s0, 0
	s_branch .LBB51_2961
.LBB51_2960:
	s_mov_b32 s0, -1
	s_mov_b32 s4, 0
.LBB51_2961:
	s_and_b32 vcc_lo, exec_lo, s0
	s_cbranch_vccz .LBB51_3000
; %bb.2962:
	s_cmp_lt_i32 s2, 5
	s_mov_b32 s0, -1
	s_cbranch_scc1 .LBB51_2983
; %bb.2963:
	s_cmp_lt_i32 s2, 8
	s_cbranch_scc1 .LBB51_2973
; %bb.2964:
	s_cmp_lt_i32 s2, 9
	s_cbranch_scc1 .LBB51_2970
; %bb.2965:
	s_cmp_gt_i32 s2, 9
	s_cbranch_scc0 .LBB51_2967
; %bb.2966:
	s_wait_xcnt 0x0
	v_cvt_f64_f32_e32 v[4:5], v44
	v_mov_b32_e32 v6, 0
	s_mov_b32 s0, 0
	s_delay_alu instid0(VALU_DEP_1)
	v_mov_b32_e32 v7, v6
	global_store_b128 v[2:3], v[4:7], off
.LBB51_2967:
	s_and_not1_b32 vcc_lo, exec_lo, s0
	s_cbranch_vccnz .LBB51_2969
; %bb.2968:
	v_mov_b32_e32 v45, 0
	global_store_b64 v[2:3], v[44:45], off
.LBB51_2969:
	s_mov_b32 s0, 0
.LBB51_2970:
	s_delay_alu instid0(SALU_CYCLE_1)
	s_and_not1_b32 vcc_lo, exec_lo, s0
	s_cbranch_vccnz .LBB51_2972
; %bb.2971:
	s_wait_xcnt 0x0
	v_cvt_f16_f32_e32 v1, v44
	s_delay_alu instid0(VALU_DEP_1)
	v_and_b32_e32 v1, 0xffff, v1
	global_store_b32 v[2:3], v1, off
.LBB51_2972:
	s_mov_b32 s0, 0
.LBB51_2973:
	s_delay_alu instid0(SALU_CYCLE_1)
	s_and_not1_b32 vcc_lo, exec_lo, s0
	s_cbranch_vccnz .LBB51_2982
; %bb.2974:
	s_cmp_lt_i32 s2, 6
	s_mov_b32 s0, -1
	s_cbranch_scc1 .LBB51_2980
; %bb.2975:
	s_cmp_gt_i32 s2, 6
	s_cbranch_scc0 .LBB51_2977
; %bb.2976:
	s_wait_xcnt 0x0
	v_cvt_f64_f32_e32 v[4:5], v44
	s_mov_b32 s0, 0
	global_store_b64 v[2:3], v[4:5], off
.LBB51_2977:
	s_and_not1_b32 vcc_lo, exec_lo, s0
	s_cbranch_vccnz .LBB51_2979
; %bb.2978:
	global_store_b32 v[2:3], v44, off
.LBB51_2979:
	s_mov_b32 s0, 0
.LBB51_2980:
	s_delay_alu instid0(SALU_CYCLE_1)
	s_and_not1_b32 vcc_lo, exec_lo, s0
	s_cbranch_vccnz .LBB51_2982
; %bb.2981:
	s_wait_xcnt 0x0
	v_cvt_f16_f32_e32 v1, v44
	global_store_b16 v[2:3], v1, off
.LBB51_2982:
	s_mov_b32 s0, 0
.LBB51_2983:
	s_delay_alu instid0(SALU_CYCLE_1)
	s_and_not1_b32 vcc_lo, exec_lo, s0
	s_cbranch_vccnz .LBB51_2999
; %bb.2984:
	s_cmp_lt_i32 s2, 2
	s_mov_b32 s0, -1
	s_cbranch_scc1 .LBB51_2994
; %bb.2985:
	s_cmp_lt_i32 s2, 3
	s_cbranch_scc1 .LBB51_2991
; %bb.2986:
	s_cmp_gt_i32 s2, 3
	s_cbranch_scc0 .LBB51_2988
; %bb.2987:
	s_wait_xcnt 0x0
	v_trunc_f32_e32 v1, v44
	s_mov_b32 s0, 0
	s_delay_alu instid0(VALU_DEP_1) | instskip(NEXT) | instid1(VALU_DEP_1)
	v_mul_f32_e64 v4, 0x2f800000, |v1|
	v_floor_f32_e32 v5, v4
	v_ashrrev_i32_e32 v4, 31, v1
	s_delay_alu instid0(VALU_DEP_2) | instskip(SKIP_1) | instid1(VALU_DEP_3)
	v_fma_f32 v6, 0xcf800000, v5, |v1|
	v_cvt_u32_f32_e32 v1, v5
	v_mov_b32_e32 v5, v4
	s_delay_alu instid0(VALU_DEP_3) | instskip(NEXT) | instid1(VALU_DEP_3)
	v_cvt_u32_f32_e32 v6, v6
	v_xor_b32_e32 v7, v1, v4
	s_delay_alu instid0(VALU_DEP_2) | instskip(NEXT) | instid1(VALU_DEP_1)
	v_xor_b32_e32 v6, v6, v4
	v_sub_nc_u64_e32 v[4:5], v[6:7], v[4:5]
	global_store_b64 v[2:3], v[4:5], off
.LBB51_2988:
	s_and_not1_b32 vcc_lo, exec_lo, s0
	s_cbranch_vccnz .LBB51_2990
; %bb.2989:
	s_wait_xcnt 0x0
	v_cvt_i32_f32_e32 v1, v44
	global_store_b32 v[2:3], v1, off
.LBB51_2990:
	s_mov_b32 s0, 0
.LBB51_2991:
	s_delay_alu instid0(SALU_CYCLE_1)
	s_and_not1_b32 vcc_lo, exec_lo, s0
	s_cbranch_vccnz .LBB51_2993
; %bb.2992:
	s_wait_xcnt 0x0
	v_cvt_i32_f32_e32 v1, v44
	global_store_b16 v[2:3], v1, off
.LBB51_2993:
	s_mov_b32 s0, 0
.LBB51_2994:
	s_delay_alu instid0(SALU_CYCLE_1)
	s_and_not1_b32 vcc_lo, exec_lo, s0
	s_cbranch_vccnz .LBB51_2999
; %bb.2995:
	s_cmp_gt_i32 s2, 0
	s_mov_b32 s0, -1
	s_cbranch_scc0 .LBB51_2997
; %bb.2996:
	s_wait_xcnt 0x0
	v_cvt_i32_f32_e32 v1, v44
	s_mov_b32 s0, 0
	global_store_b8 v[2:3], v1, off
.LBB51_2997:
	s_and_not1_b32 vcc_lo, exec_lo, s0
	s_cbranch_vccnz .LBB51_2999
; %bb.2998:
	s_wait_xcnt 0x0
	v_trunc_f32_e32 v1, v44
	s_delay_alu instid0(VALU_DEP_1) | instskip(NEXT) | instid1(VALU_DEP_1)
	v_mul_f32_e64 v4, 0x2f800000, |v1|
	v_floor_f32_e32 v4, v4
	s_delay_alu instid0(VALU_DEP_1) | instskip(SKIP_1) | instid1(VALU_DEP_2)
	v_fma_f32 v4, 0xcf800000, v4, |v1|
	v_ashrrev_i32_e32 v1, 31, v1
	v_cvt_u32_f32_e32 v4, v4
	s_delay_alu instid0(VALU_DEP_1) | instskip(NEXT) | instid1(VALU_DEP_1)
	v_xor_b32_e32 v4, v4, v1
	v_sub_nc_u32_e32 v1, v4, v1
	global_store_b8 v[2:3], v1, off
.LBB51_2999:
	s_mov_b32 s4, -1
.LBB51_3000:
	s_delay_alu instid0(SALU_CYCLE_1)
	s_and_not1_b32 vcc_lo, exec_lo, s4
	s_cbranch_vccnz .LBB51_3196
; %bb.3001:
	v_mov_b32_e32 v59, 0
	s_cmp_lt_i32 s2, 11
	s_wait_xcnt 0x0
	s_delay_alu instid0(VALU_DEP_1)
	v_add_nc_u64_e32 v[2:3], s[36:37], v[58:59]
	s_cbranch_scc1 .LBB51_3079
; %bb.3002:
	s_mov_b32 s5, -1
	s_mov_b32 s3, 0
	s_cmp_gt_i32 s2, 25
	s_mov_b32 s4, 0
	s_mov_b32 s0, 0
	s_cbranch_scc0 .LBB51_3035
; %bb.3003:
	s_cmp_gt_i32 s2, 28
	s_cbranch_scc0 .LBB51_3018
; %bb.3004:
	s_cmp_gt_i32 s2, 43
	;; [unrolled: 3-line block ×3, first 2 shown]
	s_cbranch_scc0 .LBB51_3008
; %bb.3006:
	s_mov_b32 s0, -1
	s_mov_b32 s5, 0
	s_cmp_eq_u32 s2, 46
	s_cbranch_scc0 .LBB51_3008
; %bb.3007:
	v_bfe_u32 v1, v46, 16, 1
	v_cmp_o_f32_e32 vcc_lo, v46, v46
	s_mov_b32 s0, 0
	s_mov_b32 s4, -1
	s_delay_alu instid0(VALU_DEP_2) | instskip(NEXT) | instid1(VALU_DEP_1)
	v_add3_u32 v1, v46, v1, 0x7fff
	v_lshrrev_b32_e32 v1, 16, v1
	s_delay_alu instid0(VALU_DEP_1)
	v_cndmask_b32_e32 v1, 0x7fc0, v1, vcc_lo
	global_store_b32 v[2:3], v1, off
.LBB51_3008:
	s_and_b32 vcc_lo, exec_lo, s5
	s_cbranch_vccz .LBB51_3013
; %bb.3009:
	s_cmp_eq_u32 s2, 44
	s_mov_b32 s0, -1
	s_cbranch_scc0 .LBB51_3013
; %bb.3010:
	v_bfe_u32 v4, v46, 23, 8
	s_wait_xcnt 0x0
	v_mov_b32_e32 v1, 0xff
	s_mov_b32 s4, exec_lo
	s_delay_alu instid0(VALU_DEP_2)
	v_cmpx_ne_u32_e32 0xff, v4
	s_cbranch_execz .LBB51_3012
; %bb.3011:
	v_and_b32_e32 v1, 0x400000, v46
	v_and_or_b32 v4, 0x3fffff, v46, v4
	s_delay_alu instid0(VALU_DEP_2) | instskip(NEXT) | instid1(VALU_DEP_2)
	v_cmp_ne_u32_e32 vcc_lo, 0, v1
	v_cmp_ne_u32_e64 s0, 0, v4
	v_lshrrev_b32_e32 v1, 23, v46
	s_and_b32 s0, vcc_lo, s0
	s_delay_alu instid0(SALU_CYCLE_1) | instskip(NEXT) | instid1(VALU_DEP_1)
	v_cndmask_b32_e64 v4, 0, 1, s0
	v_add_nc_u32_e32 v1, v1, v4
.LBB51_3012:
	s_or_b32 exec_lo, exec_lo, s4
	s_mov_b32 s0, 0
	s_mov_b32 s4, -1
	global_store_b8 v[2:3], v1, off
.LBB51_3013:
	s_mov_b32 s5, 0
.LBB51_3014:
	s_delay_alu instid0(SALU_CYCLE_1)
	s_and_b32 vcc_lo, exec_lo, s5
	s_cbranch_vccz .LBB51_3017
; %bb.3015:
	s_cmp_eq_u32 s2, 29
	s_mov_b32 s0, -1
	s_cbranch_scc0 .LBB51_3017
; %bb.3016:
	s_wait_xcnt 0x0
	v_trunc_f32_e32 v1, v46
	s_mov_b32 s0, 0
	s_mov_b32 s4, -1
	s_delay_alu instid0(VALU_DEP_1) | instskip(NEXT) | instid1(VALU_DEP_1)
	v_mul_f32_e32 v4, 0x2f800000, v1
	v_floor_f32_e32 v4, v4
	s_delay_alu instid0(VALU_DEP_1) | instskip(SKIP_1) | instid1(VALU_DEP_2)
	v_fmamk_f32 v1, v4, 0xcf800000, v1
	v_cvt_u32_f32_e32 v5, v4
	v_cvt_u32_f32_e32 v4, v1
	global_store_b64 v[2:3], v[4:5], off
.LBB51_3017:
	s_mov_b32 s5, 0
.LBB51_3018:
	s_delay_alu instid0(SALU_CYCLE_1)
	s_and_b32 vcc_lo, exec_lo, s5
	s_cbranch_vccz .LBB51_3034
; %bb.3019:
	s_cmp_lt_i32 s2, 27
	s_mov_b32 s4, -1
	s_cbranch_scc1 .LBB51_3025
; %bb.3020:
	s_cmp_gt_i32 s2, 27
	s_cbranch_scc0 .LBB51_3022
; %bb.3021:
	s_wait_xcnt 0x0
	v_cvt_u32_f32_e32 v1, v46
	s_mov_b32 s4, 0
	global_store_b32 v[2:3], v1, off
.LBB51_3022:
	s_and_not1_b32 vcc_lo, exec_lo, s4
	s_cbranch_vccnz .LBB51_3024
; %bb.3023:
	s_wait_xcnt 0x0
	v_cvt_u32_f32_e32 v1, v46
	global_store_b16 v[2:3], v1, off
.LBB51_3024:
	s_mov_b32 s4, 0
.LBB51_3025:
	s_delay_alu instid0(SALU_CYCLE_1)
	s_and_not1_b32 vcc_lo, exec_lo, s4
	s_cbranch_vccnz .LBB51_3033
; %bb.3026:
	s_wait_xcnt 0x0
	v_and_b32_e32 v1, 0x7fffffff, v46
	v_mov_b32_e32 v4, 0x80
	s_mov_b32 s4, exec_lo
	s_delay_alu instid0(VALU_DEP_2)
	v_cmpx_gt_u32_e32 0x43800000, v1
	s_cbranch_execz .LBB51_3032
; %bb.3027:
	v_cmp_lt_u32_e32 vcc_lo, 0x3bffffff, v1
	s_mov_b32 s5, 0
                                        ; implicit-def: $vgpr1
	s_and_saveexec_b32 s6, vcc_lo
	s_delay_alu instid0(SALU_CYCLE_1)
	s_xor_b32 s6, exec_lo, s6
	s_cbranch_execz .LBB51_3209
; %bb.3028:
	v_bfe_u32 v1, v46, 20, 1
	s_mov_b32 s5, exec_lo
	s_delay_alu instid0(VALU_DEP_1) | instskip(NEXT) | instid1(VALU_DEP_1)
	v_add3_u32 v1, v46, v1, 0x487ffff
	v_lshrrev_b32_e32 v1, 20, v1
	s_and_not1_saveexec_b32 s6, s6
	s_cbranch_execnz .LBB51_3210
.LBB51_3029:
	s_or_b32 exec_lo, exec_lo, s6
	v_mov_b32_e32 v4, 0
	s_and_saveexec_b32 s6, s5
.LBB51_3030:
	v_lshrrev_b32_e32 v4, 24, v46
	s_delay_alu instid0(VALU_DEP_1)
	v_and_or_b32 v4, 0x80, v4, v1
.LBB51_3031:
	s_or_b32 exec_lo, exec_lo, s6
.LBB51_3032:
	s_delay_alu instid0(SALU_CYCLE_1)
	s_or_b32 exec_lo, exec_lo, s4
	global_store_b8 v[2:3], v4, off
.LBB51_3033:
	s_mov_b32 s4, -1
.LBB51_3034:
	s_mov_b32 s5, 0
.LBB51_3035:
	s_delay_alu instid0(SALU_CYCLE_1)
	s_and_b32 vcc_lo, exec_lo, s5
	s_cbranch_vccz .LBB51_3075
; %bb.3036:
	s_cmp_gt_i32 s2, 22
	s_mov_b32 s3, -1
	s_cbranch_scc0 .LBB51_3068
; %bb.3037:
	s_cmp_lt_i32 s2, 24
	s_cbranch_scc1 .LBB51_3057
; %bb.3038:
	s_cmp_gt_i32 s2, 24
	s_cbranch_scc0 .LBB51_3046
; %bb.3039:
	s_wait_xcnt 0x0
	v_and_b32_e32 v1, 0x7fffffff, v46
	v_mov_b32_e32 v4, 0x80
	s_mov_b32 s3, exec_lo
	s_delay_alu instid0(VALU_DEP_2)
	v_cmpx_gt_u32_e32 0x47800000, v1
	s_cbranch_execz .LBB51_3045
; %bb.3040:
	v_cmp_lt_u32_e32 vcc_lo, 0x37ffffff, v1
	s_mov_b32 s4, 0
                                        ; implicit-def: $vgpr1
	s_and_saveexec_b32 s5, vcc_lo
	s_delay_alu instid0(SALU_CYCLE_1)
	s_xor_b32 s5, exec_lo, s5
	s_cbranch_execz .LBB51_3212
; %bb.3041:
	v_bfe_u32 v1, v46, 21, 1
	s_mov_b32 s4, exec_lo
	s_delay_alu instid0(VALU_DEP_1) | instskip(NEXT) | instid1(VALU_DEP_1)
	v_add3_u32 v1, v46, v1, 0x88fffff
	v_lshrrev_b32_e32 v1, 21, v1
	s_and_not1_saveexec_b32 s5, s5
	s_cbranch_execnz .LBB51_3213
.LBB51_3042:
	s_or_b32 exec_lo, exec_lo, s5
	v_mov_b32_e32 v4, 0
	s_and_saveexec_b32 s5, s4
.LBB51_3043:
	v_lshrrev_b32_e32 v4, 24, v46
	s_delay_alu instid0(VALU_DEP_1)
	v_and_or_b32 v4, 0x80, v4, v1
.LBB51_3044:
	s_or_b32 exec_lo, exec_lo, s5
.LBB51_3045:
	s_delay_alu instid0(SALU_CYCLE_1)
	s_or_b32 exec_lo, exec_lo, s3
	s_mov_b32 s3, 0
	global_store_b8 v[2:3], v4, off
.LBB51_3046:
	s_and_b32 vcc_lo, exec_lo, s3
	s_cbranch_vccz .LBB51_3056
; %bb.3047:
	s_wait_xcnt 0x0
	v_and_b32_e32 v4, 0x7fffffff, v46
	s_mov_b32 s3, exec_lo
                                        ; implicit-def: $vgpr1
	s_delay_alu instid0(VALU_DEP_1)
	v_cmpx_gt_u32_e32 0x43f00000, v4
	s_xor_b32 s3, exec_lo, s3
	s_cbranch_execz .LBB51_3053
; %bb.3048:
	s_mov_b32 s4, exec_lo
                                        ; implicit-def: $vgpr1
	v_cmpx_lt_u32_e32 0x3c7fffff, v4
	s_xor_b32 s4, exec_lo, s4
; %bb.3049:
	v_bfe_u32 v1, v46, 20, 1
	s_delay_alu instid0(VALU_DEP_1) | instskip(NEXT) | instid1(VALU_DEP_1)
	v_add3_u32 v1, v46, v1, 0x407ffff
	v_and_b32_e32 v4, 0xff00000, v1
	v_lshrrev_b32_e32 v1, 20, v1
	s_delay_alu instid0(VALU_DEP_2) | instskip(NEXT) | instid1(VALU_DEP_2)
	v_cmp_ne_u32_e32 vcc_lo, 0x7f00000, v4
	v_cndmask_b32_e32 v1, 0x7e, v1, vcc_lo
; %bb.3050:
	s_and_not1_saveexec_b32 s4, s4
; %bb.3051:
	v_add_f32_e64 v1, 0x46800000, |v46|
; %bb.3052:
	s_or_b32 exec_lo, exec_lo, s4
                                        ; implicit-def: $vgpr4
.LBB51_3053:
	s_and_not1_saveexec_b32 s3, s3
; %bb.3054:
	v_mov_b32_e32 v1, 0x7f
	v_cmp_lt_u32_e32 vcc_lo, 0x7f800000, v4
	s_delay_alu instid0(VALU_DEP_2)
	v_cndmask_b32_e32 v1, 0x7e, v1, vcc_lo
; %bb.3055:
	s_or_b32 exec_lo, exec_lo, s3
	v_lshrrev_b32_e32 v4, 24, v46
	s_delay_alu instid0(VALU_DEP_1)
	v_and_or_b32 v1, 0x80, v4, v1
	global_store_b8 v[2:3], v1, off
.LBB51_3056:
	s_mov_b32 s3, 0
.LBB51_3057:
	s_delay_alu instid0(SALU_CYCLE_1)
	s_and_not1_b32 vcc_lo, exec_lo, s3
	s_cbranch_vccnz .LBB51_3067
; %bb.3058:
	s_wait_xcnt 0x0
	v_and_b32_e32 v4, 0x7fffffff, v46
	s_mov_b32 s3, exec_lo
                                        ; implicit-def: $vgpr1
	s_delay_alu instid0(VALU_DEP_1)
	v_cmpx_gt_u32_e32 0x47800000, v4
	s_xor_b32 s3, exec_lo, s3
	s_cbranch_execz .LBB51_3064
; %bb.3059:
	s_mov_b32 s4, exec_lo
                                        ; implicit-def: $vgpr1
	v_cmpx_lt_u32_e32 0x387fffff, v4
	s_xor_b32 s4, exec_lo, s4
; %bb.3060:
	v_bfe_u32 v1, v46, 21, 1
	s_delay_alu instid0(VALU_DEP_1) | instskip(NEXT) | instid1(VALU_DEP_1)
	v_add3_u32 v1, v46, v1, 0x80fffff
	v_lshrrev_b32_e32 v1, 21, v1
; %bb.3061:
	s_and_not1_saveexec_b32 s4, s4
; %bb.3062:
	v_add_f32_e64 v1, 0x43000000, |v46|
; %bb.3063:
	s_or_b32 exec_lo, exec_lo, s4
                                        ; implicit-def: $vgpr4
.LBB51_3064:
	s_and_not1_saveexec_b32 s3, s3
; %bb.3065:
	v_mov_b32_e32 v1, 0x7f
	v_cmp_lt_u32_e32 vcc_lo, 0x7f800000, v4
	s_delay_alu instid0(VALU_DEP_2)
	v_cndmask_b32_e32 v1, 0x7c, v1, vcc_lo
; %bb.3066:
	s_or_b32 exec_lo, exec_lo, s3
	v_lshrrev_b32_e32 v4, 24, v46
	s_delay_alu instid0(VALU_DEP_1)
	v_and_or_b32 v1, 0x80, v4, v1
	global_store_b8 v[2:3], v1, off
.LBB51_3067:
	s_mov_b32 s3, 0
	s_mov_b32 s4, -1
.LBB51_3068:
	s_and_not1_b32 vcc_lo, exec_lo, s3
	s_mov_b32 s3, 0
	s_cbranch_vccnz .LBB51_3075
; %bb.3069:
	s_cmp_gt_i32 s2, 14
	s_mov_b32 s3, -1
	s_cbranch_scc0 .LBB51_3073
; %bb.3070:
	s_cmp_eq_u32 s2, 15
	s_mov_b32 s0, -1
	s_cbranch_scc0 .LBB51_3072
; %bb.3071:
	s_wait_xcnt 0x0
	v_bfe_u32 v1, v46, 16, 1
	v_cmp_o_f32_e32 vcc_lo, v46, v46
	s_mov_b32 s0, 0
	s_mov_b32 s4, -1
	s_delay_alu instid0(VALU_DEP_2) | instskip(NEXT) | instid1(VALU_DEP_1)
	v_add3_u32 v1, v46, v1, 0x7fff
	v_lshrrev_b32_e32 v1, 16, v1
	s_delay_alu instid0(VALU_DEP_1)
	v_cndmask_b32_e32 v1, 0x7fc0, v1, vcc_lo
	global_store_b16 v[2:3], v1, off
.LBB51_3072:
	s_mov_b32 s3, 0
.LBB51_3073:
	s_delay_alu instid0(SALU_CYCLE_1)
	s_and_b32 vcc_lo, exec_lo, s3
	s_mov_b32 s3, 0
	s_cbranch_vccz .LBB51_3075
; %bb.3074:
	s_cmp_lg_u32 s2, 11
	s_mov_b32 s3, -1
	s_cselect_b32 s0, -1, 0
.LBB51_3075:
	s_delay_alu instid0(SALU_CYCLE_1)
	s_and_b32 vcc_lo, exec_lo, s0
	s_cbranch_vccnz .LBB51_3211
; %bb.3076:
	s_and_not1_b32 vcc_lo, exec_lo, s3
	s_cbranch_vccnz .LBB51_3078
.LBB51_3077:
	v_cmp_neq_f32_e32 vcc_lo, 0, v46
	s_mov_b32 s4, -1
	s_wait_xcnt 0x0
	v_cndmask_b32_e64 v1, 0, 1, vcc_lo
	global_store_b8 v[2:3], v1, off
.LBB51_3078:
	s_mov_b32 s0, 0
	s_branch .LBB51_3080
.LBB51_3079:
	s_mov_b32 s0, -1
	s_mov_b32 s4, 0
.LBB51_3080:
	s_and_b32 vcc_lo, exec_lo, s0
	s_cbranch_vccz .LBB51_3119
; %bb.3081:
	s_cmp_lt_i32 s2, 5
	s_mov_b32 s0, -1
	s_cbranch_scc1 .LBB51_3102
; %bb.3082:
	s_cmp_lt_i32 s2, 8
	s_cbranch_scc1 .LBB51_3092
; %bb.3083:
	s_cmp_lt_i32 s2, 9
	s_cbranch_scc1 .LBB51_3089
; %bb.3084:
	s_cmp_gt_i32 s2, 9
	s_cbranch_scc0 .LBB51_3086
; %bb.3085:
	s_wait_xcnt 0x0
	v_cvt_f64_f32_e32 v[4:5], v46
	v_mov_b32_e32 v6, 0
	s_mov_b32 s0, 0
	s_delay_alu instid0(VALU_DEP_1)
	v_mov_b32_e32 v7, v6
	global_store_b128 v[2:3], v[4:7], off
.LBB51_3086:
	s_and_not1_b32 vcc_lo, exec_lo, s0
	s_cbranch_vccnz .LBB51_3088
; %bb.3087:
	v_mov_b32_e32 v47, 0
	global_store_b64 v[2:3], v[46:47], off
.LBB51_3088:
	s_mov_b32 s0, 0
.LBB51_3089:
	s_delay_alu instid0(SALU_CYCLE_1)
	s_and_not1_b32 vcc_lo, exec_lo, s0
	s_cbranch_vccnz .LBB51_3091
; %bb.3090:
	s_wait_xcnt 0x0
	v_cvt_f16_f32_e32 v1, v46
	s_delay_alu instid0(VALU_DEP_1)
	v_and_b32_e32 v1, 0xffff, v1
	global_store_b32 v[2:3], v1, off
.LBB51_3091:
	s_mov_b32 s0, 0
.LBB51_3092:
	s_delay_alu instid0(SALU_CYCLE_1)
	s_and_not1_b32 vcc_lo, exec_lo, s0
	s_cbranch_vccnz .LBB51_3101
; %bb.3093:
	s_cmp_lt_i32 s2, 6
	s_mov_b32 s0, -1
	s_cbranch_scc1 .LBB51_3099
; %bb.3094:
	s_cmp_gt_i32 s2, 6
	s_cbranch_scc0 .LBB51_3096
; %bb.3095:
	s_wait_xcnt 0x0
	v_cvt_f64_f32_e32 v[4:5], v46
	s_mov_b32 s0, 0
	global_store_b64 v[2:3], v[4:5], off
.LBB51_3096:
	s_and_not1_b32 vcc_lo, exec_lo, s0
	s_cbranch_vccnz .LBB51_3098
; %bb.3097:
	global_store_b32 v[2:3], v46, off
.LBB51_3098:
	s_mov_b32 s0, 0
.LBB51_3099:
	s_delay_alu instid0(SALU_CYCLE_1)
	s_and_not1_b32 vcc_lo, exec_lo, s0
	s_cbranch_vccnz .LBB51_3101
; %bb.3100:
	s_wait_xcnt 0x0
	v_cvt_f16_f32_e32 v1, v46
	global_store_b16 v[2:3], v1, off
.LBB51_3101:
	s_mov_b32 s0, 0
.LBB51_3102:
	s_delay_alu instid0(SALU_CYCLE_1)
	s_and_not1_b32 vcc_lo, exec_lo, s0
	s_cbranch_vccnz .LBB51_3118
; %bb.3103:
	s_cmp_lt_i32 s2, 2
	s_mov_b32 s0, -1
	s_cbranch_scc1 .LBB51_3113
; %bb.3104:
	s_cmp_lt_i32 s2, 3
	s_cbranch_scc1 .LBB51_3110
; %bb.3105:
	s_cmp_gt_i32 s2, 3
	s_cbranch_scc0 .LBB51_3107
; %bb.3106:
	s_wait_xcnt 0x0
	v_trunc_f32_e32 v1, v46
	s_mov_b32 s0, 0
	s_delay_alu instid0(VALU_DEP_1) | instskip(NEXT) | instid1(VALU_DEP_1)
	v_mul_f32_e64 v4, 0x2f800000, |v1|
	v_floor_f32_e32 v5, v4
	v_ashrrev_i32_e32 v4, 31, v1
	s_delay_alu instid0(VALU_DEP_2) | instskip(SKIP_1) | instid1(VALU_DEP_3)
	v_fma_f32 v6, 0xcf800000, v5, |v1|
	v_cvt_u32_f32_e32 v1, v5
	v_mov_b32_e32 v5, v4
	s_delay_alu instid0(VALU_DEP_3) | instskip(NEXT) | instid1(VALU_DEP_3)
	v_cvt_u32_f32_e32 v6, v6
	v_xor_b32_e32 v7, v1, v4
	s_delay_alu instid0(VALU_DEP_2) | instskip(NEXT) | instid1(VALU_DEP_1)
	v_xor_b32_e32 v6, v6, v4
	v_sub_nc_u64_e32 v[4:5], v[6:7], v[4:5]
	global_store_b64 v[2:3], v[4:5], off
.LBB51_3107:
	s_and_not1_b32 vcc_lo, exec_lo, s0
	s_cbranch_vccnz .LBB51_3109
; %bb.3108:
	s_wait_xcnt 0x0
	v_cvt_i32_f32_e32 v1, v46
	global_store_b32 v[2:3], v1, off
.LBB51_3109:
	s_mov_b32 s0, 0
.LBB51_3110:
	s_delay_alu instid0(SALU_CYCLE_1)
	s_and_not1_b32 vcc_lo, exec_lo, s0
	s_cbranch_vccnz .LBB51_3112
; %bb.3111:
	s_wait_xcnt 0x0
	v_cvt_i32_f32_e32 v1, v46
	global_store_b16 v[2:3], v1, off
.LBB51_3112:
	s_mov_b32 s0, 0
.LBB51_3113:
	s_delay_alu instid0(SALU_CYCLE_1)
	s_and_not1_b32 vcc_lo, exec_lo, s0
	s_cbranch_vccnz .LBB51_3118
; %bb.3114:
	s_cmp_gt_i32 s2, 0
	s_mov_b32 s0, -1
	s_cbranch_scc0 .LBB51_3116
; %bb.3115:
	s_wait_xcnt 0x0
	v_cvt_i32_f32_e32 v1, v46
	s_mov_b32 s0, 0
	global_store_b8 v[2:3], v1, off
.LBB51_3116:
	s_and_not1_b32 vcc_lo, exec_lo, s0
	s_cbranch_vccnz .LBB51_3118
; %bb.3117:
	s_wait_xcnt 0x0
	v_trunc_f32_e32 v1, v46
	s_delay_alu instid0(VALU_DEP_1) | instskip(NEXT) | instid1(VALU_DEP_1)
	v_mul_f32_e64 v4, 0x2f800000, |v1|
	v_floor_f32_e32 v4, v4
	s_delay_alu instid0(VALU_DEP_1) | instskip(SKIP_1) | instid1(VALU_DEP_2)
	v_fma_f32 v4, 0xcf800000, v4, |v1|
	v_ashrrev_i32_e32 v1, 31, v1
	v_cvt_u32_f32_e32 v4, v4
	s_delay_alu instid0(VALU_DEP_1) | instskip(NEXT) | instid1(VALU_DEP_1)
	v_xor_b32_e32 v4, v4, v1
	v_sub_nc_u32_e32 v1, v4, v1
	global_store_b8 v[2:3], v1, off
.LBB51_3118:
	s_mov_b32 s4, -1
.LBB51_3119:
	s_delay_alu instid0(SALU_CYCLE_1)
	s_and_not1_b32 vcc_lo, exec_lo, s4
	s_cbranch_vccnz .LBB51_3196
; %bb.3120:
	v_mov_b32_e32 v57, 0
	s_cmp_lt_i32 s2, 11
	s_wait_xcnt 0x0
	s_delay_alu instid0(VALU_DEP_1)
	v_add_nc_u64_e32 v[2:3], s[36:37], v[56:57]
	s_cbranch_scc1 .LBB51_3197
; %bb.3121:
	s_mov_b32 s4, -1
	s_mov_b32 s3, 0
	s_cmp_gt_i32 s2, 25
	s_mov_b32 s0, 0
	s_cbranch_scc0 .LBB51_3154
; %bb.3122:
	s_cmp_gt_i32 s2, 28
	s_cbranch_scc0 .LBB51_3138
; %bb.3123:
	s_cmp_gt_i32 s2, 43
	;; [unrolled: 3-line block ×3, first 2 shown]
	s_cbranch_scc0 .LBB51_3128
; %bb.3125:
	s_cmp_eq_u32 s2, 46
	s_mov_b32 s0, -1
	s_cbranch_scc0 .LBB51_3127
; %bb.3126:
	v_bfe_u32 v1, v0, 16, 1
	v_cmp_o_f32_e32 vcc_lo, v0, v0
	s_mov_b32 s0, 0
	s_delay_alu instid0(VALU_DEP_2) | instskip(NEXT) | instid1(VALU_DEP_1)
	v_add3_u32 v1, v0, v1, 0x7fff
	v_lshrrev_b32_e32 v1, 16, v1
	s_delay_alu instid0(VALU_DEP_1)
	v_cndmask_b32_e32 v1, 0x7fc0, v1, vcc_lo
	global_store_b32 v[2:3], v1, off
.LBB51_3127:
	s_mov_b32 s4, 0
.LBB51_3128:
	s_delay_alu instid0(SALU_CYCLE_1)
	s_and_b32 vcc_lo, exec_lo, s4
	s_cbranch_vccz .LBB51_3133
; %bb.3129:
	s_cmp_eq_u32 s2, 44
	s_mov_b32 s0, -1
	s_cbranch_scc0 .LBB51_3133
; %bb.3130:
	v_bfe_u32 v4, v0, 23, 8
	s_wait_xcnt 0x0
	v_mov_b32_e32 v1, 0xff
	s_mov_b32 s4, exec_lo
	s_delay_alu instid0(VALU_DEP_2)
	v_cmpx_ne_u32_e32 0xff, v4
	s_cbranch_execz .LBB51_3132
; %bb.3131:
	v_and_b32_e32 v1, 0x400000, v0
	v_and_or_b32 v4, 0x3fffff, v0, v4
	s_delay_alu instid0(VALU_DEP_2) | instskip(NEXT) | instid1(VALU_DEP_2)
	v_cmp_ne_u32_e32 vcc_lo, 0, v1
	v_cmp_ne_u32_e64 s0, 0, v4
	v_lshrrev_b32_e32 v1, 23, v0
	s_and_b32 s0, vcc_lo, s0
	s_delay_alu instid0(SALU_CYCLE_1) | instskip(NEXT) | instid1(VALU_DEP_1)
	v_cndmask_b32_e64 v4, 0, 1, s0
	v_add_nc_u32_e32 v1, v1, v4
.LBB51_3132:
	s_or_b32 exec_lo, exec_lo, s4
	s_mov_b32 s0, 0
	global_store_b8 v[2:3], v1, off
.LBB51_3133:
	s_mov_b32 s4, 0
.LBB51_3134:
	s_delay_alu instid0(SALU_CYCLE_1)
	s_and_b32 vcc_lo, exec_lo, s4
	s_cbranch_vccz .LBB51_3137
; %bb.3135:
	s_cmp_eq_u32 s2, 29
	s_mov_b32 s0, -1
	s_cbranch_scc0 .LBB51_3137
; %bb.3136:
	s_wait_xcnt 0x0
	v_trunc_f32_e32 v1, v0
	s_mov_b32 s0, 0
	s_delay_alu instid0(VALU_DEP_1) | instskip(NEXT) | instid1(VALU_DEP_1)
	v_mul_f32_e32 v4, 0x2f800000, v1
	v_floor_f32_e32 v4, v4
	s_delay_alu instid0(VALU_DEP_1) | instskip(SKIP_1) | instid1(VALU_DEP_2)
	v_fmamk_f32 v1, v4, 0xcf800000, v1
	v_cvt_u32_f32_e32 v5, v4
	v_cvt_u32_f32_e32 v4, v1
	global_store_b64 v[2:3], v[4:5], off
.LBB51_3137:
	s_mov_b32 s4, 0
.LBB51_3138:
	s_delay_alu instid0(SALU_CYCLE_1)
	s_and_b32 vcc_lo, exec_lo, s4
	s_cbranch_vccz .LBB51_3153
; %bb.3139:
	s_cmp_lt_i32 s2, 27
	s_mov_b32 s4, -1
	s_cbranch_scc1 .LBB51_3145
; %bb.3140:
	s_wait_xcnt 0x0
	v_cvt_u32_f32_e32 v1, v0
	s_cmp_gt_i32 s2, 27
	s_cbranch_scc0 .LBB51_3142
; %bb.3141:
	s_mov_b32 s4, 0
	global_store_b32 v[2:3], v1, off
.LBB51_3142:
	s_and_not1_b32 vcc_lo, exec_lo, s4
	s_cbranch_vccnz .LBB51_3144
; %bb.3143:
	global_store_b16 v[2:3], v1, off
.LBB51_3144:
	s_mov_b32 s4, 0
.LBB51_3145:
	s_delay_alu instid0(SALU_CYCLE_1)
	s_and_not1_b32 vcc_lo, exec_lo, s4
	s_cbranch_vccnz .LBB51_3153
; %bb.3146:
	s_wait_xcnt 0x0
	v_and_b32_e32 v1, 0x7fffffff, v0
	v_mov_b32_e32 v4, 0x80
	s_mov_b32 s4, exec_lo
	s_delay_alu instid0(VALU_DEP_2)
	v_cmpx_gt_u32_e32 0x43800000, v1
	s_cbranch_execz .LBB51_3152
; %bb.3147:
	v_cmp_lt_u32_e32 vcc_lo, 0x3bffffff, v1
	s_mov_b32 s5, 0
                                        ; implicit-def: $vgpr1
	s_and_saveexec_b32 s6, vcc_lo
	s_delay_alu instid0(SALU_CYCLE_1)
	s_xor_b32 s6, exec_lo, s6
	s_cbranch_execz .LBB51_3214
; %bb.3148:
	v_bfe_u32 v1, v0, 20, 1
	s_mov_b32 s5, exec_lo
	s_delay_alu instid0(VALU_DEP_1) | instskip(NEXT) | instid1(VALU_DEP_1)
	v_add3_u32 v1, v0, v1, 0x487ffff
	v_lshrrev_b32_e32 v1, 20, v1
	s_and_not1_saveexec_b32 s6, s6
	s_cbranch_execnz .LBB51_3215
.LBB51_3149:
	s_or_b32 exec_lo, exec_lo, s6
	v_mov_b32_e32 v4, 0
	s_and_saveexec_b32 s6, s5
.LBB51_3150:
	v_lshrrev_b32_e32 v4, 24, v0
	s_delay_alu instid0(VALU_DEP_1)
	v_and_or_b32 v4, 0x80, v4, v1
.LBB51_3151:
	s_or_b32 exec_lo, exec_lo, s6
.LBB51_3152:
	s_delay_alu instid0(SALU_CYCLE_1)
	s_or_b32 exec_lo, exec_lo, s4
	global_store_b8 v[2:3], v4, off
.LBB51_3153:
	s_mov_b32 s4, 0
.LBB51_3154:
	s_delay_alu instid0(SALU_CYCLE_1)
	s_and_b32 vcc_lo, exec_lo, s4
	s_cbranch_vccz .LBB51_3194
; %bb.3155:
	s_cmp_gt_i32 s2, 22
	s_mov_b32 s3, -1
	s_cbranch_scc0 .LBB51_3187
; %bb.3156:
	s_cmp_lt_i32 s2, 24
	s_cbranch_scc1 .LBB51_3176
; %bb.3157:
	s_cmp_gt_i32 s2, 24
	s_cbranch_scc0 .LBB51_3165
; %bb.3158:
	s_wait_xcnt 0x0
	v_and_b32_e32 v1, 0x7fffffff, v0
	v_mov_b32_e32 v4, 0x80
	s_mov_b32 s3, exec_lo
	s_delay_alu instid0(VALU_DEP_2)
	v_cmpx_gt_u32_e32 0x47800000, v1
	s_cbranch_execz .LBB51_3164
; %bb.3159:
	v_cmp_lt_u32_e32 vcc_lo, 0x37ffffff, v1
	s_mov_b32 s4, 0
                                        ; implicit-def: $vgpr1
	s_and_saveexec_b32 s5, vcc_lo
	s_delay_alu instid0(SALU_CYCLE_1)
	s_xor_b32 s5, exec_lo, s5
	s_cbranch_execz .LBB51_3217
; %bb.3160:
	v_bfe_u32 v1, v0, 21, 1
	s_mov_b32 s4, exec_lo
	s_delay_alu instid0(VALU_DEP_1) | instskip(NEXT) | instid1(VALU_DEP_1)
	v_add3_u32 v1, v0, v1, 0x88fffff
	v_lshrrev_b32_e32 v1, 21, v1
	s_and_not1_saveexec_b32 s5, s5
	s_cbranch_execnz .LBB51_3218
.LBB51_3161:
	s_or_b32 exec_lo, exec_lo, s5
	v_mov_b32_e32 v4, 0
	s_and_saveexec_b32 s5, s4
.LBB51_3162:
	v_lshrrev_b32_e32 v4, 24, v0
	s_delay_alu instid0(VALU_DEP_1)
	v_and_or_b32 v4, 0x80, v4, v1
.LBB51_3163:
	s_or_b32 exec_lo, exec_lo, s5
.LBB51_3164:
	s_delay_alu instid0(SALU_CYCLE_1)
	s_or_b32 exec_lo, exec_lo, s3
	s_mov_b32 s3, 0
	global_store_b8 v[2:3], v4, off
.LBB51_3165:
	s_and_b32 vcc_lo, exec_lo, s3
	s_cbranch_vccz .LBB51_3175
; %bb.3166:
	s_wait_xcnt 0x0
	v_and_b32_e32 v4, 0x7fffffff, v0
	s_mov_b32 s3, exec_lo
                                        ; implicit-def: $vgpr1
	s_delay_alu instid0(VALU_DEP_1)
	v_cmpx_gt_u32_e32 0x43f00000, v4
	s_xor_b32 s3, exec_lo, s3
	s_cbranch_execz .LBB51_3172
; %bb.3167:
	s_mov_b32 s4, exec_lo
                                        ; implicit-def: $vgpr1
	v_cmpx_lt_u32_e32 0x3c7fffff, v4
	s_xor_b32 s4, exec_lo, s4
; %bb.3168:
	v_bfe_u32 v1, v0, 20, 1
	s_delay_alu instid0(VALU_DEP_1) | instskip(NEXT) | instid1(VALU_DEP_1)
	v_add3_u32 v1, v0, v1, 0x407ffff
	v_and_b32_e32 v4, 0xff00000, v1
	v_lshrrev_b32_e32 v1, 20, v1
	s_delay_alu instid0(VALU_DEP_2) | instskip(NEXT) | instid1(VALU_DEP_2)
	v_cmp_ne_u32_e32 vcc_lo, 0x7f00000, v4
	v_cndmask_b32_e32 v1, 0x7e, v1, vcc_lo
; %bb.3169:
	s_and_not1_saveexec_b32 s4, s4
; %bb.3170:
	v_add_f32_e64 v1, 0x46800000, |v0|
; %bb.3171:
	s_or_b32 exec_lo, exec_lo, s4
                                        ; implicit-def: $vgpr4
.LBB51_3172:
	s_and_not1_saveexec_b32 s3, s3
; %bb.3173:
	v_mov_b32_e32 v1, 0x7f
	v_cmp_lt_u32_e32 vcc_lo, 0x7f800000, v4
	s_delay_alu instid0(VALU_DEP_2)
	v_cndmask_b32_e32 v1, 0x7e, v1, vcc_lo
; %bb.3174:
	s_or_b32 exec_lo, exec_lo, s3
	v_lshrrev_b32_e32 v4, 24, v0
	s_delay_alu instid0(VALU_DEP_1)
	v_and_or_b32 v1, 0x80, v4, v1
	global_store_b8 v[2:3], v1, off
.LBB51_3175:
	s_mov_b32 s3, 0
.LBB51_3176:
	s_delay_alu instid0(SALU_CYCLE_1)
	s_and_not1_b32 vcc_lo, exec_lo, s3
	s_cbranch_vccnz .LBB51_3186
; %bb.3177:
	s_wait_xcnt 0x0
	v_and_b32_e32 v4, 0x7fffffff, v0
	s_mov_b32 s3, exec_lo
                                        ; implicit-def: $vgpr1
	s_delay_alu instid0(VALU_DEP_1)
	v_cmpx_gt_u32_e32 0x47800000, v4
	s_xor_b32 s3, exec_lo, s3
	s_cbranch_execz .LBB51_3183
; %bb.3178:
	s_mov_b32 s4, exec_lo
                                        ; implicit-def: $vgpr1
	v_cmpx_lt_u32_e32 0x387fffff, v4
	s_xor_b32 s4, exec_lo, s4
; %bb.3179:
	v_bfe_u32 v1, v0, 21, 1
	s_delay_alu instid0(VALU_DEP_1) | instskip(NEXT) | instid1(VALU_DEP_1)
	v_add3_u32 v1, v0, v1, 0x80fffff
	v_lshrrev_b32_e32 v1, 21, v1
; %bb.3180:
	s_and_not1_saveexec_b32 s4, s4
; %bb.3181:
	v_add_f32_e64 v1, 0x43000000, |v0|
; %bb.3182:
	s_or_b32 exec_lo, exec_lo, s4
                                        ; implicit-def: $vgpr4
.LBB51_3183:
	s_and_not1_saveexec_b32 s3, s3
; %bb.3184:
	v_mov_b32_e32 v1, 0x7f
	v_cmp_lt_u32_e32 vcc_lo, 0x7f800000, v4
	s_delay_alu instid0(VALU_DEP_2)
	v_cndmask_b32_e32 v1, 0x7c, v1, vcc_lo
; %bb.3185:
	s_or_b32 exec_lo, exec_lo, s3
	v_lshrrev_b32_e32 v4, 24, v0
	s_delay_alu instid0(VALU_DEP_1)
	v_and_or_b32 v1, 0x80, v4, v1
	global_store_b8 v[2:3], v1, off
.LBB51_3186:
	s_mov_b32 s3, 0
.LBB51_3187:
	s_delay_alu instid0(SALU_CYCLE_1)
	s_and_not1_b32 vcc_lo, exec_lo, s3
	s_mov_b32 s3, 0
	s_cbranch_vccnz .LBB51_3194
; %bb.3188:
	s_cmp_gt_i32 s2, 14
	s_mov_b32 s3, -1
	s_cbranch_scc0 .LBB51_3192
; %bb.3189:
	s_cmp_eq_u32 s2, 15
	s_mov_b32 s0, -1
	s_cbranch_scc0 .LBB51_3191
; %bb.3190:
	s_wait_xcnt 0x0
	v_bfe_u32 v1, v0, 16, 1
	v_cmp_o_f32_e32 vcc_lo, v0, v0
	s_mov_b32 s0, 0
	s_delay_alu instid0(VALU_DEP_2) | instskip(NEXT) | instid1(VALU_DEP_1)
	v_add3_u32 v1, v0, v1, 0x7fff
	v_lshrrev_b32_e32 v1, 16, v1
	s_delay_alu instid0(VALU_DEP_1)
	v_cndmask_b32_e32 v1, 0x7fc0, v1, vcc_lo
	global_store_b16 v[2:3], v1, off
.LBB51_3191:
	s_mov_b32 s3, 0
.LBB51_3192:
	s_delay_alu instid0(SALU_CYCLE_1)
	s_and_b32 vcc_lo, exec_lo, s3
	s_mov_b32 s3, 0
	s_cbranch_vccz .LBB51_3194
; %bb.3193:
	s_cmp_lg_u32 s2, 11
	s_mov_b32 s3, -1
	s_cselect_b32 s0, -1, 0
.LBB51_3194:
	s_delay_alu instid0(SALU_CYCLE_1)
	s_and_b32 vcc_lo, exec_lo, s0
	s_cbranch_vccnz .LBB51_3216
.LBB51_3195:
	s_mov_b32 s0, 0
	s_branch .LBB51_2716
.LBB51_3196:
	s_mov_b32 s0, 0
	s_mov_b32 s3, 0
                                        ; implicit-def: $vgpr2_vgpr3
                                        ; implicit-def: $sgpr1
	s_branch .LBB51_2716
.LBB51_3197:
	s_mov_b32 s3, 0
	s_mov_b32 s0, -1
	s_branch .LBB51_2716
.LBB51_3198:
	s_or_b32 s50, s50, exec_lo
	s_trap 2
	s_cbranch_execz .LBB51_2661
	s_branch .LBB51_2662
.LBB51_3199:
	s_and_not1_saveexec_b32 s6, s6
	s_cbranch_execz .LBB51_2791
.LBB51_3200:
	v_add_f32_e64 v1, 0x46000000, |v42|
	s_and_not1_b32 s5, s5, exec_lo
	s_delay_alu instid0(VALU_DEP_1) | instskip(NEXT) | instid1(VALU_DEP_1)
	v_and_b32_e32 v1, 0xff, v1
	v_cmp_ne_u32_e32 vcc_lo, 0, v1
	s_and_b32 s7, vcc_lo, exec_lo
	s_delay_alu instid0(SALU_CYCLE_1)
	s_or_b32 s5, s5, s7
	s_or_b32 exec_lo, exec_lo, s6
	v_mov_b32_e32 v4, 0
	s_and_saveexec_b32 s6, s5
	s_cbranch_execnz .LBB51_2792
	s_branch .LBB51_2793
.LBB51_3201:
	s_or_b32 s50, s50, exec_lo
	s_trap 2
	s_cbranch_execz .LBB51_2839
	s_branch .LBB51_2840
.LBB51_3202:
	s_and_not1_saveexec_b32 s5, s5
	s_cbranch_execz .LBB51_2804
.LBB51_3203:
	v_add_f32_e64 v1, 0x42800000, |v42|
	s_and_not1_b32 s4, s4, exec_lo
	s_delay_alu instid0(VALU_DEP_1) | instskip(NEXT) | instid1(VALU_DEP_1)
	v_and_b32_e32 v1, 0xff, v1
	v_cmp_ne_u32_e32 vcc_lo, 0, v1
	s_and_b32 s6, vcc_lo, exec_lo
	s_delay_alu instid0(SALU_CYCLE_1)
	s_or_b32 s4, s4, s6
	s_or_b32 exec_lo, exec_lo, s5
	v_mov_b32_e32 v4, 0
	s_and_saveexec_b32 s5, s4
	s_cbranch_execnz .LBB51_2805
	s_branch .LBB51_2806
.LBB51_3204:
	s_and_not1_saveexec_b32 s6, s6
	s_cbranch_execz .LBB51_2910
.LBB51_3205:
	v_add_f32_e64 v1, 0x46000000, |v44|
	s_and_not1_b32 s5, s5, exec_lo
	s_delay_alu instid0(VALU_DEP_1) | instskip(NEXT) | instid1(VALU_DEP_1)
	v_and_b32_e32 v1, 0xff, v1
	v_cmp_ne_u32_e32 vcc_lo, 0, v1
	s_and_b32 s7, vcc_lo, exec_lo
	s_delay_alu instid0(SALU_CYCLE_1)
	s_or_b32 s5, s5, s7
	s_or_b32 exec_lo, exec_lo, s6
	v_mov_b32_e32 v4, 0
	s_and_saveexec_b32 s6, s5
	s_cbranch_execnz .LBB51_2911
	s_branch .LBB51_2912
.LBB51_3206:
	s_or_b32 s50, s50, exec_lo
	s_trap 2
	s_cbranch_execz .LBB51_2958
	s_branch .LBB51_2959
.LBB51_3207:
	s_and_not1_saveexec_b32 s5, s5
	s_cbranch_execz .LBB51_2923
.LBB51_3208:
	v_add_f32_e64 v1, 0x42800000, |v44|
	s_and_not1_b32 s4, s4, exec_lo
	s_delay_alu instid0(VALU_DEP_1) | instskip(NEXT) | instid1(VALU_DEP_1)
	v_and_b32_e32 v1, 0xff, v1
	v_cmp_ne_u32_e32 vcc_lo, 0, v1
	s_and_b32 s6, vcc_lo, exec_lo
	s_delay_alu instid0(SALU_CYCLE_1)
	s_or_b32 s4, s4, s6
	s_or_b32 exec_lo, exec_lo, s5
	v_mov_b32_e32 v4, 0
	s_and_saveexec_b32 s5, s4
	s_cbranch_execnz .LBB51_2924
	s_branch .LBB51_2925
.LBB51_3209:
	s_and_not1_saveexec_b32 s6, s6
	s_cbranch_execz .LBB51_3029
.LBB51_3210:
	v_add_f32_e64 v1, 0x46000000, |v46|
	s_and_not1_b32 s5, s5, exec_lo
	s_delay_alu instid0(VALU_DEP_1) | instskip(NEXT) | instid1(VALU_DEP_1)
	v_and_b32_e32 v1, 0xff, v1
	v_cmp_ne_u32_e32 vcc_lo, 0, v1
	s_and_b32 s7, vcc_lo, exec_lo
	s_delay_alu instid0(SALU_CYCLE_1)
	s_or_b32 s5, s5, s7
	s_or_b32 exec_lo, exec_lo, s6
	v_mov_b32_e32 v4, 0
	s_and_saveexec_b32 s6, s5
	s_cbranch_execnz .LBB51_3030
	s_branch .LBB51_3031
.LBB51_3211:
	s_or_b32 s50, s50, exec_lo
	s_trap 2
	s_cbranch_execz .LBB51_3077
	s_branch .LBB51_3078
.LBB51_3212:
	s_and_not1_saveexec_b32 s5, s5
	s_cbranch_execz .LBB51_3042
.LBB51_3213:
	v_add_f32_e64 v1, 0x42800000, |v46|
	s_and_not1_b32 s4, s4, exec_lo
	s_delay_alu instid0(VALU_DEP_1) | instskip(NEXT) | instid1(VALU_DEP_1)
	v_and_b32_e32 v1, 0xff, v1
	v_cmp_ne_u32_e32 vcc_lo, 0, v1
	s_and_b32 s6, vcc_lo, exec_lo
	s_delay_alu instid0(SALU_CYCLE_1)
	s_or_b32 s4, s4, s6
	s_or_b32 exec_lo, exec_lo, s5
	v_mov_b32_e32 v4, 0
	s_and_saveexec_b32 s5, s4
	s_cbranch_execnz .LBB51_3043
	s_branch .LBB51_3044
.LBB51_3214:
	s_and_not1_saveexec_b32 s6, s6
	s_cbranch_execz .LBB51_3149
.LBB51_3215:
	v_add_f32_e64 v1, 0x46000000, |v0|
	s_and_not1_b32 s5, s5, exec_lo
	s_delay_alu instid0(VALU_DEP_1) | instskip(NEXT) | instid1(VALU_DEP_1)
	v_and_b32_e32 v1, 0xff, v1
	v_cmp_ne_u32_e32 vcc_lo, 0, v1
	s_and_b32 s7, vcc_lo, exec_lo
	s_delay_alu instid0(SALU_CYCLE_1)
	s_or_b32 s5, s5, s7
	s_or_b32 exec_lo, exec_lo, s6
	v_mov_b32_e32 v4, 0
	s_and_saveexec_b32 s6, s5
	s_cbranch_execnz .LBB51_3150
	s_branch .LBB51_3151
.LBB51_3216:
	s_mov_b32 s3, 0
	s_or_b32 s50, s50, exec_lo
	s_trap 2
	s_branch .LBB51_3195
.LBB51_3217:
	s_and_not1_saveexec_b32 s5, s5
	s_cbranch_execz .LBB51_3161
.LBB51_3218:
	v_add_f32_e64 v1, 0x42800000, |v0|
	s_and_not1_b32 s4, s4, exec_lo
	s_delay_alu instid0(VALU_DEP_1) | instskip(NEXT) | instid1(VALU_DEP_1)
	v_and_b32_e32 v1, 0xff, v1
	v_cmp_ne_u32_e32 vcc_lo, 0, v1
	s_and_b32 s6, vcc_lo, exec_lo
	s_delay_alu instid0(SALU_CYCLE_1)
	s_or_b32 s4, s4, s6
	s_or_b32 exec_lo, exec_lo, s5
	v_mov_b32_e32 v4, 0
	s_and_saveexec_b32 s5, s4
	s_cbranch_execnz .LBB51_3162
	s_branch .LBB51_3163
	.section	.rodata,"a",@progbits
	.p2align	6, 0x0
	.amdhsa_kernel _ZN2at6native32elementwise_kernel_manual_unrollILi128ELi4EZNS0_15gpu_kernel_implIN12_GLOBAL__N_110CalcIgammaIfEEEEvRNS_18TensorIteratorBaseERKT_EUlibE0_EEviT1_
		.amdhsa_group_segment_fixed_size 0
		.amdhsa_private_segment_fixed_size 144
		.amdhsa_kernarg_size 432
		.amdhsa_user_sgpr_count 2
		.amdhsa_user_sgpr_dispatch_ptr 0
		.amdhsa_user_sgpr_queue_ptr 0
		.amdhsa_user_sgpr_kernarg_segment_ptr 1
		.amdhsa_user_sgpr_dispatch_id 0
		.amdhsa_user_sgpr_kernarg_preload_length 0
		.amdhsa_user_sgpr_kernarg_preload_offset 0
		.amdhsa_user_sgpr_private_segment_size 0
		.amdhsa_wavefront_size32 1
		.amdhsa_uses_dynamic_stack 0
		.amdhsa_enable_private_segment 1
		.amdhsa_system_sgpr_workgroup_id_x 1
		.amdhsa_system_sgpr_workgroup_id_y 0
		.amdhsa_system_sgpr_workgroup_id_z 0
		.amdhsa_system_sgpr_workgroup_info 0
		.amdhsa_system_vgpr_workitem_id 0
		.amdhsa_next_free_vgpr 86
		.amdhsa_next_free_sgpr 86
		.amdhsa_named_barrier_count 0
		.amdhsa_reserve_vcc 1
		.amdhsa_float_round_mode_32 0
		.amdhsa_float_round_mode_16_64 0
		.amdhsa_float_denorm_mode_32 3
		.amdhsa_float_denorm_mode_16_64 3
		.amdhsa_fp16_overflow 0
		.amdhsa_memory_ordered 1
		.amdhsa_forward_progress 1
		.amdhsa_inst_pref_size 255
		.amdhsa_round_robin_scheduling 0
		.amdhsa_exception_fp_ieee_invalid_op 0
		.amdhsa_exception_fp_denorm_src 0
		.amdhsa_exception_fp_ieee_div_zero 0
		.amdhsa_exception_fp_ieee_overflow 0
		.amdhsa_exception_fp_ieee_underflow 0
		.amdhsa_exception_fp_ieee_inexact 0
		.amdhsa_exception_int_div_zero 0
	.end_amdhsa_kernel
	.section	.text._ZN2at6native32elementwise_kernel_manual_unrollILi128ELi4EZNS0_15gpu_kernel_implIN12_GLOBAL__N_110CalcIgammaIfEEEEvRNS_18TensorIteratorBaseERKT_EUlibE0_EEviT1_,"axG",@progbits,_ZN2at6native32elementwise_kernel_manual_unrollILi128ELi4EZNS0_15gpu_kernel_implIN12_GLOBAL__N_110CalcIgammaIfEEEEvRNS_18TensorIteratorBaseERKT_EUlibE0_EEviT1_,comdat
.Lfunc_end51:
	.size	_ZN2at6native32elementwise_kernel_manual_unrollILi128ELi4EZNS0_15gpu_kernel_implIN12_GLOBAL__N_110CalcIgammaIfEEEEvRNS_18TensorIteratorBaseERKT_EUlibE0_EEviT1_, .Lfunc_end51-_ZN2at6native32elementwise_kernel_manual_unrollILi128ELi4EZNS0_15gpu_kernel_implIN12_GLOBAL__N_110CalcIgammaIfEEEEvRNS_18TensorIteratorBaseERKT_EUlibE0_EEviT1_
                                        ; -- End function
	.set _ZN2at6native32elementwise_kernel_manual_unrollILi128ELi4EZNS0_15gpu_kernel_implIN12_GLOBAL__N_110CalcIgammaIfEEEEvRNS_18TensorIteratorBaseERKT_EUlibE0_EEviT1_.num_vgpr, max(86, .L_ZN12_GLOBAL__N_111calc_igammaIfEET_S1_S1_.num_vgpr, .L_ZN12_GLOBAL__N_112calc_igammacIfEET_S1_S1_.num_vgpr)
	.set _ZN2at6native32elementwise_kernel_manual_unrollILi128ELi4EZNS0_15gpu_kernel_implIN12_GLOBAL__N_110CalcIgammaIfEEEEvRNS_18TensorIteratorBaseERKT_EUlibE0_EEviT1_.num_agpr, max(0, .L_ZN12_GLOBAL__N_111calc_igammaIfEET_S1_S1_.num_agpr, .L_ZN12_GLOBAL__N_112calc_igammacIfEET_S1_S1_.num_agpr)
	.set _ZN2at6native32elementwise_kernel_manual_unrollILi128ELi4EZNS0_15gpu_kernel_implIN12_GLOBAL__N_110CalcIgammaIfEEEEvRNS_18TensorIteratorBaseERKT_EUlibE0_EEviT1_.numbered_sgpr, max(86, .L_ZN12_GLOBAL__N_111calc_igammaIfEET_S1_S1_.numbered_sgpr, .L_ZN12_GLOBAL__N_112calc_igammacIfEET_S1_S1_.numbered_sgpr)
	.set _ZN2at6native32elementwise_kernel_manual_unrollILi128ELi4EZNS0_15gpu_kernel_implIN12_GLOBAL__N_110CalcIgammaIfEEEEvRNS_18TensorIteratorBaseERKT_EUlibE0_EEviT1_.num_named_barrier, max(0, .L_ZN12_GLOBAL__N_111calc_igammaIfEET_S1_S1_.num_named_barrier, .L_ZN12_GLOBAL__N_112calc_igammacIfEET_S1_S1_.num_named_barrier)
	.set _ZN2at6native32elementwise_kernel_manual_unrollILi128ELi4EZNS0_15gpu_kernel_implIN12_GLOBAL__N_110CalcIgammaIfEEEEvRNS_18TensorIteratorBaseERKT_EUlibE0_EEviT1_.private_seg_size, 0+max(.L_ZN12_GLOBAL__N_111calc_igammaIfEET_S1_S1_.private_seg_size, .L_ZN12_GLOBAL__N_112calc_igammacIfEET_S1_S1_.private_seg_size)
	.set _ZN2at6native32elementwise_kernel_manual_unrollILi128ELi4EZNS0_15gpu_kernel_implIN12_GLOBAL__N_110CalcIgammaIfEEEEvRNS_18TensorIteratorBaseERKT_EUlibE0_EEviT1_.uses_vcc, or(1, .L_ZN12_GLOBAL__N_111calc_igammaIfEET_S1_S1_.uses_vcc, .L_ZN12_GLOBAL__N_112calc_igammacIfEET_S1_S1_.uses_vcc)
	.set _ZN2at6native32elementwise_kernel_manual_unrollILi128ELi4EZNS0_15gpu_kernel_implIN12_GLOBAL__N_110CalcIgammaIfEEEEvRNS_18TensorIteratorBaseERKT_EUlibE0_EEviT1_.uses_flat_scratch, or(0, .L_ZN12_GLOBAL__N_111calc_igammaIfEET_S1_S1_.uses_flat_scratch, .L_ZN12_GLOBAL__N_112calc_igammacIfEET_S1_S1_.uses_flat_scratch)
	.set _ZN2at6native32elementwise_kernel_manual_unrollILi128ELi4EZNS0_15gpu_kernel_implIN12_GLOBAL__N_110CalcIgammaIfEEEEvRNS_18TensorIteratorBaseERKT_EUlibE0_EEviT1_.has_dyn_sized_stack, or(0, .L_ZN12_GLOBAL__N_111calc_igammaIfEET_S1_S1_.has_dyn_sized_stack, .L_ZN12_GLOBAL__N_112calc_igammacIfEET_S1_S1_.has_dyn_sized_stack)
	.set _ZN2at6native32elementwise_kernel_manual_unrollILi128ELi4EZNS0_15gpu_kernel_implIN12_GLOBAL__N_110CalcIgammaIfEEEEvRNS_18TensorIteratorBaseERKT_EUlibE0_EEviT1_.has_recursion, or(0, .L_ZN12_GLOBAL__N_111calc_igammaIfEET_S1_S1_.has_recursion, .L_ZN12_GLOBAL__N_112calc_igammacIfEET_S1_S1_.has_recursion)
	.set _ZN2at6native32elementwise_kernel_manual_unrollILi128ELi4EZNS0_15gpu_kernel_implIN12_GLOBAL__N_110CalcIgammaIfEEEEvRNS_18TensorIteratorBaseERKT_EUlibE0_EEviT1_.has_indirect_call, or(0, .L_ZN12_GLOBAL__N_111calc_igammaIfEET_S1_S1_.has_indirect_call, .L_ZN12_GLOBAL__N_112calc_igammacIfEET_S1_S1_.has_indirect_call)
	.section	.AMDGPU.csdata,"",@progbits
; Kernel info:
; codeLenInByte = 60780
; TotalNumSgprs: 88
; NumVgprs: 86
; ScratchSize: 144
; MemoryBound: 1
; FloatMode: 240
; IeeeMode: 1
; LDSByteSize: 0 bytes/workgroup (compile time only)
; SGPRBlocks: 0
; VGPRBlocks: 5
; NumSGPRsForWavesPerEU: 88
; NumVGPRsForWavesPerEU: 86
; NamedBarCnt: 0
; Occupancy: 10
; WaveLimiterHint : 1
; COMPUTE_PGM_RSRC2:SCRATCH_EN: 1
; COMPUTE_PGM_RSRC2:USER_SGPR: 2
; COMPUTE_PGM_RSRC2:TRAP_HANDLER: 0
; COMPUTE_PGM_RSRC2:TGID_X_EN: 1
; COMPUTE_PGM_RSRC2:TGID_Y_EN: 0
; COMPUTE_PGM_RSRC2:TGID_Z_EN: 0
; COMPUTE_PGM_RSRC2:TIDIG_COMP_CNT: 0
	.text
	.p2alignl 7, 3214868480
	.fill 96, 4, 3214868480
	.section	.AMDGPU.gpr_maximums,"",@progbits
	.set amdgpu.max_num_vgpr, 214
	.set amdgpu.max_num_agpr, 0
	.set amdgpu.max_num_sgpr, 96
	.text
	.type	__const._ZN12_GLOBAL__N_130_igam_helper_asymptotic_seriesIdEET_S1_S1_b.d,@object ; @__const._ZN12_GLOBAL__N_130_igam_helper_asymptotic_seriesIdEET_S1_S1_b.d
	.section	.rodata,"a",@progbits
	.p2align	4, 0x0
__const._ZN12_GLOBAL__N_130_igam_helper_asymptotic_seriesIdEET_S1_S1_b.d:
	.quad	0xbfd5555555555555              ; double -0.33333333333333331
	.quad	0x3fb5555555555555              ; double 0.083333333333333329
	.quad	0xbf8e573ac901e574              ; double -0.014814814814814815
	.quad	0x3f52f684bda12f68              ; double 0.0011574074074074073
	.quad	0x3f371de3a556c734              ; double 3.5273368606701942E-4
	.quad	0xbf276e06fec7273b              ; double -1.787551440329218E-4
	.quad	0x3f048c5892f7cd83              ; double 3.9192631785224377E-5
	.quad	0xbec255370652afc2              ; double -2.1854485106799924E-6
	.quad	0xbebf1b22f594c6b5              ; double -1.85406221071516E-6
	.quad	0x3eabd6d21e4b4109              ; double 8.2967113409530865E-7
	.quad	0xbe87b5f9a2d0465c              ; double -1.7665952736826078E-7
	.quad	0x3e3ccf5ceb7f0d9f              ; double 6.7078535434014984E-9
	.quad	0x3e46097d55c37c1c              ; double 1.0261809784240309E-8
	.quad	0xbe32d2197c7a2faa              ; double -4.3820360184533529E-9
	.quad	0x3e0f6e66d24d5c8a              ; double 9.1476995822367902E-10
	.quad	0xbdbc0d9b6edf2b0c              ; double -2.5514193994946251E-11
	.quad	0xbdd0070a87340428              ; double -5.8307721325504256E-11
	.quad	0x3dbac9475c463659              ; double 2.4361948020667415E-11
	.quad	0xbd961ca701fd754a              ; double -5.0276692801141755E-12
	.quad	0x3d3ef98008f5eec2              ; double 1.1004392031956135E-13
	.quad	0x3d57ba0759769d7d              ; double 3.3717632624009856E-13
	.quad	0xbd43989bebb193c0              ; double -1.3923887224181621E-13
	.quad	0x3d20104fc4369a3c              ; double 2.8534893807047445E-14
	.quad	0xbcc283fe7950ad7b              ; double -5.1391118342425723E-16
	.quad	0xbce1ca914d71a27c              ; double -1.9752288294349442E-15
	.quad	0xbf5e573ac901e574              ; double -0.0018518518518518519
	.quad	0xbf6c71c71c71c71c              ; double -0.003472222222222222
	.quad	0x3f65ac056b015ac0              ; double 0.0026455026455026454
	.quad	0xbf50394f6f09e723              ; double -9.9022633744855963E-4
	.quad	0x3f2af83440e53dbc              ; double 2.0576131687242798E-4
	.quad	0xbe9af83440e53dbc              ; double -4.018775720164609E-7
	.quad	0xbef2fa4ae89e5af0              ; double -1.8098550334489977E-5
	.quad	0x3ee00a9cabd6b83e              ; double 7.6491609160811098E-6
	.quad	0xbebb0bdfcc629cba              ; double -1.6120900894563446E-6
	.quad	0x3e33f59230a8357c              ; double 4.647127802807434E-9
	.quad	0x3e8280f2cde3f847              ; double 1.3786334469157209E-7
	.quad	0xbe6ee23d0cba8aee              ; double -5.7525456035177047E-8
	.quad	0x3e49aa7a30de114c              ; double 1.1951628599778148E-8
	.quad	0xbdb349fbca3a377b              ; double -1.7543241719747647E-11
	.quad	0xbe11564ecff73d58              ; double -1.0091543710600413E-9
	.quad	0x3dfc9b434bf3c34e              ; double 4.1627929918425828E-10
	.quad	0xbdd78a5056f8ce45              ; double -8.5639070264929801E-11
	.quad	0x3d3113e3a466db9e              ; double 6.0672151016047582E-14
	.quad	0x3d9f8041c5540ea2              ; double 7.1624989648114856E-12
	.quad	0xbd89ccf2fab4608b              ; double -2.9331866437714371E-12
	.quad	0x3d6519580a10cd82              ; double 5.9966963656836885E-13
	.quad	0xbcaf3b7a5dcd1851              ; double -2.1671786527323313E-16
	.quad	0xbd2c068b448455ea              ; double -4.9783399723692617E-14
	.quad	0x3d16d8a9ef5c1827              ; double 2.0291628823713425E-14
	.quad	0xbcf29b03783db2a2              ; double -4.1312557138106099E-15
	.quad	0x3f70ee643b990ee6              ; double 0.0041335978835978834
	.quad	0xbf65f7268edab4c8              ; double -0.0026813271604938273
	.quad	0x3f4948b0fcd6e9e0              ; double 7.716049382716049E-4
	.quad	0x3ec0db20a88f4696              ; double 2.0093878600823047E-6
	.quad	0xbf1c253efaa1a933              ; double -1.0736653226365161E-4
	.quad	0x3f0bbf43daf4fe53              ; double 5.2923448829120125E-5
	.quad	0xbeeac2d05890f2c3              ; double -1.2760635188618728E-5
	.quad	0x3e626154ae39151d              ; double 3.4235787340961378E-8
	.quad	0x3eb7058929663936              ; double 1.3721957309062932E-6
	.quad	0xbea522cb05171911              ; double -6.2989921383800548E-7
	.quad	0x3e832ac81c15d3d7              ; double 1.4280614206064242E-7
	.quad	0xbdec24bd0e740a6c              ; double -2.0477098421990866E-10
	.quad	0xbe4e437343a46f5d              ; double -1.409252991086752E-8
	.quad	0x3e3ac0d455e25360              ; double 6.2289740849220218E-9
	.quad	0xbe177c5829460138              ; double -1.3670488396617112E-9
	.quad	0x3d70962774f638bb              ; double 9.428356159014678E-13
	.quad	0x3de1b1056c188672              ; double 1.2872252400089318E-10
	.quad	0xbdce9778dbc61371              ; double -5.5645956134363323E-11
	.quad	0x3daa55da34225759              ; double 1.1975935546366981E-11
	.quad	0xbcf2c681309d6007              ; double -4.1689782251838634E-15
	.quad	0xbd733f39f65c6eee              ; double -1.0940640427884595E-12
	.quad	0x3d60675f56b95f3b              ; double 4.6622399463901356E-13
	.quad	0xbd3be16182b001e8              ; double -9.9051057639069066E-14
	.quad	0x3c75d3b42a398b8f              ; double 1.8931876768373515E-17
	.quad	0x3d03f2fe637bc2b8              ; double 8.8592218725911265E-15
	.quad	0x3f4547d93b34e2b6              ; double 6.4943415637860077E-4
	.quad	0x3f2e13ce465fa859              ; double 2.2947209362139917E-4
	.quad	0xbf3ebfb188b7ca00              ; double -4.691894943952557E-4
	.quad	0x3f318b9b5bf2d984              ; double 2.6772063206283885E-4
	.quad	0xbf13d2a3a29b5d9d              ; double -7.5618016718839766E-5
	.quad	0xbe90152a1871f27a              ; double -2.3965051138672968E-7
	.quad	0x3ee73df462204ef4              ; double 1.1082654115347302E-5
	.quad	0xbed7cd6f27b3f020              ; double -5.6749528269915965E-6
	.quad	0x3eb7e0201539310e              ; double 1.4230900732435883E-6
	.quad	0xbdbea23269c140a7              ; double -2.7861080291528143E-11
	.quad	0xbe86c2dcffbefeef              ; double -1.6958404091930278E-7
	.quad	0x3e75bde8ef4c4dc7              ; double 8.0994649053880827E-8
	.quad	0xbe54853ced169327              ; double -1.9111168485973655E-8
	.quad	0x3d850c3f0dd501eb              ; double 2.3928620439808118E-12
	.quad	0x3e21b66a39794ba9              ; double 2.0620131815488797E-9
	.quad	0xbe1040c53b2491f0              ; double -9.460496661855133E-10
	.quad	0x3ded9b15465daec1              ; double 2.1541049775774907E-10
	.quad	0xbd0f46057e1c9d1f              ; double -1.388823336813903E-14
	.quad	0xbdb812d3d94d533b              ; double -2.1894761681963938E-11
	.quad	0x3da587d7a7c1a668              ; double 9.7909989511716843E-12
	.quad	0xbd8328e9df2eb8b6              ; double -2.1782191880180961E-12
	.quad	0x3c91e54cdbaa3443              ; double 6.2088195734079008E-17
	.quad	0x3d4def3f46a086e5              ; double 2.1269783632797371E-13
	.quad	0xbd3a4d8ed36b49dc              ; double -9.344688791517433E-14
	.quad	0x3d17075e8dcfddd0              ; double 2.0453671226782849E-14
	.quad	0xbf4c3e0b02da7bf9              ; double -8.6188829091671172E-4
	.quad	0x3f49b0ff6874f2c4              ; double 7.8403922172006662E-4
	.quad	0xbf33999a85a4237a              ; double -2.9907248030319018E-4
	.quad	0xbeb88f2ae1def9d0              ; double -1.4638452578843418E-6
	.quad	0x3f116908b48ce058              ; double 6.6414982154651219E-5
	.quad	0xbf04ce3fd902bcad              ; double -3.9683650471794347E-5
	.quad	0x3ee7db4c02846e81              ; double 1.1375726970678419E-5
	.quad	0x3df13b3c5b7cb45e              ; double 2.5074972262375329E-10
	.quad	0xbebc71c074985d3f              ; double -1.6954149536558305E-6
	.quad	0x3eade37d9f09164c              ; double 8.9075075322053094E-7
	.quad	0xbe8ec676cf33153c              ; double -2.2929348340008049E-7
	.quad	0x3dc041515bab6ada              ; double 2.9567941375440492E-11
	.quad	0x3e5efe94304ac16b              ; double 2.8865829742708783E-8
	.quad	0xbe4e78e449f4e3be              ; double -1.4189739437803219E-8
	.quad	0x3e2d9a9f1a8b7696              ; double 3.4463580499464896E-9
	.quad	0xbd5033ba70791e5e              ; double -2.3024517174528067E-13
	.quad	0xbdfb14f212618752              ; double -3.9409233028046403E-10
	.quad	0x3de9911dbca7ce93              ; double 1.8602338968504501E-10
	.quad	0xbdc7f2fac5e22aae              ; double -4.3563230050566177E-11
	.quad	0x3cd7088090f49aab              ; double 1.278600101629623E-15
	.quad	0x3d949465337812c4              ; double 4.6792750266579197E-12
	.quad	0xbd82e7ac3cc20208              ; double -2.149246470613483E-12
	.quad	0x3d614577d11fe2b7              ; double 4.908815614809652E-13
	.quad	0xbc5d3b49b9fd2152              ; double -6.3385914848915601E-18
	.quad	0xbd2c6716fd28d001              ; double -5.0453320690800942E-14
	.quad	0xbf36128ac5a4fa71              ; double -3.3679855336635813E-4
	.quad	0xbf1247604839c039              ; double -6.9728137583658585E-5
	.quad	0x3f322be87360ef1f              ; double 2.7727532449593918E-4
	.quad	0xbf2a2042c5148e27              ; double -1.9932570516188847E-4
	.quad	0x3f11d1e9cb24760b              ; double 6.797780477937208E-5
	.quad	0x3e830bdcf208080e              ; double 1.4190629206439671E-7
	.quad	0xbeec823fc1b3cc36              ; double -1.3594048189768693E-5
	.quad	0x3ee0d0e229150428              ; double 8.018470256334202E-6
	.quad	0xbec338eb19652fd9              ; double -2.2914811765080952E-6
	.quad	0xbdf659cfde0bb2eb              ; double -3.2524735512984538E-10
	.quad	0x3e9741504e5c87c2              ; double 3.4652846491085265E-7
	.quad	0xbe88c267becd0c0f              ; double -1.8447187191171344E-7
	.quad	0x3e69e630225a095b              ; double 4.8240967037894184E-8
	.quad	0xbd14411c5ac40e35              ; double -1.7989466721743514E-14
	.quad	0xbe3b15bbf334c8c3              ; double -6.3061945000135231E-9
	.quad	0x3e2b2a3adb58623d              ; double 3.1624176287745678E-9
	.quad	0xbe0af0f32d677057              ; double -7.8409242536974288E-10
	.quad	0x3cf762c060bd9bda              ; double 5.1926791652540408E-15
	.quad	0x3dd9b9c5831849dc              ; double 9.3589442423067842E-11
	.quad	0xbdc8d0152b8692ba              ; double -4.513426216163278E-11
	.quad	0x3da7bf5ea6674b5f              ; double 1.0799129993116828E-11
	.quad	0xbc851bfdafa33430              ; double -3.661886712685252E-17
	.quad	0xbd754d6b090f18db              ; double -1.2109020690551549E-12
	.quad	0x3d63fcc249cb50d9              ; double 5.6807435849905644E-13
	.quad	0xbd42a5b16d7de31e              ; double -1.3249659916340829E-13
	.quad	0x3f4168ef1b0931c8              ; double 5.3130793646399225E-4
	.quad	0xbf436773bdb97b48              ; double -5.9216643735369393E-4
	.quad	0x3f31c0950d3ecb9d              ; double 2.708782096718045E-4
	.quad	0x3eaa8411da6cab49              ; double 7.9023532326603281E-7
	.quad	0xbf15600945495b37              ; double -8.1539693675619691E-5
	.quad	0x3f0d6bdf83130dc1              ; double 5.6116827531062497E-5
	.quad	0xbef3382f4cf48618              ; double -1.8329116582843375E-5
	.quad	0xbe2a74243fa27729              ; double -3.0796134506033047E-9
	.quad	0x3ecd115d4f5dcc68              ; double 3.4651553688036091E-6
	.quad	0xbec10587854fcb37              ; double -2.0291327396058603E-6
	.quad	0x3ea36c8903447d35              ; double 5.7887928631490039E-7
	.quad	0x3d5074e709bf4b8b              ; double 2.3386306738266568E-13
	.quad	0xbe77b2f7de505322              ; double -8.828600746330484E-8
	.quad	0x3e69778c6d79bcc1              ; double 4.7435958880408125E-8
	.quad	0xbe4af0ea334cc20d              ; double -1.2545415020710382E-8
	.quad	0x3d3858ba968e7d04              ; double 8.6496488580102926E-14
	.quad	0x3e1cf0f99fa070bc              ; double 1.6846058979264062E-9
	.quad	0xbe0d77155071f99b              ; double -8.5754928235775943E-10
	.quad	0x3dedaf3327a51b54              ; double 2.1598224929232125E-10
	.quad	0xbccb6df73b581619              ; double -7.6132305204761534E-16
	.quad	0xbdbd4a717ac2b965              ; double -2.6639822008536144E-11
	.quad	0x3dacbb55e3e29ba5              ; double 1.3065700536611057E-11
	.quad	0xbd8bf888fe9ca81c              ; double -3.1799163902367977E-12
	.quad	0x3c55b9bd2acc211f              ; double 4.7109761213674312E-18
	.quad	0x3d59f7d14e8f487b              ; double 3.6902800842763465E-13
	.quad	0x3f3691879c01efb4              ; double 3.4436760689237765E-4
	.quad	0x3f0b1d75d3346711              ; double 5.1717909082605919E-5
	.quad	0xbf35f3385098cebf              ; double -3.3493161081142234E-4
	.quad	0x3f326eeb5ece1d9f              ; double 2.8126951547632369E-4
	.quad	0xbf1cc642787368ce              ; double -1.0976582244684731E-4
	.quad	0xbe8119c70312e0a2              ; double -1.2741009095484485E-7
	.quad	0x3efd179830b113ab              ; double 2.7744451511563645E-5
	.quad	0xbef3269164e3e304              ; double -1.8263488805711332E-5
	.quad	0x3ed8467d794bd7f2              ; double 5.7876949497350525E-6
	.quad	0x3e00f82da50cdaee              ; double 4.9387589339362701E-10
	.quad	0xbeb1c6acec59f442              ; double -1.0595367014026043E-6
	.quad	0x3ea4b12ad51452d5              ; double 6.1667143761104078E-7
	.quad	0xbe87929779607d63              ; double -1.7562973359060463E-7
	.quad	0xbd76d32eed259534              ; double -1.2974473287015439E-12
	.quad	0x3e5cf11fbdf49e99              ; double 2.6954236062889659E-8
	.quad	0xbe4f4e88c5d1cae1              ; double -1.4578352908731272E-8
	.quad	0x3e30b2830e4dfce1              ; double 3.887645959386175E-9
	.quad	0xbc865f59322ddf56              ; double -3.8810022510194121E-17
	.quad	0xbe024e8da0f96246              ; double -5.3279941738772864E-10
	.quad	0x3df2daf0a8add2ab              ; double 2.7437977643314844E-10
	.quad	0xbdd33ada96417614              ; double -6.995796092070568E-11
	.quad	0x3c7ddc4a629af677              ; double 2.5899863874868481E-17
	.quad	0x3da379df6a52f424              ; double 8.8566890996696388E-12
	.quad	0xbd935d870109f334              ; double -4.4031688158713109E-12
	.quad	0x3d731d6a00ba6216              ; double 1.0865561947091654E-12
	.quad	0xbf45629b3187b744              ; double -6.5262391859530937E-4
	.quad	0x3f4b8239c670e690              ; double 8.3949872067208726E-4
	.quad	0xbf3cb967b4446107              ; double -4.3829709854172099E-4
	.quad	0xbea762676b30cfd6              ; double -6.9690914584205523E-7
	.quad	0x3f25d1157082916d              ; double 1.6644846642067547E-4
	.quad	0xbf20c16fcea7ddb2              ; double -1.2783517679769218E-4
	.quad	0x3f084637d3f583cd              ; double 4.6299532636913042E-5
	.quad	0x3e33937992ec9b02              ; double 4.557909867922708E-9
	.quad	0xbee6384af9ac219d              ; double -1.0595271125805195E-5
	.quad	0x3edc738f198ab550              ; double 6.7833429048651668E-6
	.quad	0xbec1adec9530a7ad              ; double -2.1075476666258803E-6
	.quad	0xbdb2ed3c124b7492              ; double -1.7213731432817144E-11
	.quad	0x3e9952f970ac9b03              ; double 3.7735877416110978E-7
	.quad	0xbe8d599e3b2187a2              ; double -2.1867506700122867E-7
	.quad	0x3e70b282393d4893              ; double 6.2202288040189267E-8
	.quad	0x3cc7c54ec550bd4b              ; double 6.5977038267330002E-16
	.quad	0xbe44985ee872fc56              ; double -9.5903864974256859E-9
	.quad	0x3e3663fd6d84752e              ; double 5.2132144922808074E-9
	.quad	0xbe180990f0dfb26a              ; double -1.3991589583935709E-9
	.quad	0x3cc36412c0552a81              ; double 5.3820589990605749E-16
	.quad	0x3deac79309fc7363              ; double 1.9484714275467745E-10
	.quad	0xbddbd671f048b194              ; double -1.0127287556389682E-10
	.quad	0x3dbcac1ee5de78aa              ; double 2.6077347197254926E-11
	.quad	0xbc5779b4a6572e09              ; double -5.0904186999932991E-18
	.quad	0xbd8da96613f7775a              ; double -3.3721464474854593E-12
	.quad	0xbf438dff1cc96982              ; double -5.9676129019274626E-4
	.quad	0xbf12e31f9b7913ea              ; double -7.2048954160200109E-5
	.quad	0x3f463969bb825829              ; double 6.782308837667328E-4
	.quad	0xbf44f9f2582dd0a5              ; double -6.401475260262758E-4
	.quad	0x3f322fb20c28e8a0              ; double 2.7750107634328704E-4
	.quad	0x3e886c71c8cebf16              ; double 1.8197008380465151E-7
	.quad	0xbf163a803aebc9b7              ; double -8.4795071170685031E-5
	.quad	0x3f100120036172b0              ; double 6.1051920825015314E-5
	.quad	0xbef618fcc48d37bc              ; double -2.1073920183404862E-5
	.quad	0xbe0e7018e8be3330              ; double -8.8585890141255993E-10
	.quad	0x3ed2fe63d892e1a9              ; double 4.5284535953805374E-6
	.quad	0xbec7d8d3a891d8ba              ; double -2.8427815022504407E-6
	.quad	0x3ead3850f27b27e8              ; double 8.7082341778646408E-7
	.quad	0x3d903901807110d2              ; double 3.6886101871706966E-12
	.quad	0xbe849865a9b6fd04              ; double -1.5344695190702061E-7
	.quad	0x3e77ca3da4d350ce              ; double 8.8624667787906948E-8
	.quad	0xbe5b0abf9d310d85              ; double -2.5184812301826817E-8
	.quad	0xbd0706d644652279              ; double -1.0225912098215092E-14
	.quad	0x3e30bcbd16605be3              ; double 3.8969470758154778E-9
	.quad	0xbe2244bad2fffd4f              ; double -2.1267304792235634E-9
	.quad	0x3e03b6549adcccb6              ; double 5.7370135528051383E-10
	.quad	0xbc0bdbb7a0bc6bce              ; double -1.887749850169741E-19
	.quad	0xbdd63f0cfd72ae16              ; double -8.0931538694657872E-11
	.quad	0x3dc74cd688c73fed              ; double 4.23827232834492E-11
	.quad	0xbda831b3a872b284              ; double -1.1002224534207727E-11
	.quad	0x3f55d4ae684527bf              ; double 0.0013324454494800656
	.quad	0xbf5f5dbcaf756cde              ; double -0.0019144384985654776
	.quad	0x3f522b37f1b46951              ; double 0.0011089369134596636
	.quad	0x3eb0a9ef61e90004              ; double 9.9324041226422995E-7
	.quad	0xbf40aba998a532bf              ; double -5.0874501293093194E-4
	.quad	0x3f3c01c0b52c3345              ; double 4.2735056665392886E-4
	.quad	0xbf2618e482f9d22a              ; double -1.68588537679108E-4
	.quad	0xbe41759e6f571329              ; double -8.1301893922785004E-9
	.quad	0x3f07bdf837b4e130              ; double 4.5284402370562144E-5
	.quad	0xbf00650f761692a2              ; double -3.1270536747817339E-5
	.quad	0x3ee5ea3af60786b1              ; double 1.0449868285303381E-5
	.quad	0x3dcaa0a6ef89a12a              ; double 4.8435226265680926E-11
	.quad	0xbec205588c7220b7              ; double -2.1482565873456259E-6
	.quad	0x3eb64d9971a80133              ; double 1.329369701097492E-6
	.quad	0xbe9b0abf52fc4d58              ; double -4.029569309210103E-7
	.quad	0xbd48b97eb7553f43              ; double -1.7567877666323291E-13
	.quad	0x3e72d454a640f7f8              ; double 7.0145043163668253E-8
	.quad	0xbe65b19dcac0a663              ; double -4.0407877349994832E-8
	.quad	0x3e48a3e9b486f0da              ; double 1.1474026743371962E-8
	.quad	0x3c524830817ba61f              ; double 3.9642746853563326E-18
	.quad	0xbe1e96b1d57d29c3              ; double -1.7804938269892715E-9
	.quad	0x3e10bf3a2f6afa8a              ; double 9.7480262548731649E-10
	.quad	0xbdf22546bbf739c6              ; double -2.6405338676507616E-10
	.quad	0x3c5ab9618d3701a6              ; double 5.7948751634037417E-18
	.quad	0x3dc4b273207b9023              ; double 3.7647749553543838E-11
	.quad	0x3f59e1dba8ec5904              ; double 0.001579727660730835
	.quad	0x3f254d241144693f              ; double 1.6251626278391583E-4
	.quad	0xbf60e7245b5e0240              ; double -0.0020633421035543276
	.quad	0x3f6185be08721041              ; double 0.0021389686185689098
	.quad	0xbf508fd64cc4d9d6              ; double -0.0010108559391263003
	.quad	0xbe9ac8f35a61360f              ; double -3.9912705529919201E-7
	.quad	0x3f37bf3a7a227118              ; double 3.6235025084764691E-4
	.quad	0xbf3271c35d1a742a              ; double -2.8143901463712157E-4
	.quad	0x3f1b648cb8b91d61              ; double 1.0449513336495887E-4
	.quad	0x3e223870b487d429              ; double 2.1211418491830298E-9
	.quad	0xbefb081c1069b36a              ; double -2.5779417251947842E-5
	.quad	0x3ef21f0d8e42b54d              ; double 1.7281818956040464E-5
	.quad	0xbed7a962022d07b2              ; double -5.6413773872904282E-6
	.quad	0xbda83e23f727e2fe              ; double -1.1024320105776174E-11
	.quad	0x3eb2d456933154b1              ; double 1.1223224418895176E-6
	.quad	0xbea70cb7c2ec0c52              ; double -6.8693396379526738E-7
	.quad	0x3e8bb865efbb7c49              ; double 2.0653236975414888E-7
	.quad	0x3d2a4c4ee6f7598a              ; double 4.6714772409838506E-14
	.quad	0xbe631e2f7c2057dd              ; double -3.5609886164949055E-8
	.quad	0x3e55fafc6207f6ce              ; double 2.0470855345905963E-8
	.quad	0xbe38f34113f0801a              ; double -5.8091738633283357E-9
	.quad	0xbca3353e1d7f8951              ; double -1.3328212875828689E-16
	.quad	0x3e0f0bacd0370f00              ; double 9.0354604391335134E-10
	.quad	0xbe010ac14ad52eba              ; double -4.9598782517330839E-10
	.quad	0x3de2876b3785de06              ; double 1.3481607129399748E-10
	.quad	0xbf70ae56a5daa127              ; double -0.0040725121195140162
	.quad	0x3f7a3a699f4a401b              ; double 0.0064033628338080696
	.quad	0xbf708d50006f5e0e              ; double -0.004041016108167662
	.quad	0xbec25187cdea1eeb              ; double -2.1837328028662332E-6
	.quad	0x3f61cf4d14eb1812              ; double 0.002174044180125464
	.quad	0xbf60237b58c76530              ; double -0.0019700440518418891
	.quad	0x3f4b647f0b161ed3              ; double 8.3595469747962459E-4
	.quad	0x3e54e11fb9ab4d6e              ; double 1.9445447567109655E-8
	.quad	0xbf30e5103ef55b59              ; double -2.5779387120421698E-4
	.quad	0x3f28eab17b1a5667              ; double 1.9009987368139304E-4
	.quad	0xbf11bf09035d225d              ; double -6.7696499937438964E-5
	.quad	0xbde3d8d849a65517              ; double -1.4440629666426571E-10
	.quad	0x3ef079cba3747641              ; double 1.5712512518742267E-5
	.quad	0xbee59bec2daecc91              ; double -1.0304008744776892E-5
	.quad	0x3ecbb865dacf43ba              ; double 3.3045177674013869E-6
	.quad	0x3d6c166cf2213dbe              ; double 7.9829760242325708E-13
	.quad	0xbea581f5664ec1e3              ; double -6.4097794149312999E-7
	.quad	0x3e9a1a0baff44abe              ; double 3.8894624761300054E-7
	.quad	0xbe7f3011553e9943              ; double -1.161834764494887E-7
	.quad	0xbce95f1e554e1fc0              ; double -2.816808630596451E-15
	.quad	0x3e555806ce2925dd              ; double 1.9878012911297094E-8
	.quad	0xbe487f75dac1bcf1              ; double -1.1407719956357511E-8
	.quad	0x3e2bcb20d29db62e              ; double 3.2355857064185554E-9
	.quad	0x3be8a6832e8ed281              ; double 4.1759468293455943E-20
	.quad	0xbe0153438ee8db49              ; double -5.0423112718105821E-10
	.quad	0xbf785c7ccbc5fc12              ; double -0.0059475779383993
	.quad	0xbf41b33b019b3e6f              ; double -5.4016476789260452E-4
	.quad	0x3f82010998f1553a              ; double 0.0087910413550767903
	.quad	0xbf84303ce949bb43              ; double -0.0098576315587856119
	.quad	0x3f748900f8e29435              ; double 0.0050134695031021541
	.quad	0x3eb57cc9e9a6596f              ; double 1.2807521786221875E-6
	.quad	0xbf60e596fb46b154              ; double -0.0020626019342754685
	.quad	0x3f5c0816b1314cf1              ; double 0.0017109128573523059
	.quad	0xbf462eb1c560282d              ; double -6.7695312714133803E-4
	.quad	0xbe3da3e6523aaa76              ; double -6.9011545676562137E-9
	.quad	0x3f28b6bb2cc02754              ; double 1.8855128143995903E-4
	.quad	0xbf218eb043924ff5              ; double -1.339521566349197E-4
	.quad	0x3f084156dd77628d              ; double 4.6263183033528039E-5
	.quad	0x3dc602512b27e94c              ; double 4.0034230613321352E-11
	.quad	0xbee581f634675d03              ; double -1.0255652921494033E-5
	.quad	0x3edbbbac7672b130              ; double 6.6120863727976508E-6
	.quad	0xbec18b098b674d56              ; double -2.0913022027253007E-6
	.quad	0xbd4d7cac376be54f              ; double -2.0951775649603836E-13
	.quad	0x3e9aae08a5f2b88d              ; double 3.9756029041993248E-7
	.quad	0xbe9013a5585a3e12              ; double -2.3956211978815888E-7
	.quad	0x3e731ba687133284              ; double 7.1182883382145858E-8
	.quad	0x3cd01431e3f933d6              ; double 8.9255748730534553E-16
	.quad	0xbe49fce55cf292a0              ; double -1.2101547235064675E-8
	.quad	0x3e3dc92e5d9a0e3b              ; double 6.9350618248334389E-9
	.quad	0xbe20e39a0cc2ec99              ; double -1.9661464453856102E-9
	.quad	0x3f91d1d650ed0c93              ; double 0.017402027787522711
	.quad	0xbf9e3c8e8bed86bc              ; double -0.029527880945699123
	.quad	0x3f9486e7effed53e              ; double 0.020045875571402798
	.quad	0x3edd7b4780bea3b5              ; double 7.0289515966903405E-6
	.quad	0xbf895848e63486fe              ; double -0.012375421071343148
	.quad	0x3f888706e55cc0cd              ; double 0.011976293444235253
	.quad	0xbf762eac168d2782              ; double -0.0054156038466518525
	.quad	0xbe70fd512bea82b1              ; double -6.3290893396418622E-8
	.quad	0x3f5ee468e4a5f58f              ; double 0.0018855118129005065
	.quad	0xbf582431e1b8c909              ; double -0.001473473274825001
	.quad	0x3f423100f1a3a0db              ; double 5.5515810097708383E-4
	.quad	0x3e0201c0ffe9ba4d              ; double 5.2406834412550662E-10
	.quad	0xbf22d1b761a9f916              ; double -1.4357913535784837E-4
	.quad	0x3f19fff1a4a27ea0              ; double 9.9181293224943293E-5
	.quad	0xbf018b09870ea0cd              ; double -3.3460834749478309E-5
	.quad	0xbd8f737fafb85756              ; double -3.5755837291098991E-12
	.quad	0x3ede03c9b879aefc              ; double 7.1560851960630075E-6
	.quad	0xbed3175457fe1a62              ; double -4.5516802628155527E-6
	.quad	0x3eb7e29028144e09              ; double 1.4236576649271474E-6
	.quad	0x3d152ba383fd9af1              ; double 1.8803149082089665E-14
	.quad	0xbe91ddddafb245ed              ; double -2.6623403898929208E-7
	.quad	0x3e856899531b5ee8              ; double 1.5950642189595716E-7
	.quad	0xbe6955671300d859              ; double -4.7187514673841103E-8
	.quad	0xbc92c41cf2b85954              ; double -6.5107872958755182E-17
	.quad	0x3e4122c811c56ff1              ; double 7.979509102674624E-9
	.quad	0x3f9ef9a05c03d2e9              ; double 0.030249124160905892
	.quad	0x3f645497f334cd1d              ; double 0.0024817436002649977
	.quad	0xbfa9919f49d95e46              ; double -0.049939134373457025
	.quad	0x3faead435e7cd1d3              ; double 0.059915643009307872
	.quad	0xbfa0a1a394a2e4b2              ; double -0.03248320760162339
	.quad	0xbed7ff321b78f2fd              ; double -5.7212968652103442E-6
	.quad	0x3f8ee5043853b987              ; double 0.015085251778569354
	.quad	0xbf8b28c0c73a65de              ; double -0.013261324005088445
	.quad	0x3f76bd327be56cf6              ; double 0.0055515262632426145
	.quad	0x3e603f5710abeebc              ; double 3.0263182257030013E-8
	.quad	0xbf5c3a98ac5d2c9a              ; double -0.0017229548406756724
	.quad	0x3f551ff48c35df65              ; double 0.0012893570099929638
	.quad	0xbf3eb34f5f300209              ; double -4.6845138348319875E-4
	.quad	0xbde927a79848909f              ; double -1.830259937893045E-10
	.quad	0x3f1e03ca2f459ca1              ; double 1.1449739014822654E-4
	.quad	0xbf1448c9a0ce370e              ; double -7.7378565221244473E-5
	.quad	0x3efadee20eccfadb              ; double 2.5625836246985202E-5
	.quad	0x3d72f0a65a7d9ac5              ; double 1.0766165333192815E-12
	.quad	0xbed65555261131ce              ; double -5.3246809282422619E-6
	.quad	0x3ecc19493d88fea7              ; double 3.3496348630644639E-6
	.quad	0xbeb16ab6da432b11              ; double -1.0381253128684019E-6
	.quad	0xbcf942a2036ee783              ; double -5.6089099206211277E-15
	.quad	0x3e89b42c1c8dde07              ; double 1.9150821930676592E-7
	.quad	0xbe7ea6a427a1383d              ; double -1.1418365800203487E-7
	.quad	0x3e62116dd1a9ac83              ; double 3.3654425209171787E-8
	.quad	0xbfb95b685f50d178              ; double -0.099051020880159046
	.quad	0x3fc6fb2ba98c8bc4              ; double 0.17954011706123485
	.quad	0xbfc0a06f29064247              ; double -0.12989606383463778
	.quad	0xbf008105d4f69d94              ; double -3.1478872752284355E-5
	.quad	0x3fb72bb47a744982              ; double 0.090510635276848133
	.quad	0xbfb7c3a13cf8dfb4              ; double -0.092828824411184396
	.quad	0x3fa6bd2f38631744              ; double 0.04441211283987781
	.quad	0x3e92a46fbbd016c8              ; double 2.7779236316835886E-7
	.quad	0xbf91a49f1cad78b9              ; double -0.017229543805449696
	.quad	0x3f8d0beffa0aa57b              ; double 0.014182925050891573
	.quad	0xbf77067b69432cef              ; double -0.0056214161633747336
	.quad	0xbe2494d3b2241202              ; double -2.3959850918638099E-9
	.quad	0x3f5a4350e25cd11c              ; double 0.0016029634366079909
	.quad	0xbf53043d03c40f6a              ; double -0.0011606784674435774
	.quad	0x3f3adee20c4df7f1              ; double 4.1001337768153875E-4
	.quad	0x3db431836a382e07              ; double 1.8365800754090661E-11
	.quad	0xbf191fffca306bb5              ; double -9.5844256563655899E-5
	.quad	0x3f10af037c4544c3              ; double 6.3643062337764711E-5
	.quad	0xbef5c564909bc462              ; double -2.0762506244890648E-5
	.quad	0xbd409d913b45ff81              ; double -1.1806020912804483E-13
	.quad	0x3ed1abde539275a7              ; double 4.2131808239120649E-6
	.quad	0xbec607c5fc6f6d3d              ; double -2.6262241337012469E-6
	.quad	0x3eab1a24ba744e1c              ; double 8.0770620494930664E-7
	.quad	0x3cc5a9a2f5f87fc0              ; double 6.0125912123632726E-16
	.quad	0xbe83c51966be9669              ; double -1.472973737401884E-7
	.quad	0xbfc997cfc43300a2              ; double -0.19994542198219728
	.quad	0xbf8ed5bd48e4f389              ; double -0.015056113040026424
	.quad	0x3fd75748b67ecf48              ; double 0.36470239469348487
	.quad	0xbfddb7f120e7ea15              ; double -0.46435192311733547
	.quad	0x3fd10cd9ca6272d6              ; double 0.26640934719197895
	.quad	0x3f01d889ea4a1955              ; double 3.4038266027147192E-5
	.quad	0xbfc1a4da23c48dc0              ; double -0.13784338709329624
	.quad	0x3fc056ba4744ccfb              ; double 0.1276467178337056
	.quad	0xbfacc80f182c4e01              ; double -0.056213828755200985
	.quad	0xbe8787c7d3bab1e9              ; double -1.7531508854830111E-7
	.quad	0x3f93b27ecaac87da              ; double 0.019235592956768112
	.quad	0xbf8ee6e34f7ffc6f              ; double -0.015088821281095314
	.quad	0x3f7783054c284396              ; double 0.0057401854451350123
	.quad	0x3e123fc5f86c0936              ; double 1.0622382710310225E-9
	.quad	0xbf591ffff755a2c9              ; double -0.0015335082692563998
	.quad	0x3f51b9f3b54bf1cd              ; double 0.0010819320643228215
	.quad	0xbf387e11172c9899              ; double -3.737251019394566E-4
	.quad	0xbd9d1a2e9ec22641              ; double -6.6170909729031987E-12
	.quad	0x3f1616d5ec6f637f              ; double 8.4263617380909623E-5
	.quad	0xbf0cea33db7ebcae              ; double -5.5150706827483478E-5
	.quad	0x3ef2a1f93f1f53aa              ; double 1.776953644834807E-5
	.quad	0x3d25dbb18655a9c8              ; double 3.882792321020553E-14
	.quad	0xbecda7a61ad67669              ; double -3.5351369748876799E-6
	.quad	0x3ec257a6d57a6a06              ; double 2.1865832130045269E-6
	.quad	0xbea66b2e18d848b8              ; double -6.6812849447625595E-7
	.quad	0x3fe72e2bba1d9e04              ; double 0.72438608504029434
	.quad	0xbff644d13921c967              ; double -1.3918010932653375
	.quad	0x3ff10befe6e8d273              ; double 1.0654143352413967
	.quad	0x3f28976514ed9543              ; double 1.8761738689502581E-4
	.quad	0xbfea773c127046e4              ; double -0.82705501176152695
	.quad	0x3fec97c057cf058f              ; double 0.89352433347828419
	.quad	0xbfdcc80c9e91f59e              ; double -0.44971003995291337
	.quad	0xbebb0613881c041d              ; double -1.6107401567546651E-6
	.quad	0x3fc89f1e41653f05              ; double 0.19235590165271091
	.quad	0xbfc53ebc2bd4a5fe              ; double -0.1659770216004261
	.quad	0x3fb1a243edb1b5e9              ; double 0.068882222681814334
	.quad	0x3e4ddf275f42d73e              ; double 1.3910091724608687E-8
	.quad	0xbf95fbfff5c36b90              ; double -0.021469115615086631
	.quad	0x3f909e5478d507d5              ; double 0.016228980898865892
	.quad	0xbf787e11163a4d10              ; double -0.005979601617258426
	.quad	0xbddf06d9aae91936              ; double -1.1287469112826745E-10
	.quad	0x3f58d9b0a9bf8951              ; double 0.0015167451119784856
	.quad	0xbf512b0eca39706b              ; double -0.00104786342935539
	.quad	0x3f374a778ed1da06              ; double 3.5539072889126421E-4
	.quad	0x3d6cbf45664ed58b              ; double 8.170432211180152E-13
	.quad	0xbf146342326dba30              ; double -7.7773013442452394E-5
	.quad	0x3f0a5dffd2db3feb              ; double 5.0291413897007722E-5
	.quad	0xbef0d06292a04737              ; double -1.6035083867000518E-5
	.quad	0x3d0c1417e70f541b              ; double 1.2469354315487606E-14
	.quad	0x3eca5076da7b0108              ; double 3.1369106244517616E-6
	.quad	0x3ffaab9a101bb71a              ; double 1.6668949727276812
	.quad	0x3fbdd5fa0e771b94              ; double 0.11654627659946321
	.quad	0xc00aa17682be467c              ; double -3.3288393225018904
	.quad	0x4011e07e7f446f75              ; double 4.4692325482864037
	.quad	0xc005950812bad9bf              ; double -2.6977693045875806
	.quad	0xbf310b3257317fb1              ; double -2.6006678598910609E-4
	.quad	0x3ff89f57741b2958              ; double 1.5389017615694538
	.quad	0xbff7e696e1cfec61              ; double -1.4937962361134611
	.quad	0x3fe60acf7fbade6a              ; double 0.6888196463323315
	.quad	0x3eb5f0bc5a443c00              ; double 1.3077482004552384E-6
	.quad	0xbfd07d0100542640              ; double -0.25762963325596289
	.quad	0x3fcb01495866b19f              ; double 0.21097676102125448
	.quad	0xbfb56e4eb61b59c3              ; double -0.08371440835921988
	.quad	0xbe40bbb88b9466e1              ; double -7.7920428881354755E-9
	.quad	0x3f98d9b0bf9f081e              ; double 0.024267923064833601
	.quad	0xbf923dbfb77934eb              ; double -0.017813678334552312
	.quad	0x3f7a33c67b186dc8              ; double 0.0063970330388900057
	.quad	0x3dcb2cc483e0a3e5              ; double 4.9430807090480523E-11
	.quad	0xbf597c12c0f590c5              ; double -0.0015554602758465635
	.quad	0x3f514dafe26aa905              ; double 0.0010561196919903215
	.quad	0xbf371e8789184a90              ; double -3.5277184460472902E-4
	.quad	0x3d3a2d8643f4cecc              ; double 9.300233464502246E-14
	.quad	0x3f13bc592408f7d0              ; double 7.5285855026557174E-5
	.quad	0xbf09437c115cc480              ; double -4.8186515569156353E-5
	.quad	0x3eefef14428cf51e              ; double 1.5227271505597605E-5
	.quad	0xc01a79ae8aaafd02              ; double -6.6188298861372932
	.quad	0x402acbc4bfe43e00              ; double 13.397985455142589
	.quad	0xc0259425c342f48f              ; double -10.789350606845145
	.quad	0xbf5783c598bad82d              ; double -0.0014352254537875018
	.quad	0x4022777c33a9e5be              ; double 9.2333694596189808
	.quad	0xc024e9c14a89b561              ; double -10.456552819547769
	.quad	0x40160ace4d316e22              ; double 5.5105526029033474
	.quad	0x3ee93792683ce6df              ; double 1.2024439690716742E-5
	.quad	0xc0049c412368986f              ; double -2.5762961164755818
	.quad	0x400290e25fcc2f2f              ; double 2.3207442745387179
	.quad	0xbff012bb030da5a0              ; double -1.0045728797216285
	.quad	0xbe7b66c50603144a              ; double -1.0207833290021913E-7
	.quad	0x3fd5be7aa66267cb              ; double 0.33975092171169469
	.quad	0xbfd119e3bb753f97              ; double -0.26720517450757469
	.quad	0x3fba33c67aa334e1              ; double 0.10235252851562705
	.quad	0x3e0cf9b8b6c4bf11              ; double 8.4329730484871628E-10
	.quad	0xbf9cab9518f65fc2              ; double -0.027998284958442594
	.quad	0x3f948c40dcd22bf3              ; double 0.020066274144976814
	.quad	0xbf7ce6296b540e4a              ; double -0.0070554368915086239
	.quad	0x3d8110fee1c91478              ; double 1.9402238183698188E-12
	.quad	0x3f5b22fa918990d6              ; double 0.0016562888105449611
	.quad	0xbf5228812c7988e6              ; double -0.0011082898580743682
	.quad	0x3f37f34f31e8c834              ; double 3.6545451613101691E-4
	.quad	0xbdcc326e272abdba              ; double -5.1290032026971791E-11
	.quad	0xbf140318feb8a93e              ; double -7.6340103696869035E-5
	.quad	0xc0311cda4df23f8f              ; double -17.112706061976095
	.quad	0xbff1eed0a9756022              ; double -1.1208044642899115
	.quad	0x404290e447565b8b              ; double 37.131966511885445
	.quad	0xc04a262dbeb59bed              ; double -52.29827102534896
	.quad	0x4040877fddff7151              ; double 33.058589696624615
	.quad	0x3f644f1cbaa6692d              ; double 0.0024791298976200222
	.quad	0xc0349c638d29d8b8              ; double -20.610894034115262
	.quad	0x4034e3009704f557              ; double 20.886727751455819
	.quad	0xc0241766824d1546              ; double -10.045703956517752
	.quad	0xbee9aaa596c95635              ; double -1.2238783449063012E-5
	.quad	0x40104edc9ba085fd              ; double 4.0770134274221137
	.quad	0xc00bca121cae7f61              ; double -3.4736673584701951
	.quad	0x3ff6ed4d8666bb37              ; double 1.4329352617312006
	.quad	0x3e7327d0e3f45c35              ; double 7.1359914411879714E-8
	.quad	0xbfdcab95261f4c56              ; double -0.44797257159115611
	.quad	0x3fd5d504eafd4576              ; double 0.3411266608064446
	.quad	0xbfc041774ab1cf11              ; double -0.12699786326594922
	.quad	0xbdf3e595b39c15a7              ; double -2.8953677269081527E-10
	.quad	0x3fa0f5dc9b8a1b31              ; double 0.033125776278259862
	.quad	0xbf97d5298a65ffac              ; double -0.023274087021036102
	.quad	0x3f80774672284d2c              ; double 0.0080399993503648889
	.quad	0xbe143c0ac88249cd              ; double -1.177805216235265E-9
	.quad	0xbf5e04a57e2fe4f3              ; double -0.0018321624891071669
	.quad	0x3f53d694faf27294              ; double 0.0012108282933588664
	.quad	0xbf39dfa290a5dfd6              ; double -3.947994124682252E-4
	.quad	0x405278fb311f1460              ; double 73.89033153567425
	.quad	0xc06399a52c414c0d              ; double -156.80141270402274
	.quad	0x406086f7d7d0b401              ; double 132.21775427591641
	.quad	0x3f8c0b02d3029674              ; double 0.013692876877324546
	.quad	0xc05eea8ed98bc840              ; double -123.66496885920151
	.quad	0x4062469edffa7c58              ; double 146.20689391062729
	.quad	0xc0541765ca0e8768              ; double -80.36558772486535
	.quad	0xbf1d845bb29bdf67              ; double -1.1259851148881298E-4
	.quad	0x40446293b11a1841              ; double 40.770132196179937
	.quad	0xc0431aec6beb0621              ; double -38.210340013273033
	.quad	0x403131fa217aa43e              ; double 17.195222942773619
	.quad	0x3eaf6148205f94ff              ; double 9.3519707955168352E-7
	.quad	0xc01916228095cabe              ; double -6.2716159907747038
	.quad	0x401477b49bf91088              ; double 5.1168999071852639
	.quad	0xc00041774a8e94a0              ; double -2.0319658112299095
	.quad	0xbe3543603c3db77e              ; double -4.9507215582761543E-9
	.quad	0x3fe314982ef2633d              ; double 0.596263972943326
	.quad	0xbfdc4d2154519e31              ; double -0.44220765337238094
	.quad	0x3fc495180eaf4767              ; double 0.16079998700166273
	.quad	0xbe5a8ec579502d77              ; double -2.4733786203223403E-8
	.quad	0xbfa4a331c6c018a9              ; double -0.040307574759979765
	.quad	0x3f9c847628bbd500              ; double 0.02784905074709787
	.quad	0xbf8367b9ec7c1fdc              ; double -0.0094751858992054225
	.quad	0x3edaed56c9758d3d              ; double 6.4199222359091319E-6
	.quad	0x3f61687c64ad326f              ; double 0.002125018077469946
	.quad	0x406a85634b8ba3fd              ; double 212.16837098382521
	;; [unrolled: 1-line block ×3, first 2 shown]
	.quad	0xc07f0fb9cab41690              ; double -496.9828593287175
	.quad	0x4086d9ba4564ae7d              ; double 731.215952669692
	.quad	0xc07e2236233f801a              ; double -482.13821720890849
	.quad	0xbf9d8244d2c96715              ; double -0.028817248692894887
	.quad	0x407462acdd1575ec              ; double 326.16720302947101
	.quad	0xc0757e4b60bc3e58              ; double -343.89340280087117
	.quad	0x40657e76482a6b51              ; double 171.95193870816232
	.quad	0x3f226665aa2d3d74              ; double 1.4038077378096157E-4
	.quad	0xc052d09a549f7d79              ; double -75.2594195897599
	.quad	0x4050a142c323ba44              ; double 66.519699845209345
	.quad	0xc03c7290a77aa105              ; double -28.447519748152462
	.quad	0xbea98c1ee94c0d42              ; double -7.6137026158753915E-7
	.quad	0x4023149833c28106              ; double 9.5402237105304373
	.quad	0xc01e11f369db732d              ; double -7.5175301113311379
	.quad	0x400727bb0f4b0bff              ; double 2.894399756887196
	.quad	0xbe9f47ea0413bd03              ; double -4.66121949995382E-7
	.quad	0xbfe9cbfe38dc7845              ; double -0.80615149598794089
	.quad	0x3fe2b6ed8abda2e3              ; double 0.58483006570631024
	.quad	0xbfcaae9fa50d9b0e              ; double -0.20845408972964957
	.quad	0x3f235a9630c9aff6              ; double 1.4765818959305816E-4
	.quad	0x3faa1cba970da277              ; double 0.051000433863753018
	.quad	0xbfa0ee0f4f19f2c4              ; double -0.033066252141883662
	.quad	0x3f8ef19b3f907c55              ; double 0.015109265210467774
	.quad	0xc08eecc57d9b7a22              ; double -989.59643098322363
	;; [unrolled: 2-line block ×3, first 2 shown]
	.quad	0xbfc4628bbdff74b9              ; double -0.15925738122215252
	.quad	0x409e93fe8f94aa2a              ; double 1956.9985945919857
	.quad	0xc0a2ce80c187647b              ; double -2407.2514765081555
	.quad	0x40957e75c17e78cb              ; double 1375.6149959336497
	.quad	0x3f552b5961d37922              ; double 0.0012920735237496668
	.quad	0xc08784c0dd097f37              ; double -752.59417159480552
	.quad	0x4086ddbbc69d7a8d              ; double 731.71668742208715
	.quad	0xc07555ec7b2e5ff5              ; double -341.37023466220063
	.quad	0xbee4f10d857992ab              ; double -9.985739026060805E-6
	.quad	0x4060b2052d01f9ee              ; double 133.56313181291574
	.quad	0xc05c30d433000f3b              ; double -112.76295161252794
	.quad	0x404727bb0f314c0d              ; double 46.310396098204457
	.quad	0xbee09e065b39c078              ; double -7.9237387133614757E-6
	.quad	0xc02d057dfff1769d              ; double -14.510726927018647
	.quad	0x4026393a14be7336              ; double 11.111771248100563
	.quad	0xc010ad23c7275f11              ; double -4.1690817945270888
	.quad	0x3f6966e51fd5f699              ; double 0.0031008219800117806
	.quad	0x3ff1f3c047d911f2              ; double 1.1220095449981469
	.quad	0xbfe8563601b50cc3              ; double -0.76052379926149916
	.quad	0x3fd735346fac42ee              ; double 0.36262236505085255
	.quad	0x3fcc603b728f44d1              ; double 0.2216867741940747
	.quad	0x3fdf284ba04b635e              ; double 0.48683443692930506
	.size	__const._ZN12_GLOBAL__N_130_igam_helper_asymptotic_seriesIdEET_S1_S1_b.d, 5000

	.type	__const._ZN12_GLOBAL__N_123lanczos_sum_expg_scaledIdEET_S1_.lanczos_sum_expg_scaled_num,@object ; @__const._ZN12_GLOBAL__N_123lanczos_sum_expg_scaledIdEET_S1_.lanczos_sum_expg_scaled_num
	.p2align	4, 0x0
__const._ZN12_GLOBAL__N_123lanczos_sum_expg_scaledIdEET_S1_.lanczos_sum_expg_scaled_num:
	.quad	0x3f78d44d6a172145              ; double 0.0060618423462489067
	.quad	0x3fe0509f77f7c44b              ; double 0.50984166556566757
	;; [unrolled: 1-line block ×13, first 2 shown]
	.size	__const._ZN12_GLOBAL__N_123lanczos_sum_expg_scaledIdEET_S1_.lanczos_sum_expg_scaled_num, 104

	.type	__const._ZN12_GLOBAL__N_123lanczos_sum_expg_scaledIdEET_S1_.lanczos_sum_expg_scaled_denom,@object ; @__const._ZN12_GLOBAL__N_123lanczos_sum_expg_scaledIdEET_S1_.lanczos_sum_expg_scaled_denom
	.p2align	4, 0x0
__const._ZN12_GLOBAL__N_123lanczos_sum_expg_scaledIdEET_S1_.lanczos_sum_expg_scaled_denom:
	.quad	0x3ff0000000000000              ; double 1
	.quad	0x4050800000000000              ; double 66
	;; [unrolled: 1-line block ×13, first 2 shown]
	.size	__const._ZN12_GLOBAL__N_123lanczos_sum_expg_scaledIdEET_S1_.lanczos_sum_expg_scaled_denom, 104

	.type	__const._ZN12_GLOBAL__N_130_igam_helper_asymptotic_seriesIfEET_S1_S1_b.d,@object ; @__const._ZN12_GLOBAL__N_130_igam_helper_asymptotic_seriesIfEET_S1_S1_b.d
	.p2align	4, 0x0
__const._ZN12_GLOBAL__N_130_igam_helper_asymptotic_seriesIfEET_S1_S1_b.d:
	.long	0xbeaaaaab                      ; float -0.333333343
	.long	0x3daaaaab                      ; float 0.0833333358
	.long	0xbc72b9d6                      ; float -0.0148148146
	.long	0x3a97b426                      ; float 0.00115740742
	.long	0x39b8ef1d                      ; float 3.52733681E-4
	.long	0xb93b7038                      ; float -1.78755145E-4
	.long	0x382462c5                      ; float 3.91926333E-5
	.long	0xb612a9b8                      ; float -2.18544847E-6
	.long	0xb5f8d918                      ; float -1.85406225E-6
	.long	0x355eb691                      ; float 8.29671137E-7
	.long	0xb43dafcd                      ; float -1.76659526E-7
	.long	0x31e67ae7                      ; float 6.70785338E-9
	.long	0x32304beb                      ; float 1.02618101E-8
	.long	0xb19690cc                      ; float -4.38203607E-9
	.long	0x307b7337                      ; float 9.14769981E-10
	.long	0xade06cdb                      ; float -2.55141932E-11
	.long	0xae803854                      ; float -5.83077198E-11
	.long	0x2dd64a3b                      ; float 2.43619482E-11
	.long	0xacb0e538                      ; float -5.02766925E-12
	.long	0x29f7cc00                      ; float 1.10043918E-13
	.long	0x2abdd03b                      ; float 3.37176332E-13
	.long	0xaa1cc4df                      ; float -1.39238867E-13
	.long	0x2900827e                      ; float 2.85348934E-14
	.long	0xa6141ff4                      ; float -5.13911194E-16
	.long	0xa70e548a                      ; float -1.97522874E-15
	.long	0xbaf2b9d6                      ; float -0.00185185182
	.long	0xbb638e39                      ; float -0.00347222225
	.long	0x3b2d602b                      ; float 0.00264550257
	.long	0xba81ca7b                      ; float -9.90226282E-4
	.long	0x3957c1a2                      ; float 2.05761316E-4
	.long	0xb4d7c1a2                      ; float -4.01877571E-7
	.long	0xb797d257                      ; float -1.80985498E-5
	.long	0x370054e5                      ; float 7.64916058E-6
	.long	0xb5d85efe                      ; float -1.61209005E-6
	.long	0x319fac92                      ; float 4.64712802E-9
	.long	0x34140796                      ; float 1.37863339E-7
	.long	0xb37711e8                      ; float -5.75254546E-8
	.long	0x324d53d2                      ; float 1.1951629E-8
	.long	0xad9a4fde                      ; float -1.75432412E-11
	.long	0xb08ab276                      ; float -1.00915432E-9
	.long	0x2fe4da1a                      ; float 4.16279289E-10
	.long	0xaebc5283                      ; float -8.56390722E-11
	.long	0x29889f1d                      ; float 6.06721501E-14
	.long	0x2cfc020e                      ; float 7.16249889E-12
	.long	0xac4e6798                      ; float -2.93318668E-12
	.long	0x2b28cac0                      ; float 5.99669619E-13
	.long	0xa579dbd3                      ; float -2.16717866E-16
	.long	0xa960345a                      ; float -4.97833992E-14
	.long	0x28b6c54f                      ; float 2.0291628E-14
	.long	0xa794d81c                      ; float -4.13125582E-15
	.long	0x3b877322                      ; float 0.00413359795
	.long	0xbb2fb934                      ; float -0.00268132705
	.long	0x3a4a4588                      ; float 7.71604944E-4
	.long	0x3606d905                      ; float 2.0093878E-6
	.long	0xb8e129f8                      ; float -1.07366533E-4
	.long	0x385dfa1f                      ; float 5.29234494E-5
	.long	0xb7561683                      ; float -1.27606354E-5
	.long	0x33130aa5                      ; float 3.42357858E-8
	.long	0x35b82c49                      ; float 1.3721957E-6
	.long	0xb5291658                      ; float -6.29899205E-7
	.long	0x34195641                      ; float 1.42806144E-7
	.long	0xaf6125e8                      ; float -2.04770978E-10
	.long	0xb2721b9a                      ; float -1.40925298E-8
	.long	0x31d606a3                      ; float 6.22897422E-9
	.long	0xb0bbe2c1                      ; float -1.36704881E-9
	.long	0x2b84b13c                      ; float 9.42835653E-13
	.long	0x2f0d882b                      ; float 1.28722519E-10
	.long	0xae74bbc7                      ; float -5.56459566E-11
	.long	0x2d52aed2                      ; float 1.19759359E-11
	.long	0xa796340a                      ; float -4.16897843E-15
	.long	0xab99f9d0                      ; float -1.09406408E-12
	.long	0x2b033afb                      ; float 4.6622401E-13
	.long	0xa9df0b0c                      ; float -9.9051057E-14
	.long	0x23ae9da1                      ; float 1.89318762E-17
	.long	0x281f97f3                      ; float 8.85922178E-15
	.long	0x3a2a3eca                      ; float 6.49434165E-4
	.long	0x39709e72                      ; float 2.29472091E-4
	.long	0xb9f5fd8c                      ; float -4.69189486E-4
	.long	0x398c5cdb                      ; float 2.67720636E-4
	.long	0xb89e951d                      ; float -7.56180161E-5
	.long	0xb480a951                      ; float -2.39650518E-7
	.long	0x3739efa3                      ; float 1.10826541E-5
	.long	0xb6be6b79                      ; float -5.67495272E-6
	.long	0x35bf0101                      ; float 1.42309011E-6
	.long	0xadf51193                      ; float -2.78610798E-11
	.long	0xb43616e8                      ; float -1.69584041E-7
	.long	0x33adef47                      ; float 8.09946456E-8
	.long	0xb2a429e7                      ; float -1.91111678E-8
	.long	0x2c2861f8                      ; float 2.39286195E-12
	.long	0x310db352                      ; float 2.06201323E-9
	.long	0xb082062a                      ; float -9.46049683E-10
	.long	0x2f6cd8aa                      ; float 2.15410495E-10
	.long	0xa87a302c                      ; float -1.38882334E-14
	.long	0xadc0969f                      ; float -2.1894762E-11
	.long	0x2d2c3ebd                      ; float 9.79099874E-12
	.long	0xac19474f                      ; float -2.17821919E-12
	.long	0x248f2a67                      ; float 6.20881966E-17
	.long	0x2a6f79fa                      ; float 2.12697834E-13
	.long	0xa9d26c77                      ; float -9.34468905E-14
	.long	0x28b83af4                      ; float 2.04536705E-14
	.long	0xba61f058                      ; float -8.61888286E-4
	.long	0x3a4d87fb                      ; float 7.84039206E-4
	.long	0xb99cccd4                      ; float -2.99072475E-4
	.long	0xb5c47957                      ; float -1.46384525E-6
	.long	0x388b4846                      ; float 6.64149848E-5
	.long	0xb82671ff                      ; float -3.96836513E-5
	.long	0x373eda60                      ; float 1.13757269E-5
	.long	0x2f89d9e3                      ; float 2.50749727E-10
	.long	0xb5e38e04                      ; float -1.69541499E-6
	.long	0x356f1bed                      ; float 8.90750754E-7
	.long	0xb47633b6                      ; float -2.29293477E-7
	.long	0x2e020a8b                      ; float 2.95679418E-11
	.long	0x32f7f4a2                      ; float 2.88658306E-8
	.long	0xb273c722                      ; float -1.41897392E-8
	.long	0x316cd4f9                      ; float 3.44635809E-9
	.long	0xaa819dd4                      ; float -2.30245185E-13
	.long	0xafd8a791                      ; float -3.94092342E-10
	.long	0x2f4c88ee                      ; float 1.86023391E-10
	.long	0xae3f97d6                      ; float -4.35632294E-11
	.long	0x26b84405                      ; float 1.27860015E-15
	.long	0x2ca4a32a                      ; float 4.6792752E-12
	.long	0xac173d62                      ; float -2.14924649E-12
	.long	0x2b0a2bbf                      ; float 4.90881587E-13
	.long	0xa2e9da4e                      ; float -6.33859156E-18
	.long	0xa96338b8                      ; float -5.0453321E-14
	.long	0xb9b09456                      ; float -3.36798548E-4
	.long	0xb8923b02                      ; float -6.97281357E-5
	.long	0x39915f44                      ; float 2.77275336E-4
	.long	0xb9510216                      ; float -1.99325703E-4
	.long	0x388e8f4e                      ; float 6.79778022E-5
	.long	0x34185ee8                      ; float 1.41906298E-7
	.long	0xb76411fe                      ; float -1.35940481E-5
	.long	0x37068711                      ; float 8.01847E-6
	.long	0xb619c759                      ; float -2.29148122E-6
	.long	0xafb2ce7f                      ; float -3.25247357E-10
	.long	0x34ba0a82                      ; float 3.46528452E-7
	.long	0xb446133e                      ; float -1.84471872E-7
	.long	0x334f3181                      ; float 4.82409668E-8
	.long	0xa8a208e3                      ; float -1.7989467E-14
	.long	0xb1d8ade0                      ; float -6.30619468E-9
	.long	0x315951d7                      ; float 3.16241766E-9
	.long	0xb0578799                      ; float -7.84092402E-10
	.long	0x27bb1603                      ; float 5.19267916E-15
	.long	0x2ecdce2c                      ; float 9.35894417E-11
	.long	0xae4680a9                      ; float -4.51342609E-11
	.long	0x2d3dfaf5                      ; float 1.07991298E-11
	.long	0xa428dfed                      ; float -3.66188655E-17
	.long	0xabaa6b58                      ; float -1.21090204E-12
	.long	0x2b1fe612                      ; float 5.68074342E-13
	.long	0xaa152d8b                      ; float -1.32496593E-13
	.long	0x3a0b4779                      ; float 5.31307945E-4
	.long	0xba1b3b9e                      ; float -5.92166441E-4
	.long	0x398e04a8                      ; float 2.70878198E-4
	.long	0x3554208f                      ; float 7.90235333E-7
	.long	0xb8ab004a                      ; float -8.15396924E-5
	.long	0x386b5efc                      ; float 5.61168272E-5
	.long	0xb799c17a                      ; float -1.83291158E-5
	.long	0xb153a122                      ; float -3.07961345E-9
	.long	0x36688aea                      ; float 3.46515526E-6
	.long	0xb6082c3c                      ; float -2.0291327E-6
	.long	0x351b6448                      ; float 5.78879281E-7
	.long	0x2a83a738                      ; float 2.33863059E-13
	.long	0xb3bd97bf                      ; float -8.82860078E-8
	.long	0x334bbc63                      ; float 4.74359574E-8
	.long	0xb2578752                      ; float -1.25454154E-8
	.long	0x29c2c5d5                      ; float 8.64964905E-14
	.long	0x30e787cd                      ; float 1.6846059E-9
	.long	0xb06bb8ab                      ; float -8.57549309E-10
	.long	0x2f6d7999                      ; float 2.15982246E-10
	.long	0xa65b6fba                      ; float -7.61323059E-16
	.long	0xadea538c                      ; float -2.66398223E-11
	.long	0x2d65daaf                      ; float 1.30657004E-11
	.long	0xac5fc448                      ; float -3.1799164E-12
	.long	0x22adcde9                      ; float 4.71097598E-18
	.long	0x2acfbe8a                      ; float 3.69027996E-13
	.long	0x39b48c3d                      ; float 3.44367611E-4
	.long	0x3858ebaf                      ; float 5.17179105E-5
	.long	0xb9af99c3                      ; float -3.34931625E-4
	.long	0x3993775b                      ; float 2.81269517E-4
	.long	0xb8e63214                      ; float -1.09765824E-4
	.long	0xb408ce38                      ; float -1.2741009E-7
	.long	0x37e8bcc2                      ; float 2.77444524E-5
	.long	0xb799348b                      ; float -1.82634885E-5
	.long	0x36c233ec                      ; float 5.78769505E-6
	.long	0x3007c16d                      ; float 4.93875885E-10
	.long	0xb58e3567                      ; float -1.05953666E-6
	.long	0x35258957                      ; float 6.16671457E-7
	.long	0xb43c94bc                      ; float -1.75629737E-7
	.long	0xabb69977                      ; float -1.29744728E-12
	.long	0x32e788fe                      ; float 2.69542362E-8
	.long	0xb27a7446                      ; float -1.45783527E-8
	.long	0x31859418                      ; float 3.88764576E-9
	.long	0xa432faca                      ; float -3.88100239E-17
	.long	0xb012746d                      ; float -5.32799416E-10
	.long	0x2f96d785                      ; float 2.74379769E-10
	.long	0xae99d6d5                      ; float -6.9957963E-11
	.long	0x23eee253                      ; float 2.58998637E-17
	.long	0x2d1bcefb                      ; float 8.85668881E-12
	.long	0xac9aec38                      ; float -4.4031688E-12
	.long	0x2b98eb50                      ; float 1.08655619E-12
	.long	0xba2b14da                      ; float -6.52623944E-4
	.long	0x3a5c11ce                      ; float 8.39498708E-4
	.long	0xb9e5cb3e                      ; float -4.38297109E-4
	.long	0xb53b133b                      ; float -6.96909126E-7
	.long	0x392e88ac                      ; float 1.66448473E-4
	.long	0xb9060b7e                      ; float -1.2783517E-4
	.long	0x384231bf                      ; float 4.6299534E-5
	.long	0x319c9bcd                      ; float 4.55791005E-9
	.long	0xb731c258                      ; float -1.05952713E-5
	.long	0x36e39c79                      ; float 6.78334299E-6
	.long	0xb60d6f65                      ; float -2.10754774E-6
	.long	0xad9769e1                      ; float -1.72137322E-11
	.long	0x34ca97cc                      ; float 3.77358788E-7
	.long	0xb46accf2                      ; float -2.18675069E-7
	.long	0x33859412                      ; float 6.22022895E-8
	.long	0x263e2a76                      ; float 6.59770373E-16
	.long	0xb224c2f7                      ; float -9.59038626E-9
	.long	0x31b31feb                      ; float 5.2132143E-9
	.long	0xb0c04c88                      ; float -1.39915901E-9
	.long	0x261b2096                      ; float 5.38205899E-16
	.long	0x2f563c98                      ; float 1.94847138E-10
	.long	0xaedeb390                      ; float -1.01272879E-10
	.long	0x2de560f7                      ; float 2.60773469E-11
	.long	0xa2bbcda5                      ; float -5.09041862E-18
	.long	0xac6d4b31                      ; float -3.37214653E-12
	.long	0xba1c6ff9                      ; float -5.96761296E-4
	.long	0xb89718fd                      ; float -7.20489551E-5
	.long	0x3a31cb4e                      ; float 6.78230891E-4
	.long	0xba27cf93                      ; float -6.4014754E-4
	.long	0x39917d90                      ; float 2.77501065E-4
	.long	0x3443638e                      ; float 1.8197008E-7
	.long	0xb8b1d402                      ; float -8.47950723E-5
	.long	0x38800900                      ; float 6.10519201E-5
	.long	0xb7b0c7e6                      ; float -2.10739199E-5
	.long	0xb07380c7                      ; float -8.85858886E-10
	.long	0x3697f31f                      ; float 4.5284537E-6
	.long	0xb63ec69d                      ; float -2.84278144E-6
	.long	0x3569c288                      ; float 8.70823441E-7
	.long	0x2c81c80c                      ; float 3.68861018E-12
	.long	0xb424c32d                      ; float -1.53446948E-7
	.long	0x33be51ed                      ; float 8.86246667E-8
	.long	0xb2d855fd                      ; float -2.51848125E-8
	.long	0xa83836b2                      ; float -1.0225912E-14
	.long	0x3185e5e9                      ; float 3.89694721E-9
	.long	0xb11225d7                      ; float -2.12673057E-9
	.long	0x301db2a5                      ; float 5.73701364E-10
	.long	0xa05eddbd                      ; float -1.88774985E-19
	.long	0xaeb1f868                      ; float -8.09315392E-11
	.long	0x2e3a66b4                      ; float 4.23827223E-11
	.long	0xad418d9d                      ; float -1.10022243E-11
	.long	0x3aaea573                      ; float 0.00133244542
	.long	0xbafaede5                      ; float -0.00191443844
	.long	0x3a9159c0                      ; float 0.00110893697
	.long	0x35854f7b                      ; float 9.93240405E-7
	.long	0xba055d4d                      ; float -5.08745026E-4
	.long	0x39e00e06                      ; float 4.27350577E-4
	.long	0xb930c724                      ; float -1.68588536E-4
	.long	0xb20bacf3                      ; float -8.13018896E-9
	.long	0x383defc2                      ; float 4.52844033E-5
	.long	0xb803287c                      ; float -3.12705379E-5
	.long	0x372f51d8                      ; float 1.04498686E-5
	.long	0x2e550537                      ; float 4.84352246E-11
	.long	0xb6102ac4                      ; float -2.1482565E-6
	.long	0x35b26ccc                      ; float 1.32936975E-6
	.long	0xb4d855fb                      ; float -4.02956942E-7
	.long	0xaa45cbf6                      ; float -1.7567878E-13
	.long	0x3396a2a5                      ; float 7.01450417E-8
	.long	0xb32d8cee                      ; float -4.04078762E-8
	.long	0x32451f4e                      ; float 1.14740271E-8
	.long	0x22924184                      ; float 3.96427467E-18
	.long	0xb0f4b58f                      ; float -1.78049386E-9
	.long	0x3085f9d1                      ; float 9.74802571E-10
	.long	0xaf912a36                      ; float -2.6405339E-10
	.long	0x22d5cb0c                      ; float 5.79487499E-18
	.long	0x2e259399                      ; float 3.76477495E-11
	.long	0x3acf0edd                      ; float 0.00157972763
	.long	0x392a6921                      ; float 1.62516269E-4
	.long	0xbb073923                      ; float -0.00206334214
	.long	0x3b0c2df0                      ; float 0.00213896856
	.long	0xba847eb2                      ; float -0.00101085589
	.long	0xb4d6479b                      ; float -3.9912706E-7
	.long	0x39bdf9d4                      ; float 3.62350256E-4
	.long	0xb9938e1b                      ; float -2.81439017E-4
	.long	0x38db2466                      ; float 1.04495135E-4
	.long	0x3111c386                      ; float 2.12114193E-9
	.long	0xb7d840e1                      ; float -2.57794181E-5
	.long	0x3790f86c                      ; float 1.72818181E-5
	.long	0xb6bd4b10                      ; float -5.64137736E-6
	.long	0xad41f120                      ; float -1.10243203E-11
	.long	0x3596a2b5                      ; float 1.12232249E-6
	.long	0xb53865be                      ; float -6.86933959E-7
	.long	0x345dc32f                      ; float 2.06532363E-7
	.long	0x29526277                      ; float 4.67147717E-14
	.long	0xb318f17c                      ; float -3.56098866E-8
	.long	0x32afd7e3                      ; float 2.04708552E-8
	.long	0xb1c79a09                      ; float -5.80917403E-9
	.long	0xa519a9f1                      ; float -1.3328213E-16
	.long	0x30785d67                      ; float 9.03546071E-10
	.long	0xb008560a                      ; float -4.95987806E-10
	.long	0x2f143b5a                      ; float 1.34816075E-10
	.long	0xbb8572b5                      ; float -0.00407251203
	.long	0x3bd1d34d                      ; float 0.00640336284
	.long	0xbb846a80                      ; float -0.0040410161
	.long	0xb6128c3e                      ; float -2.1837327E-6
	.long	0x3b0e7a69                      ; float 0.00217404426
	.long	0xbb011bdb                      ; float -0.0019700441
	.long	0x3a5b23f8                      ; float 8.35954677E-4
	.long	0x32a708fe                      ; float 1.94454479E-8
	.long	0xb9872882                      ; float -2.57793872E-4
	.long	0x3947558c                      ; float 1.90099876E-4
	.long	0xb88df848                      ; float -6.76964991E-5
	.long	0xaf1ec6c2                      ; float -1.44406292E-10
	.long	0x3783ce5d                      ; float 1.57125123E-5
	.long	0xb72cdf61                      ; float -1.03040084E-5
	.long	0x365dc32f                      ; float 3.3045178E-6
	.long	0x2b60b368                      ; float 7.98297625E-13
	.long	0xb52c0fab                      ; float -6.4097793E-7
	.long	0x34d0d05d                      ; float 3.88946233E-7
	.long	0xb3f9808b                      ; float -1.16183479E-7
	.long	0xa74af8f3                      ; float -2.8168087E-15
	.long	0x32aac036                      ; float 1.98780121E-8
	.long	0xb243fbaf                      ; float -1.14077201E-8
	.long	0x315e5907                      ; float 3.2355858E-9
	.long	0x1f453419                      ; float 4.17594668E-20
	.long	0xb00a9a1c                      ; float -5.04231101E-10
	.long	0xbbc2e3e6                      ; float -0.00594757777
	.long	0xba0d99d8                      ; float -5.40164765E-4
	.long	0x3c10084d                      ; float 0.00879104156
	.long	0xbc2181e7                      ; float -0.00985763129
	.long	0x3ba44808                      ; float 0.00501346961
	.long	0x35abe64f                      ; float 1.28075214E-6
	.long	0xbb072cb8                      ; float -0.00206260197
	.long	0x3ae040b6                      ; float 0.00171091291
	.long	0xba31758e                      ; float -6.76953117E-4
	.long	0xb1ed1f33                      ; float -6.90115475E-9
	.long	0x3945b5d9                      ; float 1.88551276E-4
	.long	0xb90c7582                      ; float -1.33952155E-4
	.long	0x38420ab7                      ; float 4.62631833E-5
	.long	0x2e301289                      ; float 4.00342294E-11
	.long	0xb72c0fb2                      ; float -1.02556533E-5
	.long	0x36dddd64                      ; float 6.61208651E-6
	.long	0xb60c584c                      ; float -2.09130212E-6
	.long	0xaa6be562                      ; float -2.0951776E-13
	.long	0x34d57045                      ; float 3.97560285E-7
	.long	0xb4809d2b                      ; float -2.39562127E-7
	.long	0x3398dd34                      ; float 7.11828818E-8
	.long	0x2680a18f                      ; float 8.92557474E-16
	.long	0xb24fe72b                      ; float -1.21015473E-8
	.long	0x31ee4973                      ; float 6.93506185E-9
	.long	0xb1071cd0                      ; float -1.96614636E-9
	.long	0x3c8e8eb3                      ; float 0.0174020287
	.long	0xbcf1e474                      ; float -0.0295278803
	.long	0x3ca4373f                      ; float 0.0200458746
	.long	0x36ebda3c                      ; float 7.02895159E-6
	.long	0xbc4ac247                      ; float -0.0123754209
	.long	0x3c443837                      ; float 0.0119762933
	.long	0xbbb17561                      ; float -0.00541560398
	.long	0xb387ea89                      ; float -6.32908907E-8
	.long	0x3af72347                      ; float 0.0018855118
	.long	0xbac1218f                      ; float -0.00147347327
	.long	0x3a118808                      ; float 5.55158127E-4
	.long	0x30100e08                      ; float 5.24068344E-10
	.long	0xb9168dbb                      ; float -1.43579135E-4
	.long	0x38cfff8d                      ; float 9.91812921E-5
	.long	0xb80c584c                      ; float -3.34608339E-5
	.long	0xac7b9bfd                      ; float -3.57558362E-12
	.long	0x36f01e4e                      ; float 7.1560853E-6
	.long	0xb698baa3                      ; float -4.55168038E-6
	.long	0x35bf1481                      ; float 1.42365764E-6
	.long	0x28a95d1c                      ; float 1.88031489E-14
	.long	0xb48eeeed                      ; float -2.66234025E-7
	.long	0x342b44cb                      ; float 1.59506428E-7
	.long	0xb34aab39                      ; float -4.71875161E-8
	.long	0xa49620e8                      ; float -6.51078757E-17
	.long	0x32091641                      ; float 7.97950949E-9
	.long	0x3cf7cd03                      ; float 0.0302491244
	.long	0x3b22a4c0                      ; float 0.00248174369
	.long	0xbd4c8cfa                      ; float -0.0499391332
	.long	0x3d756a1b                      ; float 0.0599156432
	.long	0xbd050d1d                      ; float -0.0324832089
	.long	0xb6bff991                      ; float -5.72129693E-6
	.long	0x3c772822                      ; float 0.015085252
	.long	0xbc594606                      ; float -0.0132613238
	.long	0x3bb5e994                      ; float 0.00555152632
	.long	0x3301fab9                      ; float 3.0263184E-8
	.long	0xbae1d4c5                      ; float -0.0017229548
	.long	0x3aa8ffa4                      ; float 0.00128935697
	.long	0xb9f59a7b                      ; float -4.68451384E-4
	.long	0xaf493d3d                      ; float -1.83025997E-10
	.long	0x38f01e51                      ; float 1.14497387E-4
	.long	0xb8a2464d                      ; float -7.7378565E-5
	.long	0x37d6f710                      ; float 2.56258354E-5
	.long	0x2b978533                      ; float 1.07661655E-12
	.long	0xb6b2aaa9                      ; float -5.32468084E-6
	.long	0x3660ca4a                      ; float 3.34963488E-6
	.long	0xb58b55b7                      ; float -1.03812533E-6
	.long	0xa7ca1510                      ; float -5.60890988E-15
	.long	0x344da161                      ; float 1.91508221E-7
	.long	0xb3f53521                      ; float -1.14183656E-7
	.long	0x33108b6f                      ; float 3.36544268E-8
	.long	0xbdcadb43                      ; float -0.099051021
	.long	0x3e37d95d                      ; float 0.179540113
	.long	0xbe050379                      ; float -0.12989606
	.long	0xb804082f                      ; float -3.1478874E-5
	.long	0x3db95da4                      ; float 0.0905106365
	.long	0xbdbe1d0a                      ; float -0.0928288251
	.long	0x3d35e97a                      ; float 0.0444121137
	.long	0x3495237e                      ; float 2.77792367E-7
	.long	0xbc8d24f9                      ; float -0.017229544
	.long	0x3c685f80                      ; float 0.0141829252
	.long	0xbbb833db                      ; float -0.00562141603
	.long	0xb124a69e                      ; float -2.39598519E-9
	.long	0x3ad21a87                      ; float 0.00160296343
	.long	0xba9821e8                      ; float -0.00116067845
	.long	0x39d6f710                      ; float 4.10013366E-4
	.long	0x2da18c1b                      ; float 1.83658002E-11
	.long	0xb8c8fffe                      ; float -9.58442542E-5
	.long	0x3885781c                      ; float 6.36430632E-5
	.long	0xb7ae2b25                      ; float -2.07625071E-5
	.long	0xaa04ec8a                      ; float -1.18060211E-13
	.long	0x368d5ef3                      ; float 4.213181E-6
	.long	0xb6303e30                      ; float -2.62622416E-6
	.long	0x3558d126                      ; float 8.07706215E-7
	.long	0x262d4d18                      ; float 6.01259138E-16
	.long	0xb41e28cb                      ; float -1.47297371E-7
	.long	0xbe4cbe7e                      ; float -0.19994542
	.long	0xbc76adea                      ; float -0.0150561128
	.long	0x3ebaba46                      ; float 0.364702404
	.long	0xbeedbf89                      ; float -0.464351922
	.long	0x3e8866ce                      ; float 0.266409338
	.long	0x380ec44f                      ; float 3.40382649E-5
	.long	0xbe0d26d1                      ; float -0.137843385
	.long	0x3e02b5d2                      ; float 0.127646714
	.long	0xbd664079                      ; float -0.0562138297
	.long	0xb43c3e3f                      ; float -1.75315094E-7
	.long	0x3c9d93f6                      ; float 0.0192355923
	.long	0xbc77371a                      ; float -0.0150888208
	.long	0x3bbc182a                      ; float 0.00574018527
	.long	0x3091fe30                      ; float 1.0622383E-9
	.long	0xbac90000                      ; float -0.0015335083
	.long	0x3a8dcf9e                      ; float 0.0010819321
	.long	0xb9c3f089                      ; float -3.7372511E-4
	.long	0xace8d175                      ; float -6.61709099E-12
	.long	0x38b0b6af                      ; float 8.42636145E-5
	.long	0xb867519f                      ; float -5.51507073E-5
	.long	0x37950fca                      ; float 1.77695365E-5
	.long	0x292edd8c                      ; float 3.88279225E-14
	.long	0xb66d3d31                      ; float -3.53513701E-6
	.long	0x3612bd37                      ; float 2.18658329E-6
	.long	0xb5335971                      ; float -6.68128507E-7
	.long	0x3f39715e                      ; float 0.724386096
	.long	0xbfb2268a                      ; float -1.39180112
	.long	0x3f885f7f                      ; float 1.06541431
	.long	0x3944bb29                      ; float 1.87617392E-4
	.long	0xbf53b9e1                      ; float -0.827055037
	.long	0x3f64be03                      ; float 0.893524348
	.long	0xbee64065                      ; float -0.449710041
	.long	0xb5d8309c                      ; float -1.61074013E-6
	.long	0x3e44f8f2                      ; float 0.192355901
	.long	0xbe29f5e1                      ; float -0.165977016
	.long	0x3d8d121f                      ; float 0.0688822195
	.long	0x326ef93b                      ; float 1.39100917E-8
	.long	0xbcafe000                      ; float -0.0214691162
	.long	0x3c84f2a4                      ; float 0.0162289813
	.long	0xbbc3f089                      ; float -0.00597960176
	.long	0xaef836cd                      ; float -1.12874689E-10
	.long	0x3ac6cd85                      ; float 0.00151674508
	.long	0xba895876                      ; float -0.00104786339
	.long	0x39ba53bc                      ; float 3.55390715E-4
	.long	0x2b65fa2b                      ; float 8.1704321E-13
	.long	0xb8a31a12                      ; float -7.77730165E-5
	.long	0x3852efff                      ; float 5.02914154E-5
	.long	0xb7868315                      ; float -1.60350846E-5
	.long	0x2860a0bf                      ; float 1.24693541E-14
	.long	0x365283b7                      ; float 3.13691066E-6
	.long	0x3fd55cd1                      ; float 1.66689503
	.long	0x3deeafd0                      ; float 0.116546273
	.long	0xc0550bb4                      ; float -3.3288393
	.long	0x408f03f4                      ; float 4.46923256
	.long	0xc02ca841                      ; float -2.6977694
	.long	0xb9885993                      ; float -2.60066794E-4
	.long	0x3fc4fabc                      ; float 1.53890181
	.long	0xbfbf34b7                      ; float -1.49379623
	.long	0x3f30567c                      ; float 0.688819647
	.long	0x35af85e3                      ; float 1.30774822E-6
	.long	0xbe83e808                      ; float -0.257629633
	.long	0x3e580a4b                      ; float 0.210976765
	.long	0xbdab7276                      ; float -0.0837144107
	.long	0xb205ddc4                      ; float -7.79204256E-9
	.long	0x3cc6cd86                      ; float 0.0242679231
	.long	0xbc91edfe                      ; float -0.0178136788
	.long	0x3bd19e34                      ; float 0.00639703311
	.long	0x2e596624                      ; float 4.94308067E-11
	.long	0xbacbe096                      ; float -0.00155546027
	.long	0x3a8a6d7f                      ; float 0.00105611968
	.long	0xb9b8f43c                      ; float -3.52771836E-4
	.long	0x29d16c32                      ; float 9.30023338E-14
	.long	0x389de2c9                      ; float 7.52858541E-5
	.long	0xb84a1be1                      ; float -4.81865172E-5
	.long	0x377f78a2                      ; float 1.52272714E-5
	.long	0xc0d3cd74                      ; float -6.61882973
	.long	0x41565e26                      ; float 13.3979855
	.long	0xc12ca12e                      ; float -10.7893505
	.long	0xbabc1e2d                      ; float -0.00143522548
	.long	0x4113bbe2                      ; float 9.23336982
	.long	0xc1274e0a                      ; float -10.4565525
	.long	0x40b05672                      ; float 5.51055241
	.long	0x3749bc93                      ; float 1.20244395E-5
	.long	0xc024e209                      ; float -2.57629609
	.long	0x40148713                      ; float 2.32074428
	.long	0xbf8095d8                      ; float -1.00457287
	.long	0xb3db3628                      ; float -1.02078332E-7
	.long	0x3eadf3d5                      ; float 0.339750916
	.long	0xbe88cf1e                      ; float -0.267205179
	.long	0x3dd19e34                      ; float 0.10235253
	.long	0x3067cdc6                      ; float 8.43297321E-10
	.long	0xbce55ca9                      ; float -0.0279982854
	.long	0x3ca46207                      ; float 0.0200662743
	.long	0xbbe7314b                      ; float -0.00705543673
	.long	0x2c0887f7                      ; float 1.94022381E-12
	.long	0x3ad917d5                      ; float 0.00165628886
	.long	0xba914409                      ; float -0.00110828981
	.long	0x39bf9a7a                      ; float 3.65454529E-4
	.long	0xae619371                      ; float -5.12900312E-11
	.long	0xb8a018c8                      ; float -7.63401039E-5
	.long	0xc188e6d2                      ; float -17.1127052
	.long	0xbf8f7685                      ; float -1.12080443
	.long	0x42148722                      ; float 37.1319656
	.long	0xc251316e                      ; float -52.2982712
	.long	0x42043bff                      ; float 33.0585899
	.long	0x3b2278e6                      ; float 0.00247912994
	.long	0xc1a4e31c                      ; float -20.6108932
	.long	0x41a71805                      ; float 20.8867283
	.long	0xc120bb34                      ; float -10.0457039
	.long	0xb74d552d                      ; float -1.22387837E-5
	.long	0x408276e5                      ; float 4.07701349
	.long	0xc05e5091                      ; float -3.47366738
	.long	0x3fb76a6c                      ; float 1.43293524
	.long	0x33993e87                      ; float 7.13599135E-8
	.long	0xbee55ca9                      ; float -0.447972566
	.long	0x3eaea827                      ; float 0.341126651
	.long	0xbe020bba                      ; float -0.126997858
	.long	0xaf9f2cae                      ; float -2.89536783E-10
	.long	0x3d07aee5                      ; float 0.0331257768
	.long	0xbcbea94c                      ; float -0.0232740864
	.long	0x3c03ba34                      ; float 0.00803999975
	.long	0xb0a1e056                      ; float -1.17780519E-9
	.long	0xbaf0252c                      ; float -0.0018321625
	.long	0x3a9eb4a8                      ; float 0.00121082831
	.long	0xb9cefd15                      ; float -3.94799426E-4
	.long	0x4293c7da                      ; float 73.890335
	.long	0xc31ccd29                      ; float -156.801407
	.long	0x430437bf                      ; float 132.217758
	.long	0x3c605817                      ; float 0.0136928773
	.long	0xc2f75477                      ; float -123.66497
	.long	0x431234f7                      ; float 146.206894
	.long	0xc2a0bb2e                      ; float -80.3655853
	.long	0xb8ec22de                      ; float -1.12598515E-4
	.long	0x4223149e                      ; float 40.770134
	.long	0xc218d763                      ; float -38.2103386
	.long	0x41898fd1                      ; float 17.1952229
	.long	0x357b0a41                      ; float 9.35197078E-7
	.long	0xc0c8b114                      ; float -6.27161598
	.long	0x40a3bda5                      ; float 5.11689997
	.long	0xc0020bba                      ; float -2.03196573
	.long	0xb1aa1b02                      ; float -4.95072161E-9
	.long	0x3f18a4c1                      ; float 0.596263945
	.long	0xbee2690b                      ; float -0.442207664
	.long	0x3e24a8c0                      ; float 0.16079998
	.long	0xb2d4762c                      ; float -2.47337866E-8
	.long	0xbd25198e                      ; float -0.040307574
	.long	0x3ce423b1                      ; float 0.0278490502
	.long	0xbc1b3dcf                      ; float -0.00947518554
	.long	0x36d76ab6                      ; float 6.4199221E-6
	.long	0x3b0b43e3                      ; float 0.00212501804
	.long	0x43542b1a                      ; float 212.168365
	;; [unrolled: 1-line block ×3, first 2 shown]
	.long	0xc3f87dce                      ; float -496.982849
	.long	0x4436cdd2                      ; float 731.215942
	.long	0xc3f111b1                      ; float -482.138214
	.long	0xbcec1227                      ; float -0.0288172495
	.long	0x43a31567                      ; float 326.167206
	.long	0xc3abf25b                      ; float -343.893402
	.long	0x432bf3b2                      ; float 171.951935
	.long	0x3913332d                      ; float 1.40380769E-4
	.long	0xc29684d3                      ; float -75.2594223
	.long	0x42850a16                      ; float 66.519699
	.long	0xc1e39485                      ; float -28.4475193
	.long	0xb54c60f7                      ; float -7.61370245E-7
	.long	0x4118a4c2                      ; float 9.54022407
	.long	0xc0f08f9b                      ; float -7.51752996
	.long	0x40393dd8                      ; float 2.89439964
	.long	0xb4fa3f50                      ; float -4.66121946E-7
	.long	0xbf4e5ff2                      ; float -0.806151509
	.long	0x3f15b76c                      ; float 0.584830046
	.long	0xbe5574fd                      ; float -0.208454087
	.long	0x391ad4b2                      ; float 1.47658197E-4
	.long	0x3d50e5d5                      ; float 0.0510004349
	.long	0xbd07707a                      ; float -0.0330662504
	.long	0x3c778cda                      ; float 0.0151092652
	.long	0xc477662c                      ; float -989.596435
	;; [unrolled: 2-line block ×3, first 2 shown]
	.long	0xbe23145e                      ; float -0.159257382
	.long	0x44f49ff4                      ; float 1956.99854
	.long	0xc5167406                      ; float -2407.25146
	.long	0x44abf3ae                      ; float 1375.61499
	.long	0x3aa95acb                      ; float 0.00129207352
	.long	0xc43c2607                      ; float -752.594177
	.long	0x4436edde                      ; float 731.716675
	.long	0xc3aaaf64                      ; float -341.370239
	.long	0xb727886c                      ; float -9.98573887E-6
	.long	0x43059029                      ; float 133.563126
	.long	0xc2e186a2                      ; float -112.762955
	.long	0x42393dd8                      ; float 46.3103943
	.long	0xb704f033                      ; float -7.92373885E-6
	.long	0xc1682bf0                      ; float -14.5107269
	.long	0x4131c9d1                      ; float 11.1117716
	.long	0xc085691e                      ; float -4.16908169
	.long	0x3b4b3729                      ; float 0.00310082198
	.long	0x3f8f9e02                      ; float 1.12200952
	.long	0xbf42b1b0                      ; float -0.760523796
	.long	0x3eb9a9a3                      ; float 0.36262235
	.long	0x3e6301dc                      ; float 0.22168678
	.long	0x3ef9425d                      ; float 0.486834437
	.size	__const._ZN12_GLOBAL__N_130_igam_helper_asymptotic_seriesIfEET_S1_S1_b.d, 2500

	.type	__const._ZN12_GLOBAL__N_123lanczos_sum_expg_scaledIfEET_S1_.lanczos_sum_expg_scaled_num,@object ; @__const._ZN12_GLOBAL__N_123lanczos_sum_expg_scaledIfEET_S1_.lanczos_sum_expg_scaled_num
	.p2align	4, 0x0
__const._ZN12_GLOBAL__N_123lanczos_sum_expg_scaledIfEET_S1_.lanczos_sum_expg_scaled_num:
	.long	0x3bc6a26b                      ; float 0.0060618422
	.long	0x3f0284fc                      ; float 0.509841681
	;; [unrolled: 1-line block ×8, first 2 shown]
	.long	0x4b5edd0a                      ; float 14605578
	.long	0x4c255322                      ; float 43338888
	;; [unrolled: 1-line block ×5, first 2 shown]
	.size	__const._ZN12_GLOBAL__N_123lanczos_sum_expg_scaledIfEET_S1_.lanczos_sum_expg_scaled_num, 52

	.type	__const._ZN12_GLOBAL__N_123lanczos_sum_expg_scaledIfEET_S1_.lanczos_sum_expg_scaled_denom,@object ; @__const._ZN12_GLOBAL__N_123lanczos_sum_expg_scaledIfEET_S1_.lanczos_sum_expg_scaled_denom
	.p2align	4, 0x0
__const._ZN12_GLOBAL__N_123lanczos_sum_expg_scaledIfEET_S1_.lanczos_sum_expg_scaled_denom:
	.long	0x3f800000                      ; float 1
	.long	0x42840000                      ; float 66
	;; [unrolled: 1-line block ×13, first 2 shown]
	.size	__const._ZN12_GLOBAL__N_123lanczos_sum_expg_scaledIfEET_S1_.lanczos_sum_expg_scaled_denom, 52

	.type	__hip_cuid_9df9374929e3cb78,@object ; @__hip_cuid_9df9374929e3cb78
	.section	.bss,"aw",@nobits
	.globl	__hip_cuid_9df9374929e3cb78
__hip_cuid_9df9374929e3cb78:
	.byte	0                               ; 0x0
	.size	__hip_cuid_9df9374929e3cb78, 1

	.ident	"AMD clang version 22.0.0git (https://github.com/RadeonOpenCompute/llvm-project roc-7.2.4 26084 f58b06dce1f9c15707c5f808fd002e18c2accf7e)"
	.section	".note.GNU-stack","",@progbits
	.addrsig
	.addrsig_sym __hip_cuid_9df9374929e3cb78
	.amdgpu_metadata
---
amdhsa.kernels:
  - .args:
      - .offset:         0
        .size:           4
        .value_kind:     by_value
      - .offset:         4
        .size:           1
        .value_kind:     by_value
      - .offset:         8
        .size:           24
        .value_kind:     by_value
    .group_segment_fixed_size: 1024
    .kernarg_segment_align: 8
    .kernarg_segment_size: 32
    .language:       OpenCL C
    .language_version:
      - 2
      - 0
    .max_flat_workgroup_size: 256
    .name:           _ZN2at6native29vectorized_elementwise_kernelILi16EN12_GLOBAL__N_110CalcIgammaIdEESt5arrayIPcLm3EEEEviT0_T1_
    .private_segment_fixed_size: 240
    .sgpr_count:     52
    .sgpr_spill_count: 0
    .symbol:         _ZN2at6native29vectorized_elementwise_kernelILi16EN12_GLOBAL__N_110CalcIgammaIdEESt5arrayIPcLm3EEEEviT0_T1_.kd
    .uniform_work_group_size: 1
    .uses_dynamic_stack: false
    .vgpr_count:     120
    .vgpr_spill_count: 0
    .wavefront_size: 32
  - .args:
      - .offset:         0
        .size:           4
        .value_kind:     by_value
      - .offset:         4
        .size:           1
        .value_kind:     by_value
      - .offset:         8
        .size:           24
        .value_kind:     by_value
    .group_segment_fixed_size: 1024
    .kernarg_segment_align: 8
    .kernarg_segment_size: 32
    .language:       OpenCL C
    .language_version:
      - 2
      - 0
    .max_flat_workgroup_size: 256
    .name:           _ZN2at6native29vectorized_elementwise_kernelILi8EN12_GLOBAL__N_110CalcIgammaIdEESt5arrayIPcLm3EEEEviT0_T1_
    .private_segment_fixed_size: 240
    .sgpr_count:     52
    .sgpr_spill_count: 0
    .symbol:         _ZN2at6native29vectorized_elementwise_kernelILi8EN12_GLOBAL__N_110CalcIgammaIdEESt5arrayIPcLm3EEEEviT0_T1_.kd
    .uniform_work_group_size: 1
    .uses_dynamic_stack: false
    .vgpr_count:     120
    .vgpr_spill_count: 0
    .wavefront_size: 32
  - .args:
      - .offset:         0
        .size:           4
        .value_kind:     by_value
      - .offset:         4
        .size:           1
        .value_kind:     by_value
      - .offset:         8
        .size:           24
        .value_kind:     by_value
    .group_segment_fixed_size: 1024
    .kernarg_segment_align: 8
    .kernarg_segment_size: 32
    .language:       OpenCL C
    .language_version:
      - 2
      - 0
    .max_flat_workgroup_size: 256
    .name:           _ZN2at6native29vectorized_elementwise_kernelILi4EN12_GLOBAL__N_110CalcIgammaIdEESt5arrayIPcLm3EEEEviT0_T1_
    .private_segment_fixed_size: 240
    .sgpr_count:     52
    .sgpr_spill_count: 0
    .symbol:         _ZN2at6native29vectorized_elementwise_kernelILi4EN12_GLOBAL__N_110CalcIgammaIdEESt5arrayIPcLm3EEEEviT0_T1_.kd
    .uniform_work_group_size: 1
    .uses_dynamic_stack: false
    .vgpr_count:     120
    .vgpr_spill_count: 0
    .wavefront_size: 32
  - .args:
      - .offset:         0
        .size:           4
        .value_kind:     by_value
      - .offset:         4
        .size:           1
        .value_kind:     by_value
      - .offset:         8
        .size:           24
        .value_kind:     by_value
    .group_segment_fixed_size: 1024
    .kernarg_segment_align: 8
    .kernarg_segment_size: 32
    .language:       OpenCL C
    .language_version:
      - 2
      - 0
    .max_flat_workgroup_size: 256
    .name:           _ZN2at6native29vectorized_elementwise_kernelILi2EN12_GLOBAL__N_110CalcIgammaIdEESt5arrayIPcLm3EEEEviT0_T1_
    .private_segment_fixed_size: 240
    .sgpr_count:     52
    .sgpr_spill_count: 0
    .symbol:         _ZN2at6native29vectorized_elementwise_kernelILi2EN12_GLOBAL__N_110CalcIgammaIdEESt5arrayIPcLm3EEEEviT0_T1_.kd
    .uniform_work_group_size: 1
    .uses_dynamic_stack: false
    .vgpr_count:     120
    .vgpr_spill_count: 0
    .wavefront_size: 32
  - .args:
      - .offset:         0
        .size:           4
        .value_kind:     by_value
      - .offset:         4
        .size:           1
        .value_kind:     by_value
      - .offset:         8
        .size:           24
        .value_kind:     by_value
      - .offset:         32
        .size:           1
        .value_kind:     by_value
      - .offset:         33
        .size:           1
        .value_kind:     by_value
      - .offset:         34
        .size:           1
        .value_kind:     by_value
      - .offset:         35
        .size:           1
        .value_kind:     by_value
    .group_segment_fixed_size: 512
    .kernarg_segment_align: 8
    .kernarg_segment_size: 36
    .language:       OpenCL C
    .language_version:
      - 2
      - 0
    .max_flat_workgroup_size: 256
    .name:           _ZN2at6native27unrolled_elementwise_kernelIN12_GLOBAL__N_110CalcIgammaIdEESt5arrayIPcLm3EELi4E23TrivialOffsetCalculatorILi2EjES8_ILi1EjENS0_6memory15LoadWithoutCastENSB_16StoreWithoutCastEEEviT_T0_T2_T3_T4_T5_
    .private_segment_fixed_size: 240
    .sgpr_count:     48
    .sgpr_spill_count: 0
    .symbol:         _ZN2at6native27unrolled_elementwise_kernelIN12_GLOBAL__N_110CalcIgammaIdEESt5arrayIPcLm3EELi4E23TrivialOffsetCalculatorILi2EjES8_ILi1EjENS0_6memory15LoadWithoutCastENSB_16StoreWithoutCastEEEviT_T0_T2_T3_T4_T5_.kd
    .uniform_work_group_size: 1
    .uses_dynamic_stack: false
    .vgpr_count:     120
    .vgpr_spill_count: 0
    .wavefront_size: 32
  - .args:
      - .offset:         0
        .size:           4
        .value_kind:     by_value
      - .offset:         8
        .size:           424
        .value_kind:     by_value
    .group_segment_fixed_size: 0
    .kernarg_segment_align: 8
    .kernarg_segment_size: 432
    .language:       OpenCL C
    .language_version:
      - 2
      - 0
    .max_flat_workgroup_size: 128
    .name:           _ZN2at6native32elementwise_kernel_manual_unrollILi128ELi4EZNS0_22gpu_kernel_impl_nocastIN12_GLOBAL__N_110CalcIgammaIdEEEEvRNS_18TensorIteratorBaseERKT_EUlibE_EEviT1_
    .private_segment_fixed_size: 240
    .sgpr_count:     73
    .sgpr_spill_count: 0
    .symbol:         _ZN2at6native32elementwise_kernel_manual_unrollILi128ELi4EZNS0_22gpu_kernel_impl_nocastIN12_GLOBAL__N_110CalcIgammaIdEEEEvRNS_18TensorIteratorBaseERKT_EUlibE_EEviT1_.kd
    .uniform_work_group_size: 1
    .uses_dynamic_stack: false
    .vgpr_count:     120
    .vgpr_spill_count: 0
    .wavefront_size: 32
  - .args:
      - .offset:         0
        .size:           4
        .value_kind:     by_value
      - .offset:         8
        .size:           40
        .value_kind:     by_value
    .group_segment_fixed_size: 0
    .kernarg_segment_align: 8
    .kernarg_segment_size: 48
    .language:       OpenCL C
    .language_version:
      - 2
      - 0
    .max_flat_workgroup_size: 128
    .name:           _ZN2at6native32elementwise_kernel_manual_unrollILi128ELi4EZNS0_15gpu_kernel_implIN12_GLOBAL__N_110CalcIgammaIdEEEEvRNS_18TensorIteratorBaseERKT_EUlibE_EEviT1_
    .private_segment_fixed_size: 240
    .sgpr_count:     68
    .sgpr_spill_count: 0
    .symbol:         _ZN2at6native32elementwise_kernel_manual_unrollILi128ELi4EZNS0_15gpu_kernel_implIN12_GLOBAL__N_110CalcIgammaIdEEEEvRNS_18TensorIteratorBaseERKT_EUlibE_EEviT1_.kd
    .uniform_work_group_size: 1
    .uses_dynamic_stack: false
    .vgpr_count:     120
    .vgpr_spill_count: 0
    .wavefront_size: 32
  - .args:
      - .offset:         0
        .size:           4
        .value_kind:     by_value
      - .offset:         8
        .size:           424
        .value_kind:     by_value
    .group_segment_fixed_size: 0
    .kernarg_segment_align: 8
    .kernarg_segment_size: 432
    .language:       OpenCL C
    .language_version:
      - 2
      - 0
    .max_flat_workgroup_size: 128
    .name:           _ZN2at6native32elementwise_kernel_manual_unrollILi128ELi4EZNS0_15gpu_kernel_implIN12_GLOBAL__N_110CalcIgammaIdEEEEvRNS_18TensorIteratorBaseERKT_EUlibE0_EEviT1_
    .private_segment_fixed_size: 240
    .sgpr_count:     86
    .sgpr_spill_count: 0
    .symbol:         _ZN2at6native32elementwise_kernel_manual_unrollILi128ELi4EZNS0_15gpu_kernel_implIN12_GLOBAL__N_110CalcIgammaIdEEEEvRNS_18TensorIteratorBaseERKT_EUlibE0_EEviT1_.kd
    .uniform_work_group_size: 1
    .uses_dynamic_stack: false
    .vgpr_count:     120
    .vgpr_spill_count: 0
    .wavefront_size: 32
  - .args:
      - .offset:         0
        .size:           4
        .value_kind:     by_value
      - .offset:         4
        .size:           1
        .value_kind:     by_value
      - .offset:         8
        .size:           24
        .value_kind:     by_value
    .group_segment_fixed_size: 1024
    .kernarg_segment_align: 8
    .kernarg_segment_size: 32
    .language:       OpenCL C
    .language_version:
      - 2
      - 0
    .max_flat_workgroup_size: 256
    .name:           _ZN2at6native29vectorized_elementwise_kernelILi16EN12_GLOBAL__N_110CalcIgammaIfEESt5arrayIPcLm3EEEEviT0_T1_
    .private_segment_fixed_size: 144
    .sgpr_count:     54
    .sgpr_spill_count: 0
    .symbol:         _ZN2at6native29vectorized_elementwise_kernelILi16EN12_GLOBAL__N_110CalcIgammaIfEESt5arrayIPcLm3EEEEviT0_T1_.kd
    .uniform_work_group_size: 1
    .uses_dynamic_stack: false
    .vgpr_count:     84
    .vgpr_spill_count: 0
    .wavefront_size: 32
  - .args:
      - .offset:         0
        .size:           4
        .value_kind:     by_value
      - .offset:         4
        .size:           1
        .value_kind:     by_value
      - .offset:         8
        .size:           24
        .value_kind:     by_value
    .group_segment_fixed_size: 1024
    .kernarg_segment_align: 8
    .kernarg_segment_size: 32
    .language:       OpenCL C
    .language_version:
      - 2
      - 0
    .max_flat_workgroup_size: 256
    .name:           _ZN2at6native29vectorized_elementwise_kernelILi8EN12_GLOBAL__N_110CalcIgammaIfEESt5arrayIPcLm3EEEEviT0_T1_
    .private_segment_fixed_size: 144
    .sgpr_count:     54
    .sgpr_spill_count: 0
    .symbol:         _ZN2at6native29vectorized_elementwise_kernelILi8EN12_GLOBAL__N_110CalcIgammaIfEESt5arrayIPcLm3EEEEviT0_T1_.kd
    .uniform_work_group_size: 1
    .uses_dynamic_stack: false
    .vgpr_count:     84
    .vgpr_spill_count: 0
    .wavefront_size: 32
  - .args:
      - .offset:         0
        .size:           4
        .value_kind:     by_value
      - .offset:         4
        .size:           1
        .value_kind:     by_value
      - .offset:         8
        .size:           24
        .value_kind:     by_value
    .group_segment_fixed_size: 1024
    .kernarg_segment_align: 8
    .kernarg_segment_size: 32
    .language:       OpenCL C
    .language_version:
      - 2
      - 0
    .max_flat_workgroup_size: 256
    .name:           _ZN2at6native29vectorized_elementwise_kernelILi4EN12_GLOBAL__N_110CalcIgammaIfEESt5arrayIPcLm3EEEEviT0_T1_
    .private_segment_fixed_size: 144
    .sgpr_count:     54
    .sgpr_spill_count: 0
    .symbol:         _ZN2at6native29vectorized_elementwise_kernelILi4EN12_GLOBAL__N_110CalcIgammaIfEESt5arrayIPcLm3EEEEviT0_T1_.kd
    .uniform_work_group_size: 1
    .uses_dynamic_stack: false
    .vgpr_count:     84
    .vgpr_spill_count: 0
    .wavefront_size: 32
  - .args:
      - .offset:         0
        .size:           4
        .value_kind:     by_value
      - .offset:         4
        .size:           1
        .value_kind:     by_value
      - .offset:         8
        .size:           24
        .value_kind:     by_value
    .group_segment_fixed_size: 1024
    .kernarg_segment_align: 8
    .kernarg_segment_size: 32
    .language:       OpenCL C
    .language_version:
      - 2
      - 0
    .max_flat_workgroup_size: 256
    .name:           _ZN2at6native29vectorized_elementwise_kernelILi2EN12_GLOBAL__N_110CalcIgammaIfEESt5arrayIPcLm3EEEEviT0_T1_
    .private_segment_fixed_size: 144
    .sgpr_count:     54
    .sgpr_spill_count: 0
    .symbol:         _ZN2at6native29vectorized_elementwise_kernelILi2EN12_GLOBAL__N_110CalcIgammaIfEESt5arrayIPcLm3EEEEviT0_T1_.kd
    .uniform_work_group_size: 1
    .uses_dynamic_stack: false
    .vgpr_count:     84
    .vgpr_spill_count: 0
    .wavefront_size: 32
  - .args:
      - .offset:         0
        .size:           4
        .value_kind:     by_value
      - .offset:         4
        .size:           1
        .value_kind:     by_value
      - .offset:         8
        .size:           24
        .value_kind:     by_value
      - .offset:         32
        .size:           1
        .value_kind:     by_value
      - .offset:         33
        .size:           1
        .value_kind:     by_value
      - .offset:         34
        .size:           1
        .value_kind:     by_value
      - .offset:         35
        .size:           1
        .value_kind:     by_value
    .group_segment_fixed_size: 512
    .kernarg_segment_align: 8
    .kernarg_segment_size: 36
    .language:       OpenCL C
    .language_version:
      - 2
      - 0
    .max_flat_workgroup_size: 256
    .name:           _ZN2at6native27unrolled_elementwise_kernelIN12_GLOBAL__N_110CalcIgammaIfEESt5arrayIPcLm3EELi4E23TrivialOffsetCalculatorILi2EjES8_ILi1EjENS0_6memory15LoadWithoutCastENSB_16StoreWithoutCastEEEviT_T0_T2_T3_T4_T5_
    .private_segment_fixed_size: 144
    .sgpr_count:     50
    .sgpr_spill_count: 0
    .symbol:         _ZN2at6native27unrolled_elementwise_kernelIN12_GLOBAL__N_110CalcIgammaIfEESt5arrayIPcLm3EELi4E23TrivialOffsetCalculatorILi2EjES8_ILi1EjENS0_6memory15LoadWithoutCastENSB_16StoreWithoutCastEEEviT_T0_T2_T3_T4_T5_.kd
    .uniform_work_group_size: 1
    .uses_dynamic_stack: false
    .vgpr_count:     84
    .vgpr_spill_count: 0
    .wavefront_size: 32
  - .args:
      - .offset:         0
        .size:           4
        .value_kind:     by_value
      - .offset:         8
        .size:           424
        .value_kind:     by_value
    .group_segment_fixed_size: 0
    .kernarg_segment_align: 8
    .kernarg_segment_size: 432
    .language:       OpenCL C
    .language_version:
      - 2
      - 0
    .max_flat_workgroup_size: 128
    .name:           _ZN2at6native32elementwise_kernel_manual_unrollILi128ELi4EZNS0_22gpu_kernel_impl_nocastIN12_GLOBAL__N_110CalcIgammaIfEEEEvRNS_18TensorIteratorBaseERKT_EUlibE_EEviT1_
    .private_segment_fixed_size: 144
    .sgpr_count:     75
    .sgpr_spill_count: 0
    .symbol:         _ZN2at6native32elementwise_kernel_manual_unrollILi128ELi4EZNS0_22gpu_kernel_impl_nocastIN12_GLOBAL__N_110CalcIgammaIfEEEEvRNS_18TensorIteratorBaseERKT_EUlibE_EEviT1_.kd
    .uniform_work_group_size: 1
    .uses_dynamic_stack: false
    .vgpr_count:     84
    .vgpr_spill_count: 0
    .wavefront_size: 32
  - .args:
      - .offset:         0
        .size:           4
        .value_kind:     by_value
      - .offset:         4
        .size:           1
        .value_kind:     by_value
      - .offset:         8
        .size:           24
        .value_kind:     by_value
      - .offset:         32
        .size:           1
        .value_kind:     by_value
      - .offset:         33
        .size:           1
        .value_kind:     by_value
      - .offset:         36
        .size:           12
        .value_kind:     by_value
      - .offset:         48
        .size:           8
        .value_kind:     by_value
      - .offset:         56
        .size:           4
        .value_kind:     hidden_block_count_x
      - .offset:         60
        .size:           4
        .value_kind:     hidden_block_count_y
      - .offset:         64
        .size:           4
        .value_kind:     hidden_block_count_z
      - .offset:         68
        .size:           2
        .value_kind:     hidden_group_size_x
      - .offset:         70
        .size:           2
        .value_kind:     hidden_group_size_y
      - .offset:         72
        .size:           2
        .value_kind:     hidden_group_size_z
      - .offset:         74
        .size:           2
        .value_kind:     hidden_remainder_x
      - .offset:         76
        .size:           2
        .value_kind:     hidden_remainder_y
      - .offset:         78
        .size:           2
        .value_kind:     hidden_remainder_z
      - .offset:         96
        .size:           8
        .value_kind:     hidden_global_offset_x
      - .offset:         104
        .size:           8
        .value_kind:     hidden_global_offset_y
      - .offset:         112
        .size:           8
        .value_kind:     hidden_global_offset_z
      - .offset:         120
        .size:           2
        .value_kind:     hidden_grid_dims
    .group_segment_fixed_size: 1024
    .kernarg_segment_align: 8
    .kernarg_segment_size: 312
    .language:       OpenCL C
    .language_version:
      - 2
      - 0
    .max_flat_workgroup_size: 512
    .name:           _ZN2at6native39vectorized_templated_elementwise_kernelILi8EN12_GLOBAL__N_110CalcIgammaIfEESt5arrayIPcLm3EE23TrivialOffsetCalculatorILi2EjES8_ILi1EjENS0_6memory12LoadWithCastILi2EEENSB_13StoreWithCastILi1EEEfJfN3c108BFloat16EEEEviT0_T1_T2_T3_T4_T5_
    .private_segment_fixed_size: 448
    .sgpr_count:     98
    .sgpr_spill_count: 0
    .symbol:         _ZN2at6native39vectorized_templated_elementwise_kernelILi8EN12_GLOBAL__N_110CalcIgammaIfEESt5arrayIPcLm3EE23TrivialOffsetCalculatorILi2EjES8_ILi1EjENS0_6memory12LoadWithCastILi2EEENSB_13StoreWithCastILi1EEEfJfN3c108BFloat16EEEEviT0_T1_T2_T3_T4_T5_.kd
    .uniform_work_group_size: 1
    .uses_dynamic_stack: false
    .vgpr_count:     214
    .vgpr_spill_count: 0
    .wavefront_size: 32
  - .args:
      - .offset:         0
        .size:           4
        .value_kind:     by_value
      - .offset:         4
        .size:           1
        .value_kind:     by_value
      - .offset:         8
        .size:           24
        .value_kind:     by_value
      - .offset:         32
        .size:           1
        .value_kind:     by_value
      - .offset:         33
        .size:           1
        .value_kind:     by_value
      - .offset:         36
        .size:           12
        .value_kind:     by_value
      - .offset:         48
        .size:           8
        .value_kind:     by_value
      - .offset:         56
        .size:           4
        .value_kind:     hidden_block_count_x
      - .offset:         60
        .size:           4
        .value_kind:     hidden_block_count_y
      - .offset:         64
        .size:           4
        .value_kind:     hidden_block_count_z
      - .offset:         68
        .size:           2
        .value_kind:     hidden_group_size_x
      - .offset:         70
        .size:           2
        .value_kind:     hidden_group_size_y
      - .offset:         72
        .size:           2
        .value_kind:     hidden_group_size_z
      - .offset:         74
        .size:           2
        .value_kind:     hidden_remainder_x
      - .offset:         76
        .size:           2
        .value_kind:     hidden_remainder_y
      - .offset:         78
        .size:           2
        .value_kind:     hidden_remainder_z
      - .offset:         96
        .size:           8
        .value_kind:     hidden_global_offset_x
      - .offset:         104
        .size:           8
        .value_kind:     hidden_global_offset_y
      - .offset:         112
        .size:           8
        .value_kind:     hidden_global_offset_z
      - .offset:         120
        .size:           2
        .value_kind:     hidden_grid_dims
    .group_segment_fixed_size: 1024
    .kernarg_segment_align: 8
    .kernarg_segment_size: 312
    .language:       OpenCL C
    .language_version:
      - 2
      - 0
    .max_flat_workgroup_size: 512
    .name:           _ZN2at6native39vectorized_templated_elementwise_kernelILi4EN12_GLOBAL__N_110CalcIgammaIfEESt5arrayIPcLm3EE23TrivialOffsetCalculatorILi2EjES8_ILi1EjENS0_6memory12LoadWithCastILi2EEENSB_13StoreWithCastILi1EEEfJfN3c108BFloat16EEEEviT0_T1_T2_T3_T4_T5_
    .private_segment_fixed_size: 448
    .sgpr_count:     98
    .sgpr_spill_count: 0
    .symbol:         _ZN2at6native39vectorized_templated_elementwise_kernelILi4EN12_GLOBAL__N_110CalcIgammaIfEESt5arrayIPcLm3EE23TrivialOffsetCalculatorILi2EjES8_ILi1EjENS0_6memory12LoadWithCastILi2EEENSB_13StoreWithCastILi1EEEfJfN3c108BFloat16EEEEviT0_T1_T2_T3_T4_T5_.kd
    .uniform_work_group_size: 1
    .uses_dynamic_stack: false
    .vgpr_count:     214
    .vgpr_spill_count: 0
    .wavefront_size: 32
  - .args:
      - .offset:         0
        .size:           4
        .value_kind:     by_value
      - .offset:         4
        .size:           1
        .value_kind:     by_value
      - .offset:         8
        .size:           24
        .value_kind:     by_value
      - .offset:         32
        .size:           1
        .value_kind:     by_value
      - .offset:         33
        .size:           1
        .value_kind:     by_value
      - .offset:         36
        .size:           12
        .value_kind:     by_value
      - .offset:         48
        .size:           8
        .value_kind:     by_value
      - .offset:         56
        .size:           4
        .value_kind:     hidden_block_count_x
      - .offset:         60
        .size:           4
        .value_kind:     hidden_block_count_y
      - .offset:         64
        .size:           4
        .value_kind:     hidden_block_count_z
      - .offset:         68
        .size:           2
        .value_kind:     hidden_group_size_x
      - .offset:         70
        .size:           2
        .value_kind:     hidden_group_size_y
      - .offset:         72
        .size:           2
        .value_kind:     hidden_group_size_z
      - .offset:         74
        .size:           2
        .value_kind:     hidden_remainder_x
      - .offset:         76
        .size:           2
        .value_kind:     hidden_remainder_y
      - .offset:         78
        .size:           2
        .value_kind:     hidden_remainder_z
      - .offset:         96
        .size:           8
        .value_kind:     hidden_global_offset_x
      - .offset:         104
        .size:           8
        .value_kind:     hidden_global_offset_y
      - .offset:         112
        .size:           8
        .value_kind:     hidden_global_offset_z
      - .offset:         120
        .size:           2
        .value_kind:     hidden_grid_dims
    .group_segment_fixed_size: 1024
    .kernarg_segment_align: 8
    .kernarg_segment_size: 312
    .language:       OpenCL C
    .language_version:
      - 2
      - 0
    .max_flat_workgroup_size: 512
    .name:           _ZN2at6native39vectorized_templated_elementwise_kernelILi2EN12_GLOBAL__N_110CalcIgammaIfEESt5arrayIPcLm3EE23TrivialOffsetCalculatorILi2EjES8_ILi1EjENS0_6memory12LoadWithCastILi2EEENSB_13StoreWithCastILi1EEEfJfN3c108BFloat16EEEEviT0_T1_T2_T3_T4_T5_
    .private_segment_fixed_size: 448
    .sgpr_count:     98
    .sgpr_spill_count: 0
    .symbol:         _ZN2at6native39vectorized_templated_elementwise_kernelILi2EN12_GLOBAL__N_110CalcIgammaIfEESt5arrayIPcLm3EE23TrivialOffsetCalculatorILi2EjES8_ILi1EjENS0_6memory12LoadWithCastILi2EEENSB_13StoreWithCastILi1EEEfJfN3c108BFloat16EEEEviT0_T1_T2_T3_T4_T5_.kd
    .uniform_work_group_size: 1
    .uses_dynamic_stack: false
    .vgpr_count:     214
    .vgpr_spill_count: 0
    .wavefront_size: 32
  - .args:
      - .offset:         0
        .size:           4
        .value_kind:     by_value
      - .offset:         4
        .size:           1
        .value_kind:     by_value
      - .offset:         8
        .size:           24
        .value_kind:     by_value
      - .offset:         32
        .size:           1
        .value_kind:     by_value
      - .offset:         33
        .size:           1
        .value_kind:     by_value
      - .offset:         36
        .size:           12
        .value_kind:     by_value
      - .offset:         48
        .size:           8
        .value_kind:     by_value
      - .offset:         56
        .size:           4
        .value_kind:     hidden_block_count_x
      - .offset:         60
        .size:           4
        .value_kind:     hidden_block_count_y
      - .offset:         64
        .size:           4
        .value_kind:     hidden_block_count_z
      - .offset:         68
        .size:           2
        .value_kind:     hidden_group_size_x
      - .offset:         70
        .size:           2
        .value_kind:     hidden_group_size_y
      - .offset:         72
        .size:           2
        .value_kind:     hidden_group_size_z
      - .offset:         74
        .size:           2
        .value_kind:     hidden_remainder_x
      - .offset:         76
        .size:           2
        .value_kind:     hidden_remainder_y
      - .offset:         78
        .size:           2
        .value_kind:     hidden_remainder_z
      - .offset:         96
        .size:           8
        .value_kind:     hidden_global_offset_x
      - .offset:         104
        .size:           8
        .value_kind:     hidden_global_offset_y
      - .offset:         112
        .size:           8
        .value_kind:     hidden_global_offset_z
      - .offset:         120
        .size:           2
        .value_kind:     hidden_grid_dims
    .group_segment_fixed_size: 1024
    .kernarg_segment_align: 8
    .kernarg_segment_size: 312
    .language:       OpenCL C
    .language_version:
      - 2
      - 0
    .max_flat_workgroup_size: 512
    .name:           _ZN2at6native39vectorized_templated_elementwise_kernelILi8EN12_GLOBAL__N_110CalcIgammaIfEESt5arrayIPcLm3EE23TrivialOffsetCalculatorILi2EjES8_ILi1EjENS0_6memory12LoadWithCastILi2EEENSB_13StoreWithCastILi1EEEfJN3c108BFloat16EfEEEviT0_T1_T2_T3_T4_T5_
    .private_segment_fixed_size: 448
    .sgpr_count:     98
    .sgpr_spill_count: 0
    .symbol:         _ZN2at6native39vectorized_templated_elementwise_kernelILi8EN12_GLOBAL__N_110CalcIgammaIfEESt5arrayIPcLm3EE23TrivialOffsetCalculatorILi2EjES8_ILi1EjENS0_6memory12LoadWithCastILi2EEENSB_13StoreWithCastILi1EEEfJN3c108BFloat16EfEEEviT0_T1_T2_T3_T4_T5_.kd
    .uniform_work_group_size: 1
    .uses_dynamic_stack: false
    .vgpr_count:     214
    .vgpr_spill_count: 0
    .wavefront_size: 32
  - .args:
      - .offset:         0
        .size:           4
        .value_kind:     by_value
      - .offset:         4
        .size:           1
        .value_kind:     by_value
      - .offset:         8
        .size:           24
        .value_kind:     by_value
      - .offset:         32
        .size:           1
        .value_kind:     by_value
      - .offset:         33
        .size:           1
        .value_kind:     by_value
      - .offset:         36
        .size:           12
        .value_kind:     by_value
      - .offset:         48
        .size:           8
        .value_kind:     by_value
      - .offset:         56
        .size:           4
        .value_kind:     hidden_block_count_x
      - .offset:         60
        .size:           4
        .value_kind:     hidden_block_count_y
      - .offset:         64
        .size:           4
        .value_kind:     hidden_block_count_z
      - .offset:         68
        .size:           2
        .value_kind:     hidden_group_size_x
      - .offset:         70
        .size:           2
        .value_kind:     hidden_group_size_y
      - .offset:         72
        .size:           2
        .value_kind:     hidden_group_size_z
      - .offset:         74
        .size:           2
        .value_kind:     hidden_remainder_x
      - .offset:         76
        .size:           2
        .value_kind:     hidden_remainder_y
      - .offset:         78
        .size:           2
        .value_kind:     hidden_remainder_z
      - .offset:         96
        .size:           8
        .value_kind:     hidden_global_offset_x
      - .offset:         104
        .size:           8
        .value_kind:     hidden_global_offset_y
      - .offset:         112
        .size:           8
        .value_kind:     hidden_global_offset_z
      - .offset:         120
        .size:           2
        .value_kind:     hidden_grid_dims
    .group_segment_fixed_size: 1024
    .kernarg_segment_align: 8
    .kernarg_segment_size: 312
    .language:       OpenCL C
    .language_version:
      - 2
      - 0
    .max_flat_workgroup_size: 512
    .name:           _ZN2at6native39vectorized_templated_elementwise_kernelILi4EN12_GLOBAL__N_110CalcIgammaIfEESt5arrayIPcLm3EE23TrivialOffsetCalculatorILi2EjES8_ILi1EjENS0_6memory12LoadWithCastILi2EEENSB_13StoreWithCastILi1EEEfJN3c108BFloat16EfEEEviT0_T1_T2_T3_T4_T5_
    .private_segment_fixed_size: 448
    .sgpr_count:     98
    .sgpr_spill_count: 0
    .symbol:         _ZN2at6native39vectorized_templated_elementwise_kernelILi4EN12_GLOBAL__N_110CalcIgammaIfEESt5arrayIPcLm3EE23TrivialOffsetCalculatorILi2EjES8_ILi1EjENS0_6memory12LoadWithCastILi2EEENSB_13StoreWithCastILi1EEEfJN3c108BFloat16EfEEEviT0_T1_T2_T3_T4_T5_.kd
    .uniform_work_group_size: 1
    .uses_dynamic_stack: false
    .vgpr_count:     214
    .vgpr_spill_count: 0
    .wavefront_size: 32
  - .args:
      - .offset:         0
        .size:           4
        .value_kind:     by_value
      - .offset:         4
        .size:           1
        .value_kind:     by_value
      - .offset:         8
        .size:           24
        .value_kind:     by_value
      - .offset:         32
        .size:           1
        .value_kind:     by_value
      - .offset:         33
        .size:           1
        .value_kind:     by_value
      - .offset:         36
        .size:           12
        .value_kind:     by_value
      - .offset:         48
        .size:           8
        .value_kind:     by_value
      - .offset:         56
        .size:           4
        .value_kind:     hidden_block_count_x
      - .offset:         60
        .size:           4
        .value_kind:     hidden_block_count_y
      - .offset:         64
        .size:           4
        .value_kind:     hidden_block_count_z
      - .offset:         68
        .size:           2
        .value_kind:     hidden_group_size_x
      - .offset:         70
        .size:           2
        .value_kind:     hidden_group_size_y
      - .offset:         72
        .size:           2
        .value_kind:     hidden_group_size_z
      - .offset:         74
        .size:           2
        .value_kind:     hidden_remainder_x
      - .offset:         76
        .size:           2
        .value_kind:     hidden_remainder_y
      - .offset:         78
        .size:           2
        .value_kind:     hidden_remainder_z
      - .offset:         96
        .size:           8
        .value_kind:     hidden_global_offset_x
      - .offset:         104
        .size:           8
        .value_kind:     hidden_global_offset_y
      - .offset:         112
        .size:           8
        .value_kind:     hidden_global_offset_z
      - .offset:         120
        .size:           2
        .value_kind:     hidden_grid_dims
    .group_segment_fixed_size: 1024
    .kernarg_segment_align: 8
    .kernarg_segment_size: 312
    .language:       OpenCL C
    .language_version:
      - 2
      - 0
    .max_flat_workgroup_size: 512
    .name:           _ZN2at6native39vectorized_templated_elementwise_kernelILi2EN12_GLOBAL__N_110CalcIgammaIfEESt5arrayIPcLm3EE23TrivialOffsetCalculatorILi2EjES8_ILi1EjENS0_6memory12LoadWithCastILi2EEENSB_13StoreWithCastILi1EEEfJN3c108BFloat16EfEEEviT0_T1_T2_T3_T4_T5_
    .private_segment_fixed_size: 448
    .sgpr_count:     98
    .sgpr_spill_count: 0
    .symbol:         _ZN2at6native39vectorized_templated_elementwise_kernelILi2EN12_GLOBAL__N_110CalcIgammaIfEESt5arrayIPcLm3EE23TrivialOffsetCalculatorILi2EjES8_ILi1EjENS0_6memory12LoadWithCastILi2EEENSB_13StoreWithCastILi1EEEfJN3c108BFloat16EfEEEviT0_T1_T2_T3_T4_T5_.kd
    .uniform_work_group_size: 1
    .uses_dynamic_stack: false
    .vgpr_count:     214
    .vgpr_spill_count: 0
    .wavefront_size: 32
  - .args:
      - .offset:         0
        .size:           4
        .value_kind:     by_value
      - .offset:         4
        .size:           1
        .value_kind:     by_value
      - .offset:         8
        .size:           24
        .value_kind:     by_value
      - .offset:         32
        .size:           1
        .value_kind:     by_value
      - .offset:         33
        .size:           1
        .value_kind:     by_value
      - .offset:         36
        .size:           12
        .value_kind:     by_value
      - .offset:         48
        .size:           8
        .value_kind:     by_value
      - .offset:         56
        .size:           4
        .value_kind:     hidden_block_count_x
      - .offset:         60
        .size:           4
        .value_kind:     hidden_block_count_y
      - .offset:         64
        .size:           4
        .value_kind:     hidden_block_count_z
      - .offset:         68
        .size:           2
        .value_kind:     hidden_group_size_x
      - .offset:         70
        .size:           2
        .value_kind:     hidden_group_size_y
      - .offset:         72
        .size:           2
        .value_kind:     hidden_group_size_z
      - .offset:         74
        .size:           2
        .value_kind:     hidden_remainder_x
      - .offset:         76
        .size:           2
        .value_kind:     hidden_remainder_y
      - .offset:         78
        .size:           2
        .value_kind:     hidden_remainder_z
      - .offset:         96
        .size:           8
        .value_kind:     hidden_global_offset_x
      - .offset:         104
        .size:           8
        .value_kind:     hidden_global_offset_y
      - .offset:         112
        .size:           8
        .value_kind:     hidden_global_offset_z
      - .offset:         120
        .size:           2
        .value_kind:     hidden_grid_dims
    .group_segment_fixed_size: 1024
    .kernarg_segment_align: 8
    .kernarg_segment_size: 312
    .language:       OpenCL C
    .language_version:
      - 2
      - 0
    .max_flat_workgroup_size: 512
    .name:           _ZN2at6native39vectorized_templated_elementwise_kernelILi8EN12_GLOBAL__N_110CalcIgammaIfEESt5arrayIPcLm3EE23TrivialOffsetCalculatorILi2EjES8_ILi1EjENS0_6memory12LoadWithCastILi2EEENSB_13StoreWithCastILi1EEEN3c108BFloat16EJSH_fEEEviT0_T1_T2_T3_T4_T5_
    .private_segment_fixed_size: 448
    .sgpr_count:     98
    .sgpr_spill_count: 0
    .symbol:         _ZN2at6native39vectorized_templated_elementwise_kernelILi8EN12_GLOBAL__N_110CalcIgammaIfEESt5arrayIPcLm3EE23TrivialOffsetCalculatorILi2EjES8_ILi1EjENS0_6memory12LoadWithCastILi2EEENSB_13StoreWithCastILi1EEEN3c108BFloat16EJSH_fEEEviT0_T1_T2_T3_T4_T5_.kd
    .uniform_work_group_size: 1
    .uses_dynamic_stack: false
    .vgpr_count:     214
    .vgpr_spill_count: 0
    .wavefront_size: 32
  - .args:
      - .offset:         0
        .size:           4
        .value_kind:     by_value
      - .offset:         4
        .size:           1
        .value_kind:     by_value
      - .offset:         8
        .size:           24
        .value_kind:     by_value
      - .offset:         32
        .size:           1
        .value_kind:     by_value
      - .offset:         33
        .size:           1
        .value_kind:     by_value
      - .offset:         36
        .size:           12
        .value_kind:     by_value
      - .offset:         48
        .size:           8
        .value_kind:     by_value
      - .offset:         56
        .size:           4
        .value_kind:     hidden_block_count_x
      - .offset:         60
        .size:           4
        .value_kind:     hidden_block_count_y
      - .offset:         64
        .size:           4
        .value_kind:     hidden_block_count_z
      - .offset:         68
        .size:           2
        .value_kind:     hidden_group_size_x
      - .offset:         70
        .size:           2
        .value_kind:     hidden_group_size_y
      - .offset:         72
        .size:           2
        .value_kind:     hidden_group_size_z
      - .offset:         74
        .size:           2
        .value_kind:     hidden_remainder_x
      - .offset:         76
        .size:           2
        .value_kind:     hidden_remainder_y
      - .offset:         78
        .size:           2
        .value_kind:     hidden_remainder_z
      - .offset:         96
        .size:           8
        .value_kind:     hidden_global_offset_x
      - .offset:         104
        .size:           8
        .value_kind:     hidden_global_offset_y
      - .offset:         112
        .size:           8
        .value_kind:     hidden_global_offset_z
      - .offset:         120
        .size:           2
        .value_kind:     hidden_grid_dims
    .group_segment_fixed_size: 1024
    .kernarg_segment_align: 8
    .kernarg_segment_size: 312
    .language:       OpenCL C
    .language_version:
      - 2
      - 0
    .max_flat_workgroup_size: 512
    .name:           _ZN2at6native39vectorized_templated_elementwise_kernelILi4EN12_GLOBAL__N_110CalcIgammaIfEESt5arrayIPcLm3EE23TrivialOffsetCalculatorILi2EjES8_ILi1EjENS0_6memory12LoadWithCastILi2EEENSB_13StoreWithCastILi1EEEN3c108BFloat16EJSH_fEEEviT0_T1_T2_T3_T4_T5_
    .private_segment_fixed_size: 448
    .sgpr_count:     98
    .sgpr_spill_count: 0
    .symbol:         _ZN2at6native39vectorized_templated_elementwise_kernelILi4EN12_GLOBAL__N_110CalcIgammaIfEESt5arrayIPcLm3EE23TrivialOffsetCalculatorILi2EjES8_ILi1EjENS0_6memory12LoadWithCastILi2EEENSB_13StoreWithCastILi1EEEN3c108BFloat16EJSH_fEEEviT0_T1_T2_T3_T4_T5_.kd
    .uniform_work_group_size: 1
    .uses_dynamic_stack: false
    .vgpr_count:     214
    .vgpr_spill_count: 0
    .wavefront_size: 32
  - .args:
      - .offset:         0
        .size:           4
        .value_kind:     by_value
      - .offset:         4
        .size:           1
        .value_kind:     by_value
      - .offset:         8
        .size:           24
        .value_kind:     by_value
      - .offset:         32
        .size:           1
        .value_kind:     by_value
      - .offset:         33
        .size:           1
        .value_kind:     by_value
      - .offset:         36
        .size:           12
        .value_kind:     by_value
      - .offset:         48
        .size:           8
        .value_kind:     by_value
      - .offset:         56
        .size:           4
        .value_kind:     hidden_block_count_x
      - .offset:         60
        .size:           4
        .value_kind:     hidden_block_count_y
      - .offset:         64
        .size:           4
        .value_kind:     hidden_block_count_z
      - .offset:         68
        .size:           2
        .value_kind:     hidden_group_size_x
      - .offset:         70
        .size:           2
        .value_kind:     hidden_group_size_y
      - .offset:         72
        .size:           2
        .value_kind:     hidden_group_size_z
      - .offset:         74
        .size:           2
        .value_kind:     hidden_remainder_x
      - .offset:         76
        .size:           2
        .value_kind:     hidden_remainder_y
      - .offset:         78
        .size:           2
        .value_kind:     hidden_remainder_z
      - .offset:         96
        .size:           8
        .value_kind:     hidden_global_offset_x
      - .offset:         104
        .size:           8
        .value_kind:     hidden_global_offset_y
      - .offset:         112
        .size:           8
        .value_kind:     hidden_global_offset_z
      - .offset:         120
        .size:           2
        .value_kind:     hidden_grid_dims
    .group_segment_fixed_size: 1024
    .kernarg_segment_align: 8
    .kernarg_segment_size: 312
    .language:       OpenCL C
    .language_version:
      - 2
      - 0
    .max_flat_workgroup_size: 512
    .name:           _ZN2at6native39vectorized_templated_elementwise_kernelILi2EN12_GLOBAL__N_110CalcIgammaIfEESt5arrayIPcLm3EE23TrivialOffsetCalculatorILi2EjES8_ILi1EjENS0_6memory12LoadWithCastILi2EEENSB_13StoreWithCastILi1EEEN3c108BFloat16EJSH_fEEEviT0_T1_T2_T3_T4_T5_
    .private_segment_fixed_size: 448
    .sgpr_count:     98
    .sgpr_spill_count: 0
    .symbol:         _ZN2at6native39vectorized_templated_elementwise_kernelILi2EN12_GLOBAL__N_110CalcIgammaIfEESt5arrayIPcLm3EE23TrivialOffsetCalculatorILi2EjES8_ILi1EjENS0_6memory12LoadWithCastILi2EEENSB_13StoreWithCastILi1EEEN3c108BFloat16EJSH_fEEEviT0_T1_T2_T3_T4_T5_.kd
    .uniform_work_group_size: 1
    .uses_dynamic_stack: false
    .vgpr_count:     214
    .vgpr_spill_count: 0
    .wavefront_size: 32
  - .args:
      - .offset:         0
        .size:           4
        .value_kind:     by_value
      - .offset:         4
        .size:           1
        .value_kind:     by_value
      - .offset:         8
        .size:           24
        .value_kind:     by_value
      - .offset:         32
        .size:           1
        .value_kind:     by_value
      - .offset:         33
        .size:           1
        .value_kind:     by_value
      - .offset:         36
        .size:           12
        .value_kind:     by_value
      - .offset:         48
        .size:           8
        .value_kind:     by_value
      - .offset:         56
        .size:           4
        .value_kind:     hidden_block_count_x
      - .offset:         60
        .size:           4
        .value_kind:     hidden_block_count_y
      - .offset:         64
        .size:           4
        .value_kind:     hidden_block_count_z
      - .offset:         68
        .size:           2
        .value_kind:     hidden_group_size_x
      - .offset:         70
        .size:           2
        .value_kind:     hidden_group_size_y
      - .offset:         72
        .size:           2
        .value_kind:     hidden_group_size_z
      - .offset:         74
        .size:           2
        .value_kind:     hidden_remainder_x
      - .offset:         76
        .size:           2
        .value_kind:     hidden_remainder_y
      - .offset:         78
        .size:           2
        .value_kind:     hidden_remainder_z
      - .offset:         96
        .size:           8
        .value_kind:     hidden_global_offset_x
      - .offset:         104
        .size:           8
        .value_kind:     hidden_global_offset_y
      - .offset:         112
        .size:           8
        .value_kind:     hidden_global_offset_z
      - .offset:         120
        .size:           2
        .value_kind:     hidden_grid_dims
    .group_segment_fixed_size: 1024
    .kernarg_segment_align: 8
    .kernarg_segment_size: 312
    .language:       OpenCL C
    .language_version:
      - 2
      - 0
    .max_flat_workgroup_size: 512
    .name:           _ZN2at6native39vectorized_templated_elementwise_kernelILi8EN12_GLOBAL__N_110CalcIgammaIfEESt5arrayIPcLm3EE23TrivialOffsetCalculatorILi2EjES8_ILi1EjENS0_6memory12LoadWithCastILi2EEENSB_13StoreWithCastILi1EEEfJfN3c104HalfEEEEviT0_T1_T2_T3_T4_T5_
    .private_segment_fixed_size: 448
    .sgpr_count:     98
    .sgpr_spill_count: 0
    .symbol:         _ZN2at6native39vectorized_templated_elementwise_kernelILi8EN12_GLOBAL__N_110CalcIgammaIfEESt5arrayIPcLm3EE23TrivialOffsetCalculatorILi2EjES8_ILi1EjENS0_6memory12LoadWithCastILi2EEENSB_13StoreWithCastILi1EEEfJfN3c104HalfEEEEviT0_T1_T2_T3_T4_T5_.kd
    .uniform_work_group_size: 1
    .uses_dynamic_stack: false
    .vgpr_count:     214
    .vgpr_spill_count: 0
    .wavefront_size: 32
  - .args:
      - .offset:         0
        .size:           4
        .value_kind:     by_value
      - .offset:         4
        .size:           1
        .value_kind:     by_value
      - .offset:         8
        .size:           24
        .value_kind:     by_value
      - .offset:         32
        .size:           1
        .value_kind:     by_value
      - .offset:         33
        .size:           1
        .value_kind:     by_value
      - .offset:         36
        .size:           12
        .value_kind:     by_value
      - .offset:         48
        .size:           8
        .value_kind:     by_value
      - .offset:         56
        .size:           4
        .value_kind:     hidden_block_count_x
      - .offset:         60
        .size:           4
        .value_kind:     hidden_block_count_y
      - .offset:         64
        .size:           4
        .value_kind:     hidden_block_count_z
      - .offset:         68
        .size:           2
        .value_kind:     hidden_group_size_x
      - .offset:         70
        .size:           2
        .value_kind:     hidden_group_size_y
      - .offset:         72
        .size:           2
        .value_kind:     hidden_group_size_z
      - .offset:         74
        .size:           2
        .value_kind:     hidden_remainder_x
      - .offset:         76
        .size:           2
        .value_kind:     hidden_remainder_y
      - .offset:         78
        .size:           2
        .value_kind:     hidden_remainder_z
      - .offset:         96
        .size:           8
        .value_kind:     hidden_global_offset_x
      - .offset:         104
        .size:           8
        .value_kind:     hidden_global_offset_y
      - .offset:         112
        .size:           8
        .value_kind:     hidden_global_offset_z
      - .offset:         120
        .size:           2
        .value_kind:     hidden_grid_dims
    .group_segment_fixed_size: 1024
    .kernarg_segment_align: 8
    .kernarg_segment_size: 312
    .language:       OpenCL C
    .language_version:
      - 2
      - 0
    .max_flat_workgroup_size: 512
    .name:           _ZN2at6native39vectorized_templated_elementwise_kernelILi4EN12_GLOBAL__N_110CalcIgammaIfEESt5arrayIPcLm3EE23TrivialOffsetCalculatorILi2EjES8_ILi1EjENS0_6memory12LoadWithCastILi2EEENSB_13StoreWithCastILi1EEEfJfN3c104HalfEEEEviT0_T1_T2_T3_T4_T5_
    .private_segment_fixed_size: 448
    .sgpr_count:     98
    .sgpr_spill_count: 0
    .symbol:         _ZN2at6native39vectorized_templated_elementwise_kernelILi4EN12_GLOBAL__N_110CalcIgammaIfEESt5arrayIPcLm3EE23TrivialOffsetCalculatorILi2EjES8_ILi1EjENS0_6memory12LoadWithCastILi2EEENSB_13StoreWithCastILi1EEEfJfN3c104HalfEEEEviT0_T1_T2_T3_T4_T5_.kd
    .uniform_work_group_size: 1
    .uses_dynamic_stack: false
    .vgpr_count:     214
    .vgpr_spill_count: 0
    .wavefront_size: 32
  - .args:
      - .offset:         0
        .size:           4
        .value_kind:     by_value
      - .offset:         4
        .size:           1
        .value_kind:     by_value
      - .offset:         8
        .size:           24
        .value_kind:     by_value
      - .offset:         32
        .size:           1
        .value_kind:     by_value
      - .offset:         33
        .size:           1
        .value_kind:     by_value
      - .offset:         36
        .size:           12
        .value_kind:     by_value
      - .offset:         48
        .size:           8
        .value_kind:     by_value
      - .offset:         56
        .size:           4
        .value_kind:     hidden_block_count_x
      - .offset:         60
        .size:           4
        .value_kind:     hidden_block_count_y
      - .offset:         64
        .size:           4
        .value_kind:     hidden_block_count_z
      - .offset:         68
        .size:           2
        .value_kind:     hidden_group_size_x
      - .offset:         70
        .size:           2
        .value_kind:     hidden_group_size_y
      - .offset:         72
        .size:           2
        .value_kind:     hidden_group_size_z
      - .offset:         74
        .size:           2
        .value_kind:     hidden_remainder_x
      - .offset:         76
        .size:           2
        .value_kind:     hidden_remainder_y
      - .offset:         78
        .size:           2
        .value_kind:     hidden_remainder_z
      - .offset:         96
        .size:           8
        .value_kind:     hidden_global_offset_x
      - .offset:         104
        .size:           8
        .value_kind:     hidden_global_offset_y
      - .offset:         112
        .size:           8
        .value_kind:     hidden_global_offset_z
      - .offset:         120
        .size:           2
        .value_kind:     hidden_grid_dims
    .group_segment_fixed_size: 1024
    .kernarg_segment_align: 8
    .kernarg_segment_size: 312
    .language:       OpenCL C
    .language_version:
      - 2
      - 0
    .max_flat_workgroup_size: 512
    .name:           _ZN2at6native39vectorized_templated_elementwise_kernelILi2EN12_GLOBAL__N_110CalcIgammaIfEESt5arrayIPcLm3EE23TrivialOffsetCalculatorILi2EjES8_ILi1EjENS0_6memory12LoadWithCastILi2EEENSB_13StoreWithCastILi1EEEfJfN3c104HalfEEEEviT0_T1_T2_T3_T4_T5_
    .private_segment_fixed_size: 448
    .sgpr_count:     98
    .sgpr_spill_count: 0
    .symbol:         _ZN2at6native39vectorized_templated_elementwise_kernelILi2EN12_GLOBAL__N_110CalcIgammaIfEESt5arrayIPcLm3EE23TrivialOffsetCalculatorILi2EjES8_ILi1EjENS0_6memory12LoadWithCastILi2EEENSB_13StoreWithCastILi1EEEfJfN3c104HalfEEEEviT0_T1_T2_T3_T4_T5_.kd
    .uniform_work_group_size: 1
    .uses_dynamic_stack: false
    .vgpr_count:     214
    .vgpr_spill_count: 0
    .wavefront_size: 32
  - .args:
      - .offset:         0
        .size:           4
        .value_kind:     by_value
      - .offset:         4
        .size:           1
        .value_kind:     by_value
      - .offset:         8
        .size:           24
        .value_kind:     by_value
      - .offset:         32
        .size:           1
        .value_kind:     by_value
      - .offset:         33
        .size:           1
        .value_kind:     by_value
      - .offset:         36
        .size:           12
        .value_kind:     by_value
      - .offset:         48
        .size:           8
        .value_kind:     by_value
      - .offset:         56
        .size:           4
        .value_kind:     hidden_block_count_x
      - .offset:         60
        .size:           4
        .value_kind:     hidden_block_count_y
      - .offset:         64
        .size:           4
        .value_kind:     hidden_block_count_z
      - .offset:         68
        .size:           2
        .value_kind:     hidden_group_size_x
      - .offset:         70
        .size:           2
        .value_kind:     hidden_group_size_y
      - .offset:         72
        .size:           2
        .value_kind:     hidden_group_size_z
      - .offset:         74
        .size:           2
        .value_kind:     hidden_remainder_x
      - .offset:         76
        .size:           2
        .value_kind:     hidden_remainder_y
      - .offset:         78
        .size:           2
        .value_kind:     hidden_remainder_z
      - .offset:         96
        .size:           8
        .value_kind:     hidden_global_offset_x
      - .offset:         104
        .size:           8
        .value_kind:     hidden_global_offset_y
      - .offset:         112
        .size:           8
        .value_kind:     hidden_global_offset_z
      - .offset:         120
        .size:           2
        .value_kind:     hidden_grid_dims
    .group_segment_fixed_size: 1024
    .kernarg_segment_align: 8
    .kernarg_segment_size: 312
    .language:       OpenCL C
    .language_version:
      - 2
      - 0
    .max_flat_workgroup_size: 512
    .name:           _ZN2at6native39vectorized_templated_elementwise_kernelILi8EN12_GLOBAL__N_110CalcIgammaIfEESt5arrayIPcLm3EE23TrivialOffsetCalculatorILi2EjES8_ILi1EjENS0_6memory12LoadWithCastILi2EEENSB_13StoreWithCastILi1EEEfJN3c104HalfEfEEEviT0_T1_T2_T3_T4_T5_
    .private_segment_fixed_size: 448
    .sgpr_count:     98
    .sgpr_spill_count: 0
    .symbol:         _ZN2at6native39vectorized_templated_elementwise_kernelILi8EN12_GLOBAL__N_110CalcIgammaIfEESt5arrayIPcLm3EE23TrivialOffsetCalculatorILi2EjES8_ILi1EjENS0_6memory12LoadWithCastILi2EEENSB_13StoreWithCastILi1EEEfJN3c104HalfEfEEEviT0_T1_T2_T3_T4_T5_.kd
    .uniform_work_group_size: 1
    .uses_dynamic_stack: false
    .vgpr_count:     214
    .vgpr_spill_count: 0
    .wavefront_size: 32
  - .args:
      - .offset:         0
        .size:           4
        .value_kind:     by_value
      - .offset:         4
        .size:           1
        .value_kind:     by_value
      - .offset:         8
        .size:           24
        .value_kind:     by_value
      - .offset:         32
        .size:           1
        .value_kind:     by_value
      - .offset:         33
        .size:           1
        .value_kind:     by_value
      - .offset:         36
        .size:           12
        .value_kind:     by_value
      - .offset:         48
        .size:           8
        .value_kind:     by_value
      - .offset:         56
        .size:           4
        .value_kind:     hidden_block_count_x
      - .offset:         60
        .size:           4
        .value_kind:     hidden_block_count_y
      - .offset:         64
        .size:           4
        .value_kind:     hidden_block_count_z
      - .offset:         68
        .size:           2
        .value_kind:     hidden_group_size_x
      - .offset:         70
        .size:           2
        .value_kind:     hidden_group_size_y
      - .offset:         72
        .size:           2
        .value_kind:     hidden_group_size_z
      - .offset:         74
        .size:           2
        .value_kind:     hidden_remainder_x
      - .offset:         76
        .size:           2
        .value_kind:     hidden_remainder_y
      - .offset:         78
        .size:           2
        .value_kind:     hidden_remainder_z
      - .offset:         96
        .size:           8
        .value_kind:     hidden_global_offset_x
      - .offset:         104
        .size:           8
        .value_kind:     hidden_global_offset_y
      - .offset:         112
        .size:           8
        .value_kind:     hidden_global_offset_z
      - .offset:         120
        .size:           2
        .value_kind:     hidden_grid_dims
    .group_segment_fixed_size: 1024
    .kernarg_segment_align: 8
    .kernarg_segment_size: 312
    .language:       OpenCL C
    .language_version:
      - 2
      - 0
    .max_flat_workgroup_size: 512
    .name:           _ZN2at6native39vectorized_templated_elementwise_kernelILi4EN12_GLOBAL__N_110CalcIgammaIfEESt5arrayIPcLm3EE23TrivialOffsetCalculatorILi2EjES8_ILi1EjENS0_6memory12LoadWithCastILi2EEENSB_13StoreWithCastILi1EEEfJN3c104HalfEfEEEviT0_T1_T2_T3_T4_T5_
    .private_segment_fixed_size: 448
    .sgpr_count:     98
    .sgpr_spill_count: 0
    .symbol:         _ZN2at6native39vectorized_templated_elementwise_kernelILi4EN12_GLOBAL__N_110CalcIgammaIfEESt5arrayIPcLm3EE23TrivialOffsetCalculatorILi2EjES8_ILi1EjENS0_6memory12LoadWithCastILi2EEENSB_13StoreWithCastILi1EEEfJN3c104HalfEfEEEviT0_T1_T2_T3_T4_T5_.kd
    .uniform_work_group_size: 1
    .uses_dynamic_stack: false
    .vgpr_count:     214
    .vgpr_spill_count: 0
    .wavefront_size: 32
  - .args:
      - .offset:         0
        .size:           4
        .value_kind:     by_value
      - .offset:         4
        .size:           1
        .value_kind:     by_value
      - .offset:         8
        .size:           24
        .value_kind:     by_value
      - .offset:         32
        .size:           1
        .value_kind:     by_value
      - .offset:         33
        .size:           1
        .value_kind:     by_value
      - .offset:         36
        .size:           12
        .value_kind:     by_value
      - .offset:         48
        .size:           8
        .value_kind:     by_value
      - .offset:         56
        .size:           4
        .value_kind:     hidden_block_count_x
      - .offset:         60
        .size:           4
        .value_kind:     hidden_block_count_y
      - .offset:         64
        .size:           4
        .value_kind:     hidden_block_count_z
      - .offset:         68
        .size:           2
        .value_kind:     hidden_group_size_x
      - .offset:         70
        .size:           2
        .value_kind:     hidden_group_size_y
      - .offset:         72
        .size:           2
        .value_kind:     hidden_group_size_z
      - .offset:         74
        .size:           2
        .value_kind:     hidden_remainder_x
      - .offset:         76
        .size:           2
        .value_kind:     hidden_remainder_y
      - .offset:         78
        .size:           2
        .value_kind:     hidden_remainder_z
      - .offset:         96
        .size:           8
        .value_kind:     hidden_global_offset_x
      - .offset:         104
        .size:           8
        .value_kind:     hidden_global_offset_y
      - .offset:         112
        .size:           8
        .value_kind:     hidden_global_offset_z
      - .offset:         120
        .size:           2
        .value_kind:     hidden_grid_dims
    .group_segment_fixed_size: 1024
    .kernarg_segment_align: 8
    .kernarg_segment_size: 312
    .language:       OpenCL C
    .language_version:
      - 2
      - 0
    .max_flat_workgroup_size: 512
    .name:           _ZN2at6native39vectorized_templated_elementwise_kernelILi2EN12_GLOBAL__N_110CalcIgammaIfEESt5arrayIPcLm3EE23TrivialOffsetCalculatorILi2EjES8_ILi1EjENS0_6memory12LoadWithCastILi2EEENSB_13StoreWithCastILi1EEEfJN3c104HalfEfEEEviT0_T1_T2_T3_T4_T5_
    .private_segment_fixed_size: 448
    .sgpr_count:     98
    .sgpr_spill_count: 0
    .symbol:         _ZN2at6native39vectorized_templated_elementwise_kernelILi2EN12_GLOBAL__N_110CalcIgammaIfEESt5arrayIPcLm3EE23TrivialOffsetCalculatorILi2EjES8_ILi1EjENS0_6memory12LoadWithCastILi2EEENSB_13StoreWithCastILi1EEEfJN3c104HalfEfEEEviT0_T1_T2_T3_T4_T5_.kd
    .uniform_work_group_size: 1
    .uses_dynamic_stack: false
    .vgpr_count:     214
    .vgpr_spill_count: 0
    .wavefront_size: 32
  - .args:
      - .offset:         0
        .size:           4
        .value_kind:     by_value
      - .offset:         4
        .size:           1
        .value_kind:     by_value
      - .offset:         8
        .size:           24
        .value_kind:     by_value
      - .offset:         32
        .size:           1
        .value_kind:     by_value
      - .offset:         33
        .size:           1
        .value_kind:     by_value
      - .offset:         36
        .size:           12
        .value_kind:     by_value
      - .offset:         48
        .size:           8
        .value_kind:     by_value
      - .offset:         56
        .size:           4
        .value_kind:     hidden_block_count_x
      - .offset:         60
        .size:           4
        .value_kind:     hidden_block_count_y
      - .offset:         64
        .size:           4
        .value_kind:     hidden_block_count_z
      - .offset:         68
        .size:           2
        .value_kind:     hidden_group_size_x
      - .offset:         70
        .size:           2
        .value_kind:     hidden_group_size_y
      - .offset:         72
        .size:           2
        .value_kind:     hidden_group_size_z
      - .offset:         74
        .size:           2
        .value_kind:     hidden_remainder_x
      - .offset:         76
        .size:           2
        .value_kind:     hidden_remainder_y
      - .offset:         78
        .size:           2
        .value_kind:     hidden_remainder_z
      - .offset:         96
        .size:           8
        .value_kind:     hidden_global_offset_x
      - .offset:         104
        .size:           8
        .value_kind:     hidden_global_offset_y
      - .offset:         112
        .size:           8
        .value_kind:     hidden_global_offset_z
      - .offset:         120
        .size:           2
        .value_kind:     hidden_grid_dims
    .group_segment_fixed_size: 1024
    .kernarg_segment_align: 8
    .kernarg_segment_size: 312
    .language:       OpenCL C
    .language_version:
      - 2
      - 0
    .max_flat_workgroup_size: 512
    .name:           _ZN2at6native39vectorized_templated_elementwise_kernelILi8EN12_GLOBAL__N_110CalcIgammaIfEESt5arrayIPcLm3EE23TrivialOffsetCalculatorILi2EjES8_ILi1EjENS0_6memory12LoadWithCastILi2EEENSB_13StoreWithCastILi1EEEN3c104HalfEJSH_fEEEviT0_T1_T2_T3_T4_T5_
    .private_segment_fixed_size: 448
    .sgpr_count:     98
    .sgpr_spill_count: 0
    .symbol:         _ZN2at6native39vectorized_templated_elementwise_kernelILi8EN12_GLOBAL__N_110CalcIgammaIfEESt5arrayIPcLm3EE23TrivialOffsetCalculatorILi2EjES8_ILi1EjENS0_6memory12LoadWithCastILi2EEENSB_13StoreWithCastILi1EEEN3c104HalfEJSH_fEEEviT0_T1_T2_T3_T4_T5_.kd
    .uniform_work_group_size: 1
    .uses_dynamic_stack: false
    .vgpr_count:     214
    .vgpr_spill_count: 0
    .wavefront_size: 32
  - .args:
      - .offset:         0
        .size:           4
        .value_kind:     by_value
      - .offset:         4
        .size:           1
        .value_kind:     by_value
      - .offset:         8
        .size:           24
        .value_kind:     by_value
      - .offset:         32
        .size:           1
        .value_kind:     by_value
      - .offset:         33
        .size:           1
        .value_kind:     by_value
      - .offset:         36
        .size:           12
        .value_kind:     by_value
      - .offset:         48
        .size:           8
        .value_kind:     by_value
      - .offset:         56
        .size:           4
        .value_kind:     hidden_block_count_x
      - .offset:         60
        .size:           4
        .value_kind:     hidden_block_count_y
      - .offset:         64
        .size:           4
        .value_kind:     hidden_block_count_z
      - .offset:         68
        .size:           2
        .value_kind:     hidden_group_size_x
      - .offset:         70
        .size:           2
        .value_kind:     hidden_group_size_y
      - .offset:         72
        .size:           2
        .value_kind:     hidden_group_size_z
      - .offset:         74
        .size:           2
        .value_kind:     hidden_remainder_x
      - .offset:         76
        .size:           2
        .value_kind:     hidden_remainder_y
      - .offset:         78
        .size:           2
        .value_kind:     hidden_remainder_z
      - .offset:         96
        .size:           8
        .value_kind:     hidden_global_offset_x
      - .offset:         104
        .size:           8
        .value_kind:     hidden_global_offset_y
      - .offset:         112
        .size:           8
        .value_kind:     hidden_global_offset_z
      - .offset:         120
        .size:           2
        .value_kind:     hidden_grid_dims
    .group_segment_fixed_size: 1024
    .kernarg_segment_align: 8
    .kernarg_segment_size: 312
    .language:       OpenCL C
    .language_version:
      - 2
      - 0
    .max_flat_workgroup_size: 512
    .name:           _ZN2at6native39vectorized_templated_elementwise_kernelILi4EN12_GLOBAL__N_110CalcIgammaIfEESt5arrayIPcLm3EE23TrivialOffsetCalculatorILi2EjES8_ILi1EjENS0_6memory12LoadWithCastILi2EEENSB_13StoreWithCastILi1EEEN3c104HalfEJSH_fEEEviT0_T1_T2_T3_T4_T5_
    .private_segment_fixed_size: 448
    .sgpr_count:     98
    .sgpr_spill_count: 0
    .symbol:         _ZN2at6native39vectorized_templated_elementwise_kernelILi4EN12_GLOBAL__N_110CalcIgammaIfEESt5arrayIPcLm3EE23TrivialOffsetCalculatorILi2EjES8_ILi1EjENS0_6memory12LoadWithCastILi2EEENSB_13StoreWithCastILi1EEEN3c104HalfEJSH_fEEEviT0_T1_T2_T3_T4_T5_.kd
    .uniform_work_group_size: 1
    .uses_dynamic_stack: false
    .vgpr_count:     214
    .vgpr_spill_count: 0
    .wavefront_size: 32
  - .args:
      - .offset:         0
        .size:           4
        .value_kind:     by_value
      - .offset:         4
        .size:           1
        .value_kind:     by_value
      - .offset:         8
        .size:           24
        .value_kind:     by_value
      - .offset:         32
        .size:           1
        .value_kind:     by_value
      - .offset:         33
        .size:           1
        .value_kind:     by_value
      - .offset:         36
        .size:           12
        .value_kind:     by_value
      - .offset:         48
        .size:           8
        .value_kind:     by_value
      - .offset:         56
        .size:           4
        .value_kind:     hidden_block_count_x
      - .offset:         60
        .size:           4
        .value_kind:     hidden_block_count_y
      - .offset:         64
        .size:           4
        .value_kind:     hidden_block_count_z
      - .offset:         68
        .size:           2
        .value_kind:     hidden_group_size_x
      - .offset:         70
        .size:           2
        .value_kind:     hidden_group_size_y
      - .offset:         72
        .size:           2
        .value_kind:     hidden_group_size_z
      - .offset:         74
        .size:           2
        .value_kind:     hidden_remainder_x
      - .offset:         76
        .size:           2
        .value_kind:     hidden_remainder_y
      - .offset:         78
        .size:           2
        .value_kind:     hidden_remainder_z
      - .offset:         96
        .size:           8
        .value_kind:     hidden_global_offset_x
      - .offset:         104
        .size:           8
        .value_kind:     hidden_global_offset_y
      - .offset:         112
        .size:           8
        .value_kind:     hidden_global_offset_z
      - .offset:         120
        .size:           2
        .value_kind:     hidden_grid_dims
    .group_segment_fixed_size: 1024
    .kernarg_segment_align: 8
    .kernarg_segment_size: 312
    .language:       OpenCL C
    .language_version:
      - 2
      - 0
    .max_flat_workgroup_size: 512
    .name:           _ZN2at6native39vectorized_templated_elementwise_kernelILi2EN12_GLOBAL__N_110CalcIgammaIfEESt5arrayIPcLm3EE23TrivialOffsetCalculatorILi2EjES8_ILi1EjENS0_6memory12LoadWithCastILi2EEENSB_13StoreWithCastILi1EEEN3c104HalfEJSH_fEEEviT0_T1_T2_T3_T4_T5_
    .private_segment_fixed_size: 448
    .sgpr_count:     98
    .sgpr_spill_count: 0
    .symbol:         _ZN2at6native39vectorized_templated_elementwise_kernelILi2EN12_GLOBAL__N_110CalcIgammaIfEESt5arrayIPcLm3EE23TrivialOffsetCalculatorILi2EjES8_ILi1EjENS0_6memory12LoadWithCastILi2EEENSB_13StoreWithCastILi1EEEN3c104HalfEJSH_fEEEviT0_T1_T2_T3_T4_T5_.kd
    .uniform_work_group_size: 1
    .uses_dynamic_stack: false
    .vgpr_count:     214
    .vgpr_spill_count: 0
    .wavefront_size: 32
  - .args:
      - .offset:         0
        .size:           4
        .value_kind:     by_value
      - .offset:         8
        .size:           40
        .value_kind:     by_value
    .group_segment_fixed_size: 0
    .kernarg_segment_align: 8
    .kernarg_segment_size: 48
    .language:       OpenCL C
    .language_version:
      - 2
      - 0
    .max_flat_workgroup_size: 128
    .name:           _ZN2at6native32elementwise_kernel_manual_unrollILi128ELi4EZNS0_15gpu_kernel_implIN12_GLOBAL__N_110CalcIgammaIfEEEEvRNS_18TensorIteratorBaseERKT_EUlibE_EEviT1_
    .private_segment_fixed_size: 144
    .sgpr_count:     70
    .sgpr_spill_count: 0
    .symbol:         _ZN2at6native32elementwise_kernel_manual_unrollILi128ELi4EZNS0_15gpu_kernel_implIN12_GLOBAL__N_110CalcIgammaIfEEEEvRNS_18TensorIteratorBaseERKT_EUlibE_EEviT1_.kd
    .uniform_work_group_size: 1
    .uses_dynamic_stack: false
    .vgpr_count:     84
    .vgpr_spill_count: 0
    .wavefront_size: 32
  - .args:
      - .offset:         0
        .size:           4
        .value_kind:     by_value
      - .offset:         8
        .size:           424
        .value_kind:     by_value
    .group_segment_fixed_size: 0
    .kernarg_segment_align: 8
    .kernarg_segment_size: 432
    .language:       OpenCL C
    .language_version:
      - 2
      - 0
    .max_flat_workgroup_size: 128
    .name:           _ZN2at6native32elementwise_kernel_manual_unrollILi128ELi4EZNS0_12_GLOBAL__N_142type_specialized_broadcast_kernel_launcherILi0EE5applyIN12_GLOBAL__N_110CalcIgammaIfEESt5arrayIPcLm3EES9_IN3c1010ScalarTypeELm3EE16OffsetCalculatorILi3EjLb0EEEEvlT_T0_T1_T2_EUlibE_EEviSJ_
    .private_segment_fixed_size: 144
    .sgpr_count:     75
    .sgpr_spill_count: 0
    .symbol:         _ZN2at6native32elementwise_kernel_manual_unrollILi128ELi4EZNS0_12_GLOBAL__N_142type_specialized_broadcast_kernel_launcherILi0EE5applyIN12_GLOBAL__N_110CalcIgammaIfEESt5arrayIPcLm3EES9_IN3c1010ScalarTypeELm3EE16OffsetCalculatorILi3EjLb0EEEEvlT_T0_T1_T2_EUlibE_EEviSJ_.kd
    .uniform_work_group_size: 1
    .uses_dynamic_stack: false
    .vgpr_count:     84
    .vgpr_spill_count: 0
    .wavefront_size: 32
  - .args:
      - .offset:         0
        .size:           4
        .value_kind:     by_value
      - .offset:         8
        .size:           424
        .value_kind:     by_value
    .group_segment_fixed_size: 0
    .kernarg_segment_align: 8
    .kernarg_segment_size: 432
    .language:       OpenCL C
    .language_version:
      - 2
      - 0
    .max_flat_workgroup_size: 128
    .name:           _ZN2at6native32elementwise_kernel_manual_unrollILi128ELi4EZNS0_12_GLOBAL__N_142type_specialized_broadcast_kernel_launcherILi1EE5applyIN12_GLOBAL__N_110CalcIgammaIfEESt5arrayIPcLm3EES9_IN3c1010ScalarTypeELm3EE16OffsetCalculatorILi3EjLb0EEEEvlT_T0_T1_T2_EUlibE_EEviSJ_
    .private_segment_fixed_size: 144
    .sgpr_count:     75
    .sgpr_spill_count: 0
    .symbol:         _ZN2at6native32elementwise_kernel_manual_unrollILi128ELi4EZNS0_12_GLOBAL__N_142type_specialized_broadcast_kernel_launcherILi1EE5applyIN12_GLOBAL__N_110CalcIgammaIfEESt5arrayIPcLm3EES9_IN3c1010ScalarTypeELm3EE16OffsetCalculatorILi3EjLb0EEEEvlT_T0_T1_T2_EUlibE_EEviSJ_.kd
    .uniform_work_group_size: 1
    .uses_dynamic_stack: false
    .vgpr_count:     84
    .vgpr_spill_count: 0
    .wavefront_size: 32
  - .args:
      - .offset:         0
        .size:           4
        .value_kind:     by_value
      - .offset:         8
        .size:           424
        .value_kind:     by_value
    .group_segment_fixed_size: 0
    .kernarg_segment_align: 8
    .kernarg_segment_size: 432
    .language:       OpenCL C
    .language_version:
      - 2
      - 0
    .max_flat_workgroup_size: 128
    .name:           _ZN2at6native32elementwise_kernel_manual_unrollILi128ELi4EZNS0_12_GLOBAL__N_142type_specialized_broadcast_kernel_launcherILi2EE5applyIN12_GLOBAL__N_110CalcIgammaIfEESt5arrayIPcLm3EES9_IN3c1010ScalarTypeELm3EE16OffsetCalculatorILi3EjLb0EEEEvlT_T0_T1_T2_EUlibE_EEviSJ_
    .private_segment_fixed_size: 144
    .sgpr_count:     75
    .sgpr_spill_count: 0
    .symbol:         _ZN2at6native32elementwise_kernel_manual_unrollILi128ELi4EZNS0_12_GLOBAL__N_142type_specialized_broadcast_kernel_launcherILi2EE5applyIN12_GLOBAL__N_110CalcIgammaIfEESt5arrayIPcLm3EES9_IN3c1010ScalarTypeELm3EE16OffsetCalculatorILi3EjLb0EEEEvlT_T0_T1_T2_EUlibE_EEviSJ_.kd
    .uniform_work_group_size: 1
    .uses_dynamic_stack: false
    .vgpr_count:     84
    .vgpr_spill_count: 0
    .wavefront_size: 32
  - .args:
      - .offset:         0
        .size:           4
        .value_kind:     by_value
      - .offset:         8
        .size:           424
        .value_kind:     by_value
    .group_segment_fixed_size: 0
    .kernarg_segment_align: 8
    .kernarg_segment_size: 432
    .language:       OpenCL C
    .language_version:
      - 2
      - 0
    .max_flat_workgroup_size: 128
    .name:           _ZN2at6native32elementwise_kernel_manual_unrollILi128ELi4EZNS0_12_GLOBAL__N_142type_specialized_broadcast_kernel_launcherILi3EE5applyIN12_GLOBAL__N_110CalcIgammaIfEESt5arrayIPcLm3EES9_IN3c1010ScalarTypeELm3EE16OffsetCalculatorILi3EjLb0EEEEvlT_T0_T1_T2_EUlibE_EEviSJ_
    .private_segment_fixed_size: 144
    .sgpr_count:     75
    .sgpr_spill_count: 0
    .symbol:         _ZN2at6native32elementwise_kernel_manual_unrollILi128ELi4EZNS0_12_GLOBAL__N_142type_specialized_broadcast_kernel_launcherILi3EE5applyIN12_GLOBAL__N_110CalcIgammaIfEESt5arrayIPcLm3EES9_IN3c1010ScalarTypeELm3EE16OffsetCalculatorILi3EjLb0EEEEvlT_T0_T1_T2_EUlibE_EEviSJ_.kd
    .uniform_work_group_size: 1
    .uses_dynamic_stack: false
    .vgpr_count:     84
    .vgpr_spill_count: 0
    .wavefront_size: 32
  - .args:
      - .offset:         0
        .size:           4
        .value_kind:     by_value
      - .offset:         8
        .size:           424
        .value_kind:     by_value
    .group_segment_fixed_size: 0
    .kernarg_segment_align: 8
    .kernarg_segment_size: 432
    .language:       OpenCL C
    .language_version:
      - 2
      - 0
    .max_flat_workgroup_size: 128
    .name:           _ZN2at6native32elementwise_kernel_manual_unrollILi128ELi4EZNS0_12_GLOBAL__N_142type_specialized_broadcast_kernel_launcherILi4EE5applyIN12_GLOBAL__N_110CalcIgammaIfEESt5arrayIPcLm3EES9_IN3c1010ScalarTypeELm3EE16OffsetCalculatorILi3EjLb0EEEEvlT_T0_T1_T2_EUlibE_EEviSJ_
    .private_segment_fixed_size: 144
    .sgpr_count:     75
    .sgpr_spill_count: 0
    .symbol:         _ZN2at6native32elementwise_kernel_manual_unrollILi128ELi4EZNS0_12_GLOBAL__N_142type_specialized_broadcast_kernel_launcherILi4EE5applyIN12_GLOBAL__N_110CalcIgammaIfEESt5arrayIPcLm3EES9_IN3c1010ScalarTypeELm3EE16OffsetCalculatorILi3EjLb0EEEEvlT_T0_T1_T2_EUlibE_EEviSJ_.kd
    .uniform_work_group_size: 1
    .uses_dynamic_stack: false
    .vgpr_count:     84
    .vgpr_spill_count: 0
    .wavefront_size: 32
  - .args:
      - .offset:         0
        .size:           4
        .value_kind:     by_value
      - .offset:         8
        .size:           424
        .value_kind:     by_value
    .group_segment_fixed_size: 0
    .kernarg_segment_align: 8
    .kernarg_segment_size: 432
    .language:       OpenCL C
    .language_version:
      - 2
      - 0
    .max_flat_workgroup_size: 128
    .name:           _ZN2at6native32elementwise_kernel_manual_unrollILi128ELi4EZNS0_12_GLOBAL__N_142type_specialized_broadcast_kernel_launcherILi5EE5applyIN12_GLOBAL__N_110CalcIgammaIfEESt5arrayIPcLm3EES9_IN3c1010ScalarTypeELm3EE16OffsetCalculatorILi3EjLb0EEEEvlT_T0_T1_T2_EUlibE_EEviSJ_
    .private_segment_fixed_size: 144
    .sgpr_count:     75
    .sgpr_spill_count: 0
    .symbol:         _ZN2at6native32elementwise_kernel_manual_unrollILi128ELi4EZNS0_12_GLOBAL__N_142type_specialized_broadcast_kernel_launcherILi5EE5applyIN12_GLOBAL__N_110CalcIgammaIfEESt5arrayIPcLm3EES9_IN3c1010ScalarTypeELm3EE16OffsetCalculatorILi3EjLb0EEEEvlT_T0_T1_T2_EUlibE_EEviSJ_.kd
    .uniform_work_group_size: 1
    .uses_dynamic_stack: false
    .vgpr_count:     84
    .vgpr_spill_count: 0
    .wavefront_size: 32
  - .args:
      - .offset:         0
        .size:           4
        .value_kind:     by_value
      - .offset:         8
        .size:           424
        .value_kind:     by_value
    .group_segment_fixed_size: 0
    .kernarg_segment_align: 8
    .kernarg_segment_size: 432
    .language:       OpenCL C
    .language_version:
      - 2
      - 0
    .max_flat_workgroup_size: 128
    .name:           _ZN2at6native32elementwise_kernel_manual_unrollILi128ELi4EZNS0_15gpu_kernel_implIN12_GLOBAL__N_110CalcIgammaIfEEEEvRNS_18TensorIteratorBaseERKT_EUlibE0_EEviT1_
    .private_segment_fixed_size: 144
    .sgpr_count:     88
    .sgpr_spill_count: 0
    .symbol:         _ZN2at6native32elementwise_kernel_manual_unrollILi128ELi4EZNS0_15gpu_kernel_implIN12_GLOBAL__N_110CalcIgammaIfEEEEvRNS_18TensorIteratorBaseERKT_EUlibE0_EEviT1_.kd
    .uniform_work_group_size: 1
    .uses_dynamic_stack: false
    .vgpr_count:     86
    .vgpr_spill_count: 0
    .wavefront_size: 32
amdhsa.target:   amdgcn-amd-amdhsa--gfx1250
amdhsa.version:
  - 1
  - 2
...

	.end_amdgpu_metadata
